;; amdgpu-corpus repo=ggml-org/llama.cpp kind=compiled arch=gfx90a opt=O3
	.text
	.amdgcn_target "amdgcn-amd-amdhsa--gfx90a"
	.amdhsa_code_object_version 6
	.section	.text._ZL18flash_attn_ext_f16ILi64ELi64ELi32ELi1ELb0ELb0EEvPKcS1_S1_S1_S1_PKiPfP15HIP_vector_typeIfLj2EEffffjfiS5_IjLj3EEiiiiiiiiiiiliiliiiiil,"axG",@progbits,_ZL18flash_attn_ext_f16ILi64ELi64ELi32ELi1ELb0ELb0EEvPKcS1_S1_S1_S1_PKiPfP15HIP_vector_typeIfLj2EEffffjfiS5_IjLj3EEiiiiiiiiiiiliiliiiiil,comdat
	.globl	_ZL18flash_attn_ext_f16ILi64ELi64ELi32ELi1ELb0ELb0EEvPKcS1_S1_S1_S1_PKiPfP15HIP_vector_typeIfLj2EEffffjfiS5_IjLj3EEiiiiiiiiiiiliiliiiiil ; -- Begin function _ZL18flash_attn_ext_f16ILi64ELi64ELi32ELi1ELb0ELb0EEvPKcS1_S1_S1_S1_PKiPfP15HIP_vector_typeIfLj2EEffffjfiS5_IjLj3EEiiiiiiiiiiiliiliiiiil
	.p2align	8
	.type	_ZL18flash_attn_ext_f16ILi64ELi64ELi32ELi1ELb0ELb0EEvPKcS1_S1_S1_S1_PKiPfP15HIP_vector_typeIfLj2EEffffjfiS5_IjLj3EEiiiiiiiiiiiliiliiiiil,@function
_ZL18flash_attn_ext_f16ILi64ELi64ELi32ELi1ELb0ELb0EEvPKcS1_S1_S1_S1_PKiPfP15HIP_vector_typeIfLj2EEffffjfiS5_IjLj3EEiiiiiiiiiiiliiliiiiil: ; @_ZL18flash_attn_ext_f16ILi64ELi64ELi32ELi1ELb0ELb0EEvPKcS1_S1_S1_S1_PKiPfP15HIP_vector_typeIfLj2EEffffjfiS5_IjLj3EEiiiiiiiiiiiliiliiiiil
; %bb.0:
	s_load_dwordx2 s[14:15], s[4:5], 0x80
	s_load_dwordx4 s[76:79], s[4:5], 0x64
	s_add_u32 flat_scratch_lo, s6, s9
	s_addc_u32 flat_scratch_hi, s7, 0
	s_add_u32 s0, s0, s9
	s_addc_u32 s1, s1, 0
	s_waitcnt lgkmcnt(0)
	s_abs_i32 s6, s15
	v_cvt_f32_u32_e32 v1, s6
	s_sub_i32 s10, 0, s6
	s_abs_i32 s9, s77
	s_xor_b32 s7, s77, s15
	v_rcp_iflag_f32_e32 v1, v1
	s_ashr_i32 s7, s7, 31
                                        ; implicit-def: $vgpr187 : SGPR spill to VGPR lane
	s_load_dword s54, s[4:5], 0xd0
	s_mov_b32 s56, s8
	v_mul_f32_e32 v1, 0x4f7ffffe, v1
	v_cvt_u32_f32_e32 v1, v1
	s_mov_b32 s8, 0
	s_waitcnt lgkmcnt(0)
	v_cvt_f32_u32_e32 v2, s54
	v_cvt_f32_ubyte0_e32 v3, 0
	v_readfirstlane_b32 s11, v1
	s_mul_i32 s10, s10, s11
	s_mul_hi_u32 s10, s11, s10
	s_add_i32 s11, s11, s10
	s_mul_hi_u32 s10, s9, s11
	s_mul_i32 s11, s10, s6
	s_sub_i32 s9, s9, s11
	s_add_i32 s12, s10, 1
	s_sub_i32 s11, s9, s6
	s_cmp_ge_u32 s9, s6
	s_cselect_b32 s10, s12, s10
	s_cselect_b32 s9, s11, s9
	s_add_i32 s11, s10, 1
	s_cmp_ge_u32 s9, s6
	s_cselect_b32 s6, s11, s10
	s_add_i32 s9, s14, 63
	s_xor_b32 s6, s6, s7
	s_ashr_i32 s10, s9, 31
	s_sub_i32 s7, s6, s7
	s_lshr_b32 s6, s10, 26
	s_add_i32 s9, s9, s6
	s_add_i32 s6, s76, 31
	s_lshr_b32 s6, s6, 5
	s_ashr_i32 s9, s9, 6
	v_writelane_b32 v187, s6, 0
	v_writelane_b32 v187, s9, 1
	s_mul_i32 s6, s6, s9
	v_writelane_b32 v187, s7, 2
	v_writelane_b32 v187, s6, 3
	s_mul_i32 s7, s6, s7
	s_mov_b32 s6, s14
	v_writelane_b32 v187, s6, 4
	v_writelane_b32 v187, s7, 5
	s_mul_i32 s6, s7, s15
	s_mul_i32 s10, s6, s78
	v_writelane_b32 v187, s7, 6
	s_ashr_i32 s11, s10, 31
	v_writelane_b32 v187, s6, 7
	s_mul_i32 s6, s11, s56
	s_mul_hi_u32 s7, s10, s56
	s_add_i32 s9, s7, s6
	s_mul_i32 s12, s10, s56
	s_cmp_lg_u64 s[8:9], 0
	s_cbranch_scc0 .LBB0_2
; %bb.1:
	v_madmk_f32 v1, v3, 0x4f800000, v2
	v_rcp_f32_e32 v1, v1
	s_sub_u32 s8, 0, s54
	s_subb_u32 s13, 0, 0
	s_mov_b64 s[6:7], 0
	v_mul_f32_e32 v1, 0x5f7ffffc, v1
	v_mul_f32_e32 v4, 0x2f800000, v1
	v_trunc_f32_e32 v4, v4
	v_madmk_f32 v1, v4, 0xcf800000, v1
	v_cvt_u32_f32_e32 v4, v4
	v_cvt_u32_f32_e32 v1, v1
	v_readfirstlane_b32 s14, v4
	v_readfirstlane_b32 s15, v1
	s_mul_hi_u32 s17, s8, s15
	s_mul_i32 s18, s8, s14
	s_mul_i32 s16, s13, s15
	s_add_i32 s17, s17, s18
	s_add_i32 s17, s17, s16
	s_mul_i32 s19, s8, s15
	s_mul_hi_u32 s16, s15, s17
	s_mul_i32 s18, s15, s17
	s_mul_hi_u32 s15, s15, s19
	s_add_u32 s15, s15, s18
	s_addc_u32 s16, 0, s16
	s_mul_hi_u32 s20, s14, s19
	s_mul_i32 s19, s14, s19
	s_add_u32 s15, s15, s19
	s_mul_hi_u32 s18, s14, s17
	s_addc_u32 s15, s16, s20
	s_addc_u32 s16, s18, 0
	s_mul_i32 s17, s14, s17
	s_add_u32 s15, s15, s17
	s_addc_u32 s16, 0, s16
	v_add_co_u32_e32 v1, vcc, s15, v1
	s_cmp_lg_u64 vcc, 0
	s_addc_u32 s14, s14, s16
	v_readfirstlane_b32 s16, v1
	s_mul_i32 s15, s8, s14
	s_mul_hi_u32 s17, s8, s16
	s_add_i32 s15, s17, s15
	s_mul_i32 s13, s13, s16
	s_add_i32 s15, s15, s13
	s_mul_i32 s8, s8, s16
	s_mul_hi_u32 s17, s14, s8
	s_mul_i32 s18, s14, s8
	s_mul_i32 s20, s16, s15
	s_mul_hi_u32 s8, s16, s8
	s_mul_hi_u32 s19, s16, s15
	s_add_u32 s8, s8, s20
	s_addc_u32 s16, 0, s19
	s_add_u32 s8, s8, s18
	s_mul_hi_u32 s13, s14, s15
	s_addc_u32 s8, s16, s17
	s_addc_u32 s13, s13, 0
	s_mul_i32 s15, s14, s15
	s_add_u32 s8, s8, s15
	s_addc_u32 s13, 0, s13
	v_add_co_u32_e32 v1, vcc, s8, v1
	s_cmp_lg_u64 vcc, 0
	s_addc_u32 s13, s14, s13
	s_ashr_i32 s14, s9, 31
	s_add_u32 s8, s12, s14
	s_mov_b32 s15, s14
	s_addc_u32 s9, s9, s14
	s_xor_b64 s[8:9], s[8:9], s[14:15]
	v_readfirstlane_b32 s18, v1
	s_mul_i32 s17, s8, s13
	s_mul_hi_u32 s19, s8, s18
	s_mul_hi_u32 s16, s8, s13
	s_add_u32 s17, s19, s17
	s_addc_u32 s16, 0, s16
	s_mul_hi_u32 s20, s9, s18
	s_mul_i32 s18, s9, s18
	s_add_u32 s17, s17, s18
	s_mul_hi_u32 s19, s9, s13
	s_addc_u32 s16, s16, s20
	s_addc_u32 s17, s19, 0
	s_mul_i32 s13, s9, s13
	s_add_u32 s13, s16, s13
	s_addc_u32 s16, 0, s17
	s_add_u32 s17, s13, 1
	s_addc_u32 s18, s16, 0
	s_add_u32 s19, s13, 2
	s_mul_i32 s21, s54, s16
	s_mul_hi_u32 s22, s54, s13
	s_addc_u32 s20, s16, 0
	s_add_i32 s22, s22, s21
	s_mul_i32 s21, s54, s13
	v_mov_b32_e32 v1, s21
	v_sub_co_u32_e32 v1, vcc, s8, v1
	s_cmp_lg_u64 vcc, 0
	s_subb_u32 s8, s9, s22
	v_subrev_co_u32_e32 v4, vcc, s54, v1
	s_cmp_lg_u64 vcc, 0
	s_subb_u32 s9, s8, 0
	v_readfirstlane_b32 s21, v4
	s_cmp_ge_u32 s21, s54
	s_cselect_b32 s21, -1, 0
	s_cmp_eq_u32 s9, 0
	s_cselect_b32 s9, s21, -1
	s_cmp_lg_u32 s9, 0
	s_cselect_b32 s9, s20, s18
	v_readfirstlane_b32 s18, v1
	s_cselect_b32 s17, s19, s17
	s_cmp_ge_u32 s18, s54
	s_cselect_b32 s18, -1, 0
	s_cmp_eq_u32 s8, 0
	s_cselect_b32 s8, s18, -1
	s_cmp_lg_u32 s8, 0
	s_cselect_b32 s9, s9, s16
	s_cselect_b32 s8, s17, s13
	s_xor_b64 s[8:9], s[8:9], s[14:15]
	s_sub_u32 s96, s8, s14
	s_branch .LBB0_3
.LBB0_2:
	s_mov_b64 s[6:7], -1
                                        ; implicit-def: $sgpr96_sgpr97
.LBB0_3:
	s_load_dwordx2 s[8:9], s[4:5], 0x74
	v_cvt_f32_u32_e32 v1, s54
	s_andn2_b64 vcc, exec, s[6:7]
	s_waitcnt lgkmcnt(0)
	v_writelane_b32 v187, s8, 8
	v_writelane_b32 v187, s9, 9
	s_cbranch_vccnz .LBB0_5
; %bb.4:
	v_rcp_iflag_f32_e32 v4, v1
	s_sub_i32 s6, 0, s54
	v_mul_f32_e32 v4, 0x4f7ffffe, v4
	v_cvt_u32_f32_e32 v4, v4
	v_readfirstlane_b32 s7, v4
	s_mul_i32 s6, s6, s7
	s_mul_hi_u32 s6, s7, s6
	s_add_i32 s7, s7, s6
	s_mul_hi_u32 s6, s12, s7
	s_mul_i32 s8, s6, s54
	s_sub_i32 s8, s12, s8
	s_add_i32 s7, s6, 1
	s_sub_i32 s9, s8, s54
	s_cmp_ge_u32 s8, s54
	s_cselect_b32 s6, s7, s6
	s_cselect_b32 s8, s9, s8
	s_add_i32 s7, s6, 1
	s_cmp_ge_u32 s8, s54
	s_cselect_b32 s96, s7, s6
.LBB0_5:
	s_add_i32 s6, s56, 1
	s_mul_i32 s7, s11, s6
	s_mul_hi_u32 s8, s10, s6
	s_add_i32 s9, s8, s7
	s_mov_b32 s8, 0
	s_cmp_lg_u64 s[8:9], 0
	s_mul_i32 s8, s10, s6
	s_cbranch_scc0 .LBB0_238
; %bb.6:
	v_madmk_f32 v2, v3, 0x4f800000, v2
	v_rcp_f32_e32 v2, v2
	s_sub_u32 s10, 0, s54
	s_subb_u32 s11, 0, 0
	v_mul_f32_e32 v2, 0x5f7ffffc, v2
	v_mul_f32_e32 v3, 0x2f800000, v2
	v_trunc_f32_e32 v3, v3
	v_madmk_f32 v2, v3, 0xcf800000, v2
	v_cvt_u32_f32_e32 v3, v3
	v_cvt_u32_f32_e32 v2, v2
	v_readfirstlane_b32 s12, v3
	v_readfirstlane_b32 s13, v2
	s_mul_hi_u32 s15, s10, s13
	s_mul_i32 s16, s10, s12
	s_mul_i32 s14, s11, s13
	s_add_i32 s15, s15, s16
	s_add_i32 s15, s15, s14
	s_mul_i32 s17, s10, s13
	s_mul_hi_u32 s14, s13, s15
	s_mul_i32 s16, s13, s15
	s_mul_hi_u32 s13, s13, s17
	s_add_u32 s13, s13, s16
	s_addc_u32 s14, 0, s14
	s_mul_hi_u32 s18, s12, s17
	s_mul_i32 s17, s12, s17
	s_add_u32 s13, s13, s17
	s_mul_hi_u32 s16, s12, s15
	s_addc_u32 s13, s14, s18
	s_addc_u32 s14, s16, 0
	s_mul_i32 s15, s12, s15
	s_add_u32 s13, s13, s15
	s_addc_u32 s14, 0, s14
	v_add_co_u32_e32 v2, vcc, s13, v2
	s_cmp_lg_u64 vcc, 0
	s_addc_u32 s12, s12, s14
	v_readfirstlane_b32 s14, v2
	s_mul_i32 s13, s10, s12
	s_mul_hi_u32 s15, s10, s14
	s_add_i32 s13, s15, s13
	s_mul_i32 s11, s11, s14
	s_add_i32 s13, s13, s11
	s_mul_i32 s10, s10, s14
	s_mul_hi_u32 s15, s12, s10
	s_mul_i32 s16, s12, s10
	s_mul_i32 s18, s14, s13
	s_mul_hi_u32 s10, s14, s10
	s_mul_hi_u32 s17, s14, s13
	s_add_u32 s10, s10, s18
	s_addc_u32 s14, 0, s17
	s_add_u32 s10, s10, s16
	s_mul_hi_u32 s11, s12, s13
	s_addc_u32 s10, s14, s15
	s_addc_u32 s11, s11, 0
	s_mul_i32 s13, s12, s13
	s_add_u32 s10, s10, s13
	s_addc_u32 s11, 0, s11
	v_add_co_u32_e32 v2, vcc, s10, v2
	s_cmp_lg_u64 vcc, 0
	s_addc_u32 s14, s12, s11
	s_ashr_i32 s10, s9, 31
	s_add_u32 s12, s8, s10
	s_mov_b32 s11, s10
	s_addc_u32 s13, s9, s10
	s_xor_b64 s[12:13], s[12:13], s[10:11]
	v_readfirstlane_b32 s16, v2
	s_mul_i32 s15, s12, s14
	s_mul_hi_u32 s17, s12, s16
	s_mul_hi_u32 s9, s12, s14
	s_add_u32 s15, s17, s15
	s_addc_u32 s9, 0, s9
	s_mul_hi_u32 s18, s13, s16
	s_mul_i32 s16, s13, s16
	s_add_u32 s15, s15, s16
	s_mul_hi_u32 s17, s13, s14
	s_addc_u32 s9, s9, s18
	s_addc_u32 s15, s17, 0
	s_mul_i32 s14, s13, s14
	s_add_u32 s9, s9, s14
	s_addc_u32 s14, 0, s15
	s_add_u32 s15, s9, 1
	s_addc_u32 s16, s14, 0
	s_add_u32 s17, s9, 2
	s_mul_i32 s19, s54, s14
	s_mul_hi_u32 s20, s54, s9
	s_addc_u32 s18, s14, 0
	s_add_i32 s20, s20, s19
	s_mul_i32 s19, s54, s9
	v_mov_b32_e32 v2, s19
	v_sub_co_u32_e32 v2, vcc, s12, v2
	s_cmp_lg_u64 vcc, 0
	s_subb_u32 s12, s13, s20
	v_subrev_co_u32_e32 v3, vcc, s54, v2
	s_cmp_lg_u64 vcc, 0
	s_subb_u32 s13, s12, 0
	v_readfirstlane_b32 s19, v3
	s_cmp_ge_u32 s19, s54
	s_cselect_b32 s19, -1, 0
	s_cmp_eq_u32 s13, 0
	s_cselect_b32 s13, s19, -1
	s_cmp_lg_u32 s13, 0
	s_cselect_b32 s13, s18, s16
	v_readfirstlane_b32 s16, v2
	s_cselect_b32 s15, s17, s15
	s_cmp_ge_u32 s16, s54
	s_cselect_b32 s16, -1, 0
	s_cmp_eq_u32 s12, 0
	s_cselect_b32 s12, s16, -1
	s_cmp_lg_u32 s12, 0
	s_cselect_b32 s13, s13, s14
	s_cselect_b32 s12, s15, s9
	s_xor_b64 s[12:13], s[12:13], s[10:11]
	s_sub_u32 s10, s12, s10
	v_writelane_b32 v187, s10, 10
	v_writelane_b32 v187, s11, 11
	s_load_dwordx2 s[90:91], s[4:5], 0x5c
	s_cbranch_execnz .LBB0_8
.LBB0_7:
	v_rcp_iflag_f32_e32 v1, v1
	s_sub_i32 s6, 0, s54
	v_mul_f32_e32 v1, 0x4f7ffffe, v1
	v_cvt_u32_f32_e32 v1, v1
	v_readfirstlane_b32 s7, v1
	s_mul_i32 s6, s6, s7
	s_mul_hi_u32 s6, s7, s6
	s_add_i32 s7, s7, s6
	s_mul_hi_u32 s6, s8, s7
	s_mul_i32 s9, s6, s54
	s_sub_i32 s8, s8, s9
	s_add_i32 s7, s6, 1
	s_sub_i32 s9, s8, s54
	s_cmp_ge_u32 s8, s54
	s_cselect_b32 s6, s7, s6
	s_cselect_b32 s8, s9, s8
	s_add_i32 s7, s6, 1
	s_cmp_ge_u32 s8, s54
	s_cselect_b32 s6, s7, s6
	v_writelane_b32 v187, s6, 10
	v_writelane_b32 v187, s7, 11
.LBB0_8:
	s_load_dwordx16 s[60:75], s[4:5], 0x0
	s_load_dwordx4 s[20:23], s[4:5], 0x40
	s_load_dword s6, s[4:5], 0x50
	s_ashr_i32 s45, s79, 3
	v_bfe_u32 v68, v0, 10, 10
	s_mov_b32 s87, 0
	v_lshlrev_b32_e32 v70, 3, v68
	s_waitcnt lgkmcnt(0)
	v_writelane_b32 v187, s6, 12
	s_load_dwordx2 s[6:7], s[4:5], 0x8c
	s_load_dwordx4 s[8:11], s[4:5], 0x98
	s_load_dwordx2 s[12:13], s[4:5], 0xa8
	s_load_dwordx2 s[24:25], s[4:5], 0xb8
	s_nop 0
	s_load_dwordx2 s[4:5], s[4:5], 0xc8
	v_lshlrev_b32_e32 v69, 4, v68
	s_waitcnt lgkmcnt(0)
	s_ashr_i32 s78, s6, 2
	s_ashr_i32 s58, s10, 2
	v_writelane_b32 v187, s12, 13
	v_writelane_b32 v187, s13, 14
	;; [unrolled: 1-line block ×4, first 2 shown]
	v_readlane_b32 s12, v187, 1
	s_abs_i32 s97, s12
	v_cvt_f32_u32_e32 v1, s97
	s_mov_b32 s5, s7
	v_writelane_b32 v187, s4, 17
	v_writelane_b32 v187, s5, 18
	v_rcp_iflag_f32_e32 v1, v1
	s_mov_b64 s[4:5], s[8:9]
	s_mov_b32 s7, s11
	v_writelane_b32 v187, s4, 19
	v_mul_f32_e32 v1, 0x4f7ffffe, v1
	v_cvt_u32_f32_e32 v1, v1
	v_writelane_b32 v187, s5, 20
	v_writelane_b32 v187, s6, 21
	;; [unrolled: 1-line block ×3, first 2 shown]
	s_sub_i32 s6, 0, s97
	v_readfirstlane_b32 s7, v1
	s_mul_i32 s6, s6, s7
	s_ashr_i32 s5, s12, 31
	s_mul_hi_u32 s6, s7, s6
	v_writelane_b32 v187, s5, 23
	s_abs_i32 s5, s96
	s_add_i32 s46, s7, s6
	s_mul_hi_u32 s6, s5, s46
	s_mul_i32 s6, s6, s97
	s_sub_i32 s5, s5, s6
	s_ashr_i32 s92, s25, 1
	s_ashr_i32 s4, s96, 31
	s_sub_i32 s6, s5, s97
	s_cmp_ge_u32 s5, s97
	s_cselect_b32 s5, s6, s5
	s_sub_i32 s6, s5, s97
	s_cmp_ge_u32 s5, s97
	s_cselect_b32 s5, s6, s5
	s_xor_b32 s5, s5, s4
	s_sub_i32 s42, s5, s4
	v_readlane_b32 s4, v187, 10
	s_mov_b32 s10, s4
	s_sub_i32 s4, s4, s96
	s_add_i32 s6, s4, s42
	s_min_i32 s33, s12, s6
	s_cmp_gt_i32 s10, s96
	v_readlane_b32 s5, v187, 11
	s_cselect_b64 s[8:9], -1, 0
	s_cmp_le_i32 s10, s96
	v_cvt_f16_f32_e32 v1, s20
	s_cselect_b64 s[4:5], -1, 0
	s_cmp_gt_i32 s12, s6
	s_cselect_b64 s[6:7], -1, 0
	s_or_b64 s[4:5], s[6:7], s[4:5]
	s_and_b64 vcc, exec, s[4:5]
	v_pack_b32_f16 v27, v1, v1
	v_and_b32_e32 v71, 1, v68
	v_mbcnt_lo_u32_b32 v72, -1, 0
	s_cbranch_vccz .LBB0_11
; %bb.9:
	s_andn2_b64 vcc, exec, s[8:9]
	s_cbranch_vccz .LBB0_204
.LBB0_10:
	s_endpgm
.LBB0_11:
	s_cmp_lg_u64 s[66:67], 0
	v_writelane_b32 v187, s54, 24
	s_cselect_b64 s[4:5], -1, 0
	v_writelane_b32 v187, s4, 25
	v_writelane_b32 v187, s5, 26
	s_mul_i32 s4, s76, s77
	s_cmp_eq_u64 s[68:69], 0
	v_writelane_b32 v187, s4, 27
	s_cselect_b64 s[4:5], -1, 0
	v_writelane_b32 v187, s4, 28
	v_writelane_b32 v187, s5, 29
	s_mov_b64 s[6:7], s[22:23]
	s_mov_b32 s5, s21
	v_and_b32_e32 v18, 0x3ff, v0
	v_writelane_b32 v187, s4, 30
	v_lshrrev_b32_e32 v10, 2, v18
	v_writelane_b32 v187, s5, 31
	v_and_b32_e32 v11, 60, v10
	v_writelane_b32 v187, s6, 32
	v_and_b32_e32 v7, 15, v18
	v_and_b32_e32 v12, 8, v70
	v_mul_u32_u24_e32 v13, 0x48, v11
	s_movk_i32 s10, 0x120
	v_writelane_b32 v187, s7, 33
	v_cmp_nle_f32_e64 s[4:5], s21, 0
	v_or_b32_e32 v13, v13, v7
	v_mul_u32_u24_e32 v14, 0x90, v11
	v_or_b32_e32 v10, 3, v10
	v_mul_u32_u24_e32 v15, 0x120, v12
	v_mad_u32_u24 v16, v12, s10, 0
	v_lshlrev_b32_e32 v17, 1, v7
	v_writelane_b32 v187, s4, 34
	s_cmp_lg_u64 s[70:71], 0
	s_movk_i32 s8, 0x90
	v_lshrrev_b32_e32 v3, 3, v18
	v_mul_u32_u24_e32 v10, 0x90, v10
	v_lshlrev_b32_e32 v13, 1, v13
	v_add3_u32 v81, v16, v14, v17
	v_add3_u32 v14, 0, 32, v15
	v_writelane_b32 v187, s5, 35
	s_cselect_b64 s[4:5], -1, 0
	v_and_b32_e32 v8, 30, v3
	v_add_u32_e32 v80, v16, v13
	v_add3_u32 v82, v16, v10, v17
	v_add_u32_e32 v83, v14, v13
	v_mad_u32_u24 v16, v11, s8, v14
	v_add3_u32 v85, v14, v10, v17
	v_add3_u32 v14, 0, 64, v15
	s_add_i32 s11, 0, 0x60
	v_mul_u32_u24_e32 v2, 0x90, v7
	v_lshlrev_b32_e32 v4, 2, v8
	v_add_u32_e32 v86, v14, v13
	v_mad_u32_u24 v15, v11, s8, v14
	v_add3_u32 v88, v14, v10, v17
	v_mov_b32_e32 v14, s11
	v_and_b32_e32 v6, 0x7f0, v70
	v_add3_u32 v73, 0, v2, v4
	v_and_b32_e32 v9, 16, v69
	v_mad_u32_u24 v12, v12, s10, v14
	v_mad_u32_u24 v74, v6, s8, v73
	s_movk_i32 s9, 0x1200
	v_mul_u32_u24_e32 v78, 0x90, v9
	v_add_u32_e32 v79, v9, v11
	v_or_b32_e32 v6, v6, v7
	v_add_u16_e32 v9, v9, v11
	v_mad_u32_u24 v11, v11, s8, v12
	s_lshl_b32 s86, s56, 5
	s_ashr_i32 s93, s92, 31
	s_ashr_i32 s79, s78, 31
	;; [unrolled: 1-line block ×3, first 2 shown]
	v_mad_u32_u24 v6, v6, s8, 0
	v_add3_u32 v84, v16, v17, s9
	v_add3_u32 v87, v15, v17, s9
	;; [unrolled: 1-line block ×3, first 2 shown]
	s_lshl_b64 s[8:9], s[86:87], 3
	v_lshrrev_b32_e32 v1, 5, v18
	v_add3_u32 v91, v12, v10, v17
	s_add_u32 s8, s74, s8
	v_or_b32_e32 v10, v70, v18
	s_addc_u32 s9, s75, s9
	v_lshlrev_b32_e32 v10, 3, v10
	v_or_b32_e32 v7, v69, v7
	v_add_u32_e32 v92, v1, v68
	v_lshl_add_u32 v37, v68, 1, v1
	v_mov_b32_e32 v11, s9
	v_add_co_u32_e32 v24, vcc, s8, v10
	v_mad_u32_u24 v10, v7, 36, v8
	v_lshlrev_b32_e32 v1, 1, v92
	v_and_b32_e32 v7, 15, v92
	s_movk_i32 s8, 0x3e0
	v_add_u32_e32 v93, 4, v92
	v_writelane_b32 v187, s4, 36
	v_addc_co_u32_e32 v25, vcc, 0, v11, vcc
	v_and_or_b32 v1, v1, s8, v7
	v_lshlrev_b32_e32 v8, 1, v93
	v_and_b32_e32 v11, 15, v93
	s_movk_i32 s8, 0x7e0
	v_add_u32_e32 v94, 8, v92
	v_writelane_b32 v187, s5, 37
	v_add_u32_e32 v89, v12, v13
	v_and_or_b32 v11, v8, s8, v11
	v_lshlrev_b32_e32 v8, 1, v94
	v_and_b32_e32 v12, 15, v94
	v_add_u32_e32 v95, 12, v92
	v_writelane_b32 v187, s56, 38
	v_and_or_b32 v12, v8, s8, v12
	v_lshlrev_b32_e32 v8, 1, v95
	v_and_b32_e32 v13, 15, v95
	v_add_u32_e32 v96, 16, v92
	v_and_or_b32 v13, v8, s8, v13
	v_lshlrev_b32_e32 v8, 1, v96
	v_add_u32_e32 v97, 20, v92
	v_readlane_b32 s17, v187, 7
	v_and_or_b32 v14, v8, s8, v7
	v_lshlrev_b32_e32 v7, 1, v97
	v_and_b32_e32 v8, 15, v97
	s_abs_i32 s20, s17
	v_and_or_b32 v15, v7, s8, v8
	v_cvt_f32_u32_e32 v8, s20
	v_add_u32_e32 v98, 24, v92
	v_lshlrev_b32_e32 v7, 1, v98
	v_and_b32_e32 v16, 15, v98
	v_readlane_b32 s19, v187, 6
	v_and_or_b32 v16, v7, s8, v16
	v_rcp_iflag_f32_e32 v7, v8
	s_abs_i32 s21, s19
	v_cvt_f32_u32_e32 v8, s21
	v_add_u32_e32 v99, 28, v92
	v_mul_f32_e32 v7, 0x4f7ffffe, v7
	v_cvt_u32_f32_e32 v7, v7
	v_rcp_iflag_f32_e32 v8, v8
	v_readlane_b32 s18, v187, 3
	s_mov_b32 s10, s24
	v_lshlrev_b32_e32 v17, 1, v99
	v_and_b32_e32 v19, 15, v99
	s_abs_i32 s22, s18
	v_writelane_b32 v187, s10, 39
	v_and_or_b32 v17, v17, s8, v19
	v_readfirstlane_b32 s8, v7
	v_mul_f32_e32 v7, 0x4f7ffffe, v8
	v_cvt_f32_u32_e32 v8, s22
	v_writelane_b32 v187, s11, 40
	s_abs_i32 s10, s24
	v_writelane_b32 v187, s10, 41
	s_lshl_b32 s23, s77, 5
	v_writelane_b32 v187, s23, 42
	s_ashr_i32 s17, s17, 31
	v_cvt_f32_u32_e32 v19, s10
	v_writelane_b32 v187, s17, 43
	s_sub_i32 s17, 0, s20
	v_cvt_u32_f32_e32 v7, v7
	v_rcp_iflag_f32_e32 v8, v8
	s_mul_i32 s17, s17, s8
	s_mul_hi_u32 s17, s8, s17
	v_lshrrev_b16_e32 v9, 1, v9
	v_writelane_b32 v187, s20, 44
	s_add_i32 s8, s8, s17
	v_lshl_add_u32 v100, v9, 2, v6
	v_rcp_iflag_f32_e32 v9, v19
	v_writelane_b32 v187, s8, 45
	s_ashr_i32 s8, s19, 31
	v_readfirstlane_b32 s9, v7
	v_mul_f32_e32 v7, 0x4f7ffffe, v8
	v_writelane_b32 v187, s8, 46
	s_sub_i32 s8, 0, s21
	v_cvt_u32_f32_e32 v7, v7
	s_mul_i32 s8, s8, s9
	s_mul_hi_u32 s8, s9, s8
	v_mul_f32_e32 v8, 0x4f7ffffe, v9
	v_and_b32_e32 v26, 31, v18
	v_writelane_b32 v187, s21, 47
	s_add_i32 s8, s9, s8
	v_cvt_u32_f32_e32 v8, v8
	v_mul_u32_u24_e32 v110, 0x90, v1
	v_mad_u32_u24 v1, v1, 36, v26
	v_writelane_b32 v187, s8, 48
	s_ashr_i32 s8, s18, 31
	v_readfirstlane_b32 s16, v7
	v_lshl_add_u32 v111, v1, 2, 0
	v_mad_u32_u24 v1, v11, 36, v26
	v_writelane_b32 v187, s8, 49
	s_sub_i32 s8, 0, s22
	v_lshl_add_u32 v113, v1, 2, 0
	v_mad_u32_u24 v1, v12, 36, v26
	s_mul_i32 s8, s8, s16
	s_sub_i32 s10, 0, s10
	v_lshl_add_u32 v115, v1, 2, 0
	v_mad_u32_u24 v1, v13, 36, v26
	s_mul_hi_u32 s8, s16, s8
	v_add_u32_e32 v76, v70, v3
	v_add_u32_e32 v101, 32, v79
	v_mul_lo_u32 v7, s10, v8
	v_add_u32_e32 v104, 34, v79
	v_lshl_add_u32 v117, v1, 2, 0
	v_mad_u32_u24 v1, v14, 36, v26
	v_writelane_b32 v187, s22, 50
	s_add_i32 s8, s16, s8
	v_mul_hi_u32 v7, v8, v7
	v_lshl_add_u32 v103, v101, 1, v6
	v_lshl_add_u32 v105, v104, 1, v6
	v_mul_lo_u32 v6, s58, v76
	v_lshl_add_u32 v119, v1, 2, 0
	v_mad_u32_u24 v1, v15, 36, v26
	v_writelane_b32 v187, s8, 51
	v_cmp_eq_u32_e64 s[8:9], 0, v71
	v_lshlrev_b32_e32 v3, 2, v18
	v_add_u32_e32 v102, v8, v7
	v_ashrrev_i32_e32 v7, 31, v6
	v_lshl_add_u32 v121, v1, 2, 0
	v_mad_u32_u24 v1, v16, 36, v26
	v_writelane_b32 v187, s8, 52
	v_mul_u32_u24_e32 v2, 0x90, v68
	v_lshlrev_b32_e32 v20, 1, v18
	v_and_b32_e32 v22, 28, v3
	v_lshl_add_u32 v8, s58, 5, v6
	v_lshl_add_u32 v123, v1, 2, 0
	v_mad_u32_u24 v1, v17, 36, v26
	v_lshlrev_b64 v[28:29], 2, v[6:7]
	v_writelane_b32 v187, s9, 53
	v_cmp_eq_u32_e64 s[8:9], 1, v71
	v_add3_u32 v75, 0, v2, v20
	v_mul_u32_u24_e32 v2, 0x90, v76
	v_lshlrev_b32_e32 v3, 2, v22
	v_ashrrev_i32_e32 v9, 31, v8
	v_lshl_add_u32 v125, v1, 2, 0
	v_mov_b32_e32 v1, s65
	v_add_co_u32_e32 v126, vcc, s64, v28
	v_writelane_b32 v187, s8, 54
	v_add3_u32 v77, 0, v2, v3
	v_mul_lo_u32 v2, s78, v76
	v_addc_co_u32_e32 v127, vcc, v1, v29, vcc
	v_lshlrev_b64 v[30:31], 2, v[8:9]
	v_writelane_b32 v187, s9, 55
	v_cmp_gt_u32_e64 s[8:9], 16, v18
	v_ashrrev_i32_e32 v3, 31, v2
	v_add_co_u32_e32 v128, vcc, s64, v30
	v_writelane_b32 v187, s8, 56
	v_lshl_add_u32 v4, s78, 5, v2
	v_addc_co_u32_e32 v129, vcc, v1, v31, vcc
	v_lshlrev_b64 v[32:33], 2, v[2:3]
	v_writelane_b32 v187, s9, 57
	v_cmp_gt_u32_e64 s[8:9], 32, v18
	v_ashrrev_i32_e32 v5, 31, v4
	v_mov_b32_e32 v1, s63
	v_add_co_u32_e32 v130, vcc, s62, v32
	v_writelane_b32 v187, s8, 58
	v_addc_co_u32_e32 v131, vcc, v1, v33, vcc
	v_lshlrev_b64 v[34:35], 2, v[4:5]
	v_writelane_b32 v187, s9, 59
	s_lshl_b64 s[8:9], s[92:93], 1
	v_add_u32_e32 v19, v69, v18
	v_add_co_u32_e32 v132, vcc, s62, v34
	v_writelane_b32 v187, s8, 60
	s_mov_b64 s[88:89], src_private_base
	v_mul_u32_u24_e32 v106, 0x90, v19
	v_add_u32_e32 v19, v69, v26
	v_lshl_add_u32 v108, v10, 2, 0
	v_mad_u32_u24 v10, v37, 36, v26
	v_addc_co_u32_e32 v133, vcc, v1, v35, vcc
	v_and_b32_e32 v1, 7, v18
	v_writelane_b32 v187, s9, 61
	v_cmp_lt_u32_e64 s[4:5], 63, v18
	s_mov_b32 s88, 0
	v_cmp_gt_u32_e64 s[6:7], 64, v76
	v_cmp_gt_u32_e64 s[54:55], 32, v76
	;; [unrolled: 1-line block ×5, first 2 shown]
	v_mul_u32_u24_e32 v107, 0x90, v19
	v_lshl_add_u32 v109, v10, 2, 0
	v_mul_u32_u24_e32 v112, 0x90, v11
	v_mul_u32_u24_e32 v114, 0x90, v12
	;; [unrolled: 1-line block ×7, first 2 shown]
	s_mov_b32 s77, 0x42b17218
	s_mov_b32 s82, 0x3fb8aa3b
	;; [unrolled: 1-line block ×5, first 2 shown]
	v_mov_b32_e32 v134, 0
	v_add_u32_e32 v135, 4, v68
	v_add_u32_e32 v136, 0x240, v75
	;; [unrolled: 1-line block ×23, first 2 shown]
	v_or_b32_e32 v158, 1, v79
	v_or_b32_e32 v159, 2, v79
	;; [unrolled: 1-line block ×3, first 2 shown]
	v_add_u32_e32 v161, 33, v79
	v_add_u32_e32 v162, 35, v79
	;; [unrolled: 1-line block ×5, first 2 shown]
	v_lshlrev_b32_e32 v36, 4, v1
	v_mov_b32_e32 v166, 0x3ecccdef
	v_mov_b32_e32 v167, 0x37000000
	;; [unrolled: 1-line block ×4, first 2 shown]
	v_mbcnt_hi_u32_b32 v170, -1, v72
	s_movk_i32 s27, 0x80
	v_cmp_gt_u32_e64 s[16:17], 61, v79
	v_cmp_gt_u32_e64 s[18:19], 32, v79
	v_cmp_gt_u32_e64 s[20:21], 31, v79
	v_cmp_gt_u32_e64 s[22:23], 30, v79
	v_cmp_gt_u32_e64 s[24:25], 29, v79
	s_lshl_b64 s[94:95], s[58:59], 8
	s_lshl_b64 s[34:35], s[78:79], 8
	v_writelane_b32 v187, s45, 62
	v_writelane_b32 v187, s46, 63
	s_branch .LBB0_14
.LBB0_12:                               ;   in Loop: Header=BB0_14 Depth=1
	s_or_b64 exec, exec, s[8:9]
	s_barrier
.LBB0_13:                               ;   in Loop: Header=BB0_14 Depth=1
	v_readlane_b32 s30, v187, 1
	s_add_i32 s8, s96, s30
	s_abs_i32 s28, s8
	v_readlane_b32 s46, v187, 63
	s_mul_hi_u32 s29, s28, s46
	s_mul_i32 s29, s29, s97
	s_sub_i32 s28, s28, s29
	s_ashr_i32 s9, s8, 31
	s_sub_i32 s29, s28, s97
	s_cmp_ge_u32 s28, s97
	s_cselect_b32 s28, s29, s28
	s_sub_i32 s29, s28, s97
	s_cmp_ge_u32 s28, s97
	s_cselect_b32 s28, s29, s28
	s_xor_b32 s28, s28, s9
	s_sub_i32 s9, s9, s28
	s_add_i32 s96, s8, s9
	v_readlane_b32 s8, v187, 10
	s_sub_i32 s28, s8, s96
	s_min_i32 s33, s30, s28
	v_readlane_b32 s9, v187, 11
	s_cmp_gt_i32 s8, s96
	s_cselect_b64 s[8:9], -1, 0
	s_cmp_le_i32 s30, s28
	s_cselect_b64 s[28:29], -1, 0
	s_and_b64 s[28:29], s[28:29], s[8:9]
	s_mov_b32 s42, 0
	s_and_b64 vcc, exec, s[28:29]
	s_cbranch_vccz .LBB0_203
.LBB0_14:                               ; =>This Loop Header: Depth=1
                                        ;     Child Loop BB0_138 Depth 2
                                        ;     Child Loop BB0_40 Depth 2
	s_ashr_i32 s8, s96, 31
	v_readlane_b32 s9, v187, 43
	s_xor_b32 s8, s8, s9
	s_abs_i32 s9, s96
	v_readlane_b32 s28, v187, 45
	s_mul_hi_u32 s28, s9, s28
	v_readlane_b32 s31, v187, 44
	s_mul_i32 s29, s28, s31
	s_sub_i32 s9, s9, s29
	s_add_i32 s29, s28, 1
	s_sub_i32 s30, s9, s31
	s_cmp_ge_u32 s9, s31
	s_cselect_b32 s28, s29, s28
	s_cselect_b32 s9, s30, s9
	s_add_i32 s29, s28, 1
	s_cmp_ge_u32 s9, s31
	s_cselect_b32 s9, s29, s28
	s_xor_b32 s9, s9, s8
	s_sub_i32 s28, s9, s8
	v_readlane_b32 s8, v187, 25
	v_readlane_b32 s9, v187, 26
	s_andn2_b64 vcc, exec, s[8:9]
	s_ashr_i32 s43, s28, 31
	s_cbranch_vccnz .LBB0_16
; %bb.15:                               ;   in Loop: Header=BB0_14 Depth=1
	s_abs_i32 s8, s28
	v_mul_hi_u32 v1, s8, v102
	v_readlane_b32 s9, v187, 41
	v_mul_lo_u32 v1, v1, s9
	v_sub_u32_e32 v1, s8, v1
	v_subrev_u32_e32 v2, s9, v1
	v_cmp_le_u32_e32 vcc, s9, v1
	v_cndmask_b32_e32 v1, v1, v2, vcc
	v_subrev_u32_e32 v2, s9, v1
	v_cmp_le_u32_e32 vcc, s9, v1
	v_cndmask_b32_e32 v1, v1, v2, vcc
	v_xor_b32_e32 v1, s43, v1
	v_readlane_b32 s8, v187, 15
	v_subrev_u32_e32 v1, s43, v1
	v_readlane_b32 s9, v187, 16
	v_ashrrev_i32_e32 v2, 31, v1
	v_mul_lo_u32 v3, v1, s9
	v_mul_hi_u32 v4, v1, s8
	v_add_u32_e32 v3, v4, v3
	v_mul_lo_u32 v2, v2, s8
	v_mul_lo_u32 v1, v1, s8
	v_add_u32_e32 v2, v3, v2
	v_mov_b32_e32 v3, s67
	v_add_co_u32_e32 v40, vcc, s66, v1
	v_addc_co_u32_e32 v41, vcc, v3, v2, vcc
	s_branch .LBB0_17
.LBB0_16:                               ;   in Loop: Header=BB0_14 Depth=1
	v_pk_mov_b32 v[40:41], 0, 0
.LBB0_17:                               ;   in Loop: Header=BB0_14 Depth=1
	v_readlane_b32 s8, v187, 7
	s_mul_i32 s8, s28, s8
	s_sub_i32 s8, s96, s8
	s_ashr_i32 s9, s8, 31
	v_readlane_b32 s29, v187, 46
	s_xor_b32 s9, s9, s29
	s_abs_i32 s29, s8
	v_readlane_b32 s30, v187, 48
	s_mul_hi_u32 s30, s29, s30
	v_readlane_b32 s37, v187, 47
	s_mul_i32 s31, s30, s37
	s_sub_i32 s29, s29, s31
	s_add_i32 s31, s30, 1
	s_sub_i32 s36, s29, s37
	s_cmp_ge_u32 s29, s37
	s_cselect_b32 s30, s31, s30
	s_cselect_b32 s29, s36, s29
	s_add_i32 s31, s30, 1
	s_cmp_ge_u32 s29, s37
	s_cselect_b32 s29, s31, s30
	s_xor_b32 s29, s29, s9
	s_sub_i32 s44, s29, s9
	v_readlane_b32 s9, v187, 6
	s_mul_i32 s9, s44, s9
	s_sub_i32 s8, s8, s9
	s_ashr_i32 s9, s8, 31
	v_readlane_b32 s29, v187, 49
	s_xor_b32 s9, s9, s29
	s_abs_i32 s29, s8
	v_readlane_b32 s30, v187, 51
	s_mul_hi_u32 s30, s29, s30
	v_readlane_b32 s37, v187, 50
	s_mul_i32 s31, s30, s37
	s_sub_i32 s29, s29, s31
	s_add_i32 s31, s30, 1
	s_sub_i32 s36, s29, s37
	s_cmp_ge_u32 s29, s37
	s_cselect_b32 s30, s31, s30
	s_cselect_b32 s29, s36, s29
	s_add_i32 s31, s30, 1
	s_cmp_ge_u32 s29, s37
	s_cselect_b32 s29, s31, s30
	s_xor_b32 s29, s29, s9
	s_sub_i32 s9, s29, s9
	v_readlane_b32 s29, v187, 2
	v_readlane_b32 s36, v187, 34
	s_mul_i32 s29, s44, s29
	v_readlane_b32 s37, v187, 35
	s_add_i32 s30, s29, s9
	s_andn2_b64 vcc, exec, s[36:37]
	v_mov_b32_e32 v38, 1.0
	s_cbranch_vccnz .LBB0_19
; %bb.18:                               ;   in Loop: Header=BB0_14 Depth=1
	v_readlane_b32 s36, v187, 12
	s_sub_i32 s31, s30, s36
	s_lshl_b32 s31, s31, 1
	s_add_i32 s29, s30, 1
	s_or_b32 s31, s31, 1
	s_cmp_lt_u32 s30, s36
	v_readlane_b32 s36, v187, 30
	v_readlane_b32 s37, v187, 31
	s_cselect_b64 vcc, -1, 0
	v_readlane_b32 s38, v187, 32
	v_readlane_b32 s39, v187, 33
	s_and_b64 s[36:37], vcc, exec
	v_mov_b32_e32 v1, s39
	v_mov_b32_e32 v2, s38
	s_cselect_b32 s29, s29, s31
	v_cndmask_b32_e32 v19, v1, v2, vcc
	v_cvt_f32_i32_e32 v1, s29
	v_cmp_neq_f32_e32 vcc, 1.0, v19
	s_mov_b32 s29, 0x3f2aaaab
	s_mov_b32 s31, 0x7f800000
	v_cndmask_b32_e32 v21, 1.0, v1, vcc
	v_cmp_eq_f32_e32 vcc, 0, v21
	v_cndmask_b32_e64 v23, |v19|, 1.0, vcc
	v_frexp_mant_f32_e32 v1, v23
	v_cmp_gt_f32_e64 s[36:37], s29, v1
	v_cndmask_b32_e64 v2, 1.0, 2.0, s[36:37]
	v_mul_f32_e32 v1, v1, v2
	v_add_f32_e32 v2, 1.0, v1
	v_rcp_f32_e32 v10, v2
	v_add_f32_e32 v3, -1.0, v2
	v_sub_f32_e32 v5, v1, v3
	v_add_f32_e32 v3, -1.0, v1
	v_mul_f32_e32 v1, v3, v10
	v_mul_f32_e32 v4, v2, v1
	v_fma_f32 v6, v1, v2, -v4
	v_fmac_f32_e32 v6, v1, v5
	v_add_f32_e32 v2, v4, v6
	v_sub_f32_e32 v5, v3, v2
	v_pk_add_f32 v[8:9], v[2:3], v[4:5] neg_lo:[0,1] neg_hi:[0,1]
	v_mov_b32_e32 v7, v2
	v_pk_add_f32 v[2:3], v[8:9], v[6:7] neg_lo:[0,1] neg_hi:[0,1]
	v_add_f32_e32 v2, v2, v3
	v_add_f32_e32 v2, v5, v2
	v_mul_f32_e32 v3, v10, v2
	v_add_f32_e32 v2, v1, v3
	v_sub_f32_e32 v1, v2, v1
	v_sub_f32_e32 v1, v3, v1
	v_mul_f32_e32 v3, v2, v2
	v_fma_f32 v5, v2, v2, -v3
	v_add_f32_e32 v4, v1, v1
	v_fmac_f32_e32 v5, v2, v4
	v_add_f32_e32 v4, v3, v5
	v_mov_b32_e32 v6, 0x3e91f4c4
	v_fmac_f32_e32 v6, 0x3e76c4e1, v4
	v_fma_f32 v6, v4, v6, v166
	v_sub_f32_e32 v3, v4, v3
	v_sub_f32_e32 v12, v5, v3
	v_mul_f32_e32 v3, v4, v6
	v_fma_f32 v5, v4, v6, -v3
	v_fmac_f32_e32 v5, v12, v6
	v_add_f32_e32 v6, v3, v5
	v_add_f32_e32 v7, 0x3f2aaaaa, v6
	v_sub_f32_e32 v3, v6, v3
	v_sub_f32_e32 v3, v5, v3
	v_add_f32_e32 v5, 0xbf2aaaaa, v7
	v_add_f32_e32 v3, 0x31739010, v3
	v_sub_f32_e32 v5, v6, v5
	v_pk_mul_f32 v[8:9], v[2:3], v[4:5]
	v_fma_f32 v6, v4, v2, -v8
	v_pk_add_f32 v[10:11], v[2:3], v[4:5]
	v_fmac_f32_e32 v6, v4, v1
	v_mov_b32_e32 v9, v11
	v_fmac_f32_e32 v6, v12, v2
	v_pk_add_f32 v[4:5], v[8:9], v[6:7]
	v_sub_f32_e32 v3, v4, v8
	v_sub_f32_e32 v3, v6, v3
	;; [unrolled: 1-line block ×3, first 2 shown]
	v_add_f32_e32 v10, v11, v6
	v_mov_b32_e32 v6, v5
	v_pk_mul_f32 v[6:7], v[4:5], v[6:7]
	v_cvt_f64_f32_e32 v[8:9], v23
	v_frexp_exp_i32_f64_e32 v7, v[8:9]
	v_subbrev_co_u32_e64 v7, s[36:37], 0, v7, s[36:37]
	v_cvt_f32_i32_e32 v7, v7
	v_fma_f32 v8, v4, v5, -v6
	v_fmac_f32_e32 v8, v4, v10
	s_mov_b32 s29, 0x3f317218
	v_mul_f32_e32 v4, 0x3f317218, v7
	v_fmac_f32_e32 v8, v3, v5
	v_fma_f32 v10, v7, s29, -v4
	v_fmac_f32_e32 v10, 0xb102e308, v7
	v_ldexp_f32 v11, v2, 1
	v_add_f32_e32 v5, v6, v8
	v_pk_add_f32 v[2:3], v[4:5], v[10:11]
	v_mov_b32_e32 v12, v5
	v_mov_b32_e32 v13, v3
	;; [unrolled: 1-line block ×3, first 2 shown]
	v_pk_add_f32 v[6:7], v[12:13], v[6:7] neg_lo:[0,1] neg_hi:[0,1]
	v_mov_b32_e32 v9, v5
	v_ldexp_f32 v1, v1, 1
	v_pk_add_f32 v[6:7], v[8:9], v[6:7] neg_lo:[0,1] neg_hi:[0,1]
	v_add_f32_e32 v1, v1, v6
	v_add_f32_e32 v5, v1, v7
	v_pk_add_f32 v[6:7], v[2:3], v[4:5] neg_lo:[0,1] neg_hi:[0,1]
	v_pk_add_f32 v[8:9], v[2:3], v[4:5]
	v_mov_b32_e32 v12, v6
	v_mov_b32_e32 v13, v9
	;; [unrolled: 1-line block ×3, first 2 shown]
	v_pk_add_f32 v[12:13], v[10:11], v[12:13]
	v_mov_b32_e32 v4, v13
	v_pk_add_f32 v[14:15], v[4:5], v[2:3] neg_lo:[0,1] neg_hi:[0,1]
	v_mov_b32_e32 v1, v14
	v_mov_b32_e32 v12, v9
	;; [unrolled: 1-line block ×4, first 2 shown]
	v_pk_add_f32 v[6:7], v[10:11], v[6:7] neg_lo:[0,1] neg_hi:[0,1]
	v_pk_add_f32 v[16:17], v[8:9], v[0:1] neg_lo:[0,1] neg_hi:[0,1]
	;; [unrolled: 1-line block ×3, first 2 shown]
	v_mov_b32_e32 v10, v5
	v_pk_add_f32 v[2:3], v[10:11], v[2:3] neg_lo:[0,1] neg_hi:[0,1]
	v_mov_b32_e32 v16, v6
	v_pk_add_f32 v[8:9], v[16:17], v[2:3]
	v_mov_b32_e32 v10, v9
	v_pk_add_f32 v[10:11], v[8:9], v[10:11]
	v_pk_add_f32 v[4:5], v[4:5], v[10:11]
	v_mov_b32_e32 v7, v13
	v_mov_b32_e32 v9, v4
	v_pk_add_f32 v[12:13], v[8:9], v[6:7] neg_lo:[0,1] neg_hi:[0,1]
	v_mov_b32_e32 v3, v10
	v_sub_f32_e32 v1, v8, v12
	v_pk_add_f32 v[2:3], v[2:3], v[12:13] neg_lo:[0,1] neg_hi:[0,1]
	v_sub_f32_e32 v1, v6, v1
	v_add_f32_e32 v1, v2, v1
	v_add_f32_e32 v1, v1, v3
	;; [unrolled: 1-line block ×3, first 2 shown]
	v_sub_f32_e32 v3, v2, v4
	v_sub_f32_e32 v1, v1, v3
	v_mul_f32_e32 v3, v21, v2
	v_fma_f32 v2, v21, v2, -v3
	v_fmac_f32_e32 v2, v21, v1
	s_movk_i32 s29, 0x204
	v_add_f32_e32 v1, v3, v2
	v_cmp_class_f32_e64 s[36:37], v3, s29
	v_sub_f32_e32 v4, v1, v3
	v_cndmask_b32_e64 v1, v1, v3, s[36:37]
	v_cmp_eq_f32_e64 s[36:37], s77, v1
	v_cndmask_b32_e64 v3, 0, v167, s[36:37]
	v_sub_f32_e32 v2, v2, v4
	v_sub_f32_e32 v4, v1, v3
	v_mul_f32_e32 v5, 0x3fb8aa3b, v4
	v_fma_f32 v6, v4, s82, -v5
	v_rndne_f32_e32 v7, v5
	v_fmac_f32_e32 v6, 0x32a5705f, v4
	v_sub_f32_e32 v5, v5, v7
	v_add_f32_e32 v5, v5, v6
	v_exp_f32_e32 v5, v5
	v_cvt_i32_f32_e32 v6, v7
	v_cmp_neq_f32_e64 s[36:37], |v1|, s31
	v_cndmask_b32_e64 v1, 0, v2, s[36:37]
	v_cmp_ngt_f32_e64 s[36:37], s84, v4
	v_ldexp_f32 v2, v5, v6
	v_cndmask_b32_e64 v2, 0, v2, s[36:37]
	v_cmp_nlt_f32_e64 s[36:37], s77, v4
	v_add_f32_e32 v1, v3, v1
	v_cndmask_b32_e64 v2, v168, v2, s[36:37]
	v_fma_f32 v1, v2, v1, v2
	v_cmp_class_f32_e64 s[36:37], v2, s29
	v_trunc_f32_e32 v3, v21
	v_cndmask_b32_e64 v1, v1, v2, s[36:37]
	v_cndmask_b32_e64 v2, v19, 1.0, vcc
	v_cmp_eq_f32_e32 vcc, v3, v21
	v_mul_f32_e32 v3, 0.5, v21
	v_trunc_f32_e32 v4, v3
	v_cmp_neq_f32_e64 s[36:37], v4, v3
	s_and_b64 s[36:37], vcc, s[36:37]
	v_cndmask_b32_e64 v3, 1.0, v2, s[36:37]
	s_brev_b32 s29, -2
	v_bfi_b32 v1, s29, v1, v3
	v_cmp_eq_f32_e64 s[38:39], 0, v2
	v_cmp_gt_f32_e64 s[40:41], 0, v21
	v_cndmask_b32_e32 v3, v169, v1, vcc
	v_cmp_gt_f32_e32 vcc, 0, v2
	s_xor_b64 s[40:41], s[40:41], s[38:39]
	v_cndmask_b32_e32 v1, v1, v3, vcc
	v_cmp_eq_f32_e32 vcc, s31, v23
	v_cndmask_b32_e64 v3, v168, 0, s[40:41]
	v_cndmask_b32_e64 v4, 0, v2, s[36:37]
	v_bfi_b32 v3, s29, v3, v4
	s_or_b64 vcc, vcc, s[38:39]
	v_cndmask_b32_e32 v1, v1, v3, vcc
	v_cmp_o_f32_e32 vcc, v2, v2
	v_cndmask_b32_e32 v38, v169, v1, vcc
.LBB0_19:                               ;   in Loop: Header=BB0_14 Depth=1
	v_readlane_b32 s29, v187, 3
	s_mul_i32 s9, s9, s29
	s_sub_i32 s8, s8, s9
	s_ashr_i32 s9, s8, 31
	v_readlane_b32 s29, v187, 23
	s_abs_i32 s8, s8
	s_xor_b32 s9, s9, s29
	s_mul_hi_u32 s29, s8, s46
	s_mul_i32 s31, s29, s97
	s_sub_i32 s8, s8, s31
	s_add_i32 s31, s29, 1
	s_sub_i32 s36, s8, s97
	s_cmp_ge_u32 s8, s97
	s_cselect_b32 s29, s31, s29
	s_cselect_b32 s8, s36, s8
	s_add_i32 s31, s29, 1
	s_cmp_ge_u32 s8, s97
	s_cselect_b32 s8, s31, s29
	v_readlane_b32 s36, v187, 36
	s_xor_b32 s8, s8, s9
	v_readlane_b32 s37, v187, 37
	s_andn2_b64 vcc, exec, s[36:37]
	s_sub_i32 s29, s8, s9
	s_cbranch_vccnz .LBB0_21
; %bb.20:                               ;   in Loop: Header=BB0_14 Depth=1
	v_readlane_b32 s8, v187, 0
	s_mul_i32 s8, s28, s8
	s_add_i32 s8, s29, s8
	s_ashr_i32 s9, s8, 31
	s_lshl_b64 s[8:9], s[8:9], 2
	s_add_u32 s8, s70, s8
	s_addc_u32 s9, s71, s9
	global_load_dword v1, v134, s[8:9]
	s_waitcnt vmcnt(0)
	v_readfirstlane_b32 s8, v1
	s_ashr_i32 s9, s8, 31
	s_lshr_b32 s9, s9, 26
	s_add_i32 s8, s8, s9
	s_ashr_i32 s8, s8, 6
	s_min_i32 s33, s33, s8
.LBB0_21:                               ;   in Loop: Header=BB0_14 Depth=1
	v_readlane_b32 s8, v187, 27
	s_mul_i32 s8, s8, s28
	s_add_i32 s8, s30, s8
	s_lshl_b32 s86, s8, 5
	s_lshl_b64 s[8:9], s[86:87], 3
	s_add_u32 s8, s72, s8
                                        ; implicit-def: $vgpr186 : SGPR spill to VGPR lane
	v_readlane_b32 s36, v187, 13
	v_writelane_b32 v186, s8, 0
	s_addc_u32 s8, s73, s9
	v_readlane_b32 s37, v187, 14
	v_writelane_b32 v186, s8, 1
	s_mul_i32 s8, s28, s37
	s_mul_hi_u32 s9, s28, s36
	s_add_i32 s8, s9, s8
	s_mul_i32 s9, s43, s36
	s_add_i32 s9, s8, s9
	s_mul_i32 s8, s28, s36
	v_readlane_b32 s36, v187, 19
	v_readlane_b32 s39, v187, 22
	v_writelane_b32 v186, s8, 2
	s_add_u32 s8, s64, s8
	v_readlane_b32 s37, v187, 20
	s_mul_i32 s31, s44, s39
	v_writelane_b32 v186, s9, 3
	s_addc_u32 s9, s65, s9
	s_mov_b64 s[48:49], s[36:37]
	s_ashr_i32 s36, s31, 31
	s_add_u32 s93, s8, s31
	v_writelane_b32 v186, s31, 4
	s_addc_u32 s80, s9, s36
	s_ashr_i32 s31, s30, 31
	s_lshl_b64 s[8:9], s[30:31], 2
	s_add_u32 s31, s68, s8
	v_readlane_b32 s38, v187, 21
	v_writelane_b32 v186, s36, 5
	s_addc_u32 s36, s69, s9
	v_readlane_b32 s8, v187, 28
	v_readlane_b32 s9, v187, 29
	;; [unrolled: 1-line block ×3, first 2 shown]
	s_and_b64 s[8:9], s[8:9], exec
	v_readlane_b32 s39, v187, 9
	s_cselect_b32 s8, 0, s31
	s_mul_i32 s31, s28, s39
	s_cselect_b32 s9, 0, s36
	s_ashr_i32 s36, s31, 31
	s_add_u32 s31, s60, s31
	s_mul_i32 s30, s30, s38
	s_addc_u32 s36, s61, s36
	s_ashr_i32 s37, s30, 31
	s_add_u32 s86, s31, s30
	s_mul_i32 s30, s28, s49
	s_mul_hi_u32 s31, s28, s48
	s_addc_u32 s98, s36, s37
	s_add_i32 s30, s31, s30
	s_mul_i32 s43, s43, s48
	v_readlane_b32 s36, v187, 17
	s_add_i32 s31, s30, s43
	s_mul_i32 s28, s28, s48
	v_readlane_b32 s37, v187, 18
	v_writelane_b32 v186, s28, 6
	s_add_u32 s30, s62, s28
	s_mul_i32 s36, s44, s37
	v_writelane_b32 v186, s31, 7
	s_addc_u32 s31, s63, s31
	s_ashr_i32 s28, s36, 31
	s_add_u32 s81, s30, s36
	s_addc_u32 s83, s31, s28
	s_cmp_lg_u32 s42, 0
	v_writelane_b32 v186, s36, 8
	s_cbranch_scc0 .LBB0_50
; %bb.22:                               ;   in Loop: Header=BB0_14 Depth=1
	s_lshl_b32 s99, s29, 5
	v_add_u32_e32 v1, s99, v37
	v_cmp_le_i32_e32 vcc, s76, v1
	s_and_saveexec_b64 s[30:31], vcc
	s_xor_b64 s[30:31], exec, s[30:31]
	s_cbranch_execz .LBB0_24
; %bb.23:                               ;   in Loop: Header=BB0_14 Depth=1
	ds_write_b32 v109, v134
                                        ; implicit-def: $vgpr1
.LBB0_24:                               ;   in Loop: Header=BB0_14 Depth=1
	s_andn2_saveexec_b64 s[30:31], s[30:31]
	s_cbranch_execz .LBB0_26
; %bb.25:                               ;   in Loop: Header=BB0_14 Depth=1
	v_mad_u64_u32 v[2:3], s[36:37], v1, s45, v[26:27]
	v_ashrrev_i32_e32 v3, 31, v2
	v_lshlrev_b64 v[2:3], 3, v[2:3]
	v_mov_b32_e32 v1, s98
	v_add_co_u32_e32 v2, vcc, s86, v2
	v_addc_co_u32_e32 v3, vcc, v1, v3, vcc
	global_load_dwordx2 v[2:3], v[2:3], off
	s_waitcnt vmcnt(0)
	v_cvt_f16_f32_e32 v1, v2
	v_cvt_f16_f32_e32 v2, v3
	v_pack_b32_f16 v1, v1, v2
	v_pk_mul_f16 v1, v27, v1
	ds_write_b32 v109, v1
.LBB0_26:                               ;   in Loop: Header=BB0_14 Depth=1
	s_or_b64 exec, exec, s[30:31]
	v_add_u32_e32 v1, s99, v163
	v_cmp_le_i32_e32 vcc, s76, v1
	s_and_saveexec_b64 s[30:31], vcc
	s_xor_b64 s[30:31], exec, s[30:31]
	s_cbranch_execz .LBB0_28
; %bb.27:                               ;   in Loop: Header=BB0_14 Depth=1
	ds_write_b32 v109, v134 offset:1152
                                        ; implicit-def: $vgpr1
.LBB0_28:                               ;   in Loop: Header=BB0_14 Depth=1
	s_andn2_saveexec_b64 s[30:31], s[30:31]
	s_cbranch_execz .LBB0_30
; %bb.29:                               ;   in Loop: Header=BB0_14 Depth=1
	v_mad_u64_u32 v[2:3], s[36:37], v1, s45, v[26:27]
	v_ashrrev_i32_e32 v3, 31, v2
	v_lshlrev_b64 v[2:3], 3, v[2:3]
	v_mov_b32_e32 v1, s98
	v_add_co_u32_e32 v2, vcc, s86, v2
	v_addc_co_u32_e32 v3, vcc, v1, v3, vcc
	global_load_dwordx2 v[2:3], v[2:3], off
	s_waitcnt vmcnt(0)
	v_cvt_f16_f32_e32 v1, v2
	v_cvt_f16_f32_e32 v2, v3
	v_pack_b32_f16 v1, v1, v2
	v_pk_mul_f16 v1, v27, v1
	ds_write_b32 v109, v1 offset:1152
.LBB0_30:                               ;   in Loop: Header=BB0_14 Depth=1
	s_or_b64 exec, exec, s[30:31]
	v_add_u32_e32 v1, s99, v164
	v_cmp_le_i32_e32 vcc, s76, v1
	s_and_saveexec_b64 s[30:31], vcc
	s_xor_b64 s[30:31], exec, s[30:31]
	s_cbranch_execz .LBB0_32
; %bb.31:                               ;   in Loop: Header=BB0_14 Depth=1
	ds_write_b32 v109, v134 offset:2304
                                        ; implicit-def: $vgpr1
.LBB0_32:                               ;   in Loop: Header=BB0_14 Depth=1
	s_andn2_saveexec_b64 s[30:31], s[30:31]
	s_cbranch_execz .LBB0_34
; %bb.33:                               ;   in Loop: Header=BB0_14 Depth=1
	v_mad_u64_u32 v[2:3], s[36:37], v1, s45, v[26:27]
	v_ashrrev_i32_e32 v3, 31, v2
	v_lshlrev_b64 v[2:3], 3, v[2:3]
	v_mov_b32_e32 v1, s98
	v_add_co_u32_e32 v2, vcc, s86, v2
	v_addc_co_u32_e32 v3, vcc, v1, v3, vcc
	global_load_dwordx2 v[2:3], v[2:3], off
	s_waitcnt vmcnt(0)
	v_cvt_f16_f32_e32 v1, v2
	v_cvt_f16_f32_e32 v2, v3
	v_pack_b32_f16 v1, v1, v2
	v_pk_mul_f16 v1, v27, v1
	ds_write_b32 v109, v1 offset:2304
.LBB0_34:                               ;   in Loop: Header=BB0_14 Depth=1
	;; [unrolled: 27-line block ×3, first 2 shown]
	s_or_b64 exec, exec, s[30:31]
	s_waitcnt lgkmcnt(0)
	s_barrier
	ds_read2_b64 v[6:9], v74 offset1:4
	ds_read2_b64 v[2:5], v74 offset0:8 offset1:12
	s_add_i32 s43, s33, -1
	s_cmp_le_i32 s43, s42
	v_mov_b32_e32 v67, 0
	s_waitcnt lgkmcnt(0)
	s_barrier
	s_cbranch_scc1 .LBB0_51
; %bb.39:                               ;   in Loop: Header=BB0_14 Depth=1
	v_lshlrev_b32_e32 v1, 1, v18
	v_add_co_u32_e32 v19, vcc, v40, v1
	v_add_u32_e32 v1, s99, v68
	v_mul_hi_u32 v10, s90, v1
	v_add_u32_e32 v10, v1, v10
	v_lshrrev_b32_e32 v10, s91, v10
	v_mul_lo_u32 v10, v10, s76
	v_sub_u32_e32 v1, v1, v10
	v_mad_i64_i32 v[10:11], s[30:31], v1, s92, 0
	v_add_u32_e32 v1, s99, v135
	v_mul_hi_u32 v12, s90, v1
	v_add_u32_e32 v12, v1, v12
	v_lshrrev_b32_e32 v12, s91, v12
	v_mul_lo_u32 v12, v12, s76
	v_sub_u32_e32 v1, v1, v12
	v_mad_i64_i32 v[12:13], s[30:31], v1, s92, 0
	;; [unrolled: 7-line block ×8, first 2 shown]
	v_and_b32_e32 v1, 64, v170
	v_addc_co_u32_e32 v21, vcc, 0, v41, vcc
	v_add_u32_e32 v1, 64, v1
	v_xor_b32_e32 v23, 32, v170
	v_cmp_lt_i32_e32 vcc, v23, v1
	v_xor_b32_e32 v39, 16, v170
	v_cndmask_b32_e32 v23, v170, v23, vcc
	v_cmp_lt_i32_e32 vcc, v39, v1
	v_cndmask_b32_e32 v1, v170, v39, vcc
	v_cmp_ne_u64_e64 s[36:37], 0, v[40:41]
	v_mov_b32_e32 v61, 0
	v_lshlrev_b32_e32 v23, 2, v23
	v_lshlrev_b32_e32 v60, 2, v1
	v_mov_b32_e32 v42, v38
	v_mov_b32_e32 v43, v38
	s_lshl_b32 s40, s42, 6
	v_mov_b32_e32 v172, 0
	v_mov_b32_e32 v174, 0xfeffffff
	v_lshlrev_b64 v[44:45], 1, v[10:11]
	v_lshlrev_b64 v[46:47], 1, v[12:13]
	;; [unrolled: 1-line block ×8, first 2 shown]
	v_mov_b32_e32 v62, 0
	v_mov_b32_e32 v64, 0
	v_mov_b32_e32 v63, 0
	v_mov_b32_e32 v66, 0
	v_mov_b32_e32 v65, 0
	v_mov_b32_e32 v171, 0
	v_mov_b32_e32 v67, 0
.LBB0_40:                               ;   Parent Loop BB0_14 Depth=1
                                        ; =>  This Inner Loop Header: Depth=2
	v_cndmask_b32_e64 v1, 0, 1, s[36:37]
	v_cmp_ne_u32_e64 s[38:39], 1, v1
	s_andn2_b64 vcc, exec, s[36:37]
	s_ashr_i32 s41, s40, 31
	s_cbranch_vccnz .LBB0_46
; %bb.41:                               ;   in Loop: Header=BB0_40 Depth=2
                                        ; implicit-def: $sgpr44
	s_and_saveexec_b64 s[30:31], s[4:5]
	s_xor_b64 s[30:31], exec, s[30:31]
	s_cbranch_execz .LBB0_43
; %bb.42:                               ;   in Loop: Header=BB0_40 Depth=2
	ds_write_b16 v75, v134 offset:9216
	ds_write_b16 v136, v134 offset:9216
	;; [unrolled: 1-line block ×4, first 2 shown]
	s_mov_b32 s44, 0
.LBB0_43:                               ;   in Loop: Header=BB0_40 Depth=2
	s_or_saveexec_b64 s[30:31], s[30:31]
	v_mov_b32_e32 v1, s44
	v_mov_b32_e32 v10, s44
	;; [unrolled: 1-line block ×4, first 2 shown]
	s_xor_b64 exec, exec, s[30:31]
	s_cbranch_execz .LBB0_45
; %bb.44:                               ;   in Loop: Header=BB0_40 Depth=2
	s_lshl_b64 s[44:45], s[40:41], 1
	v_add_co_u32_e32 v14, vcc, s44, v19
	v_mov_b32_e32 v1, s45
	v_addc_co_u32_e32 v15, vcc, v21, v1, vcc
	v_add_co_u32_e32 v10, vcc, v14, v44
	v_addc_co_u32_e32 v11, vcc, v15, v45, vcc
	flat_load_ushort v1, v[10:11]
	v_add_co_u32_e32 v10, vcc, v14, v46
	v_addc_co_u32_e32 v11, vcc, v15, v47, vcc
	flat_load_ushort v12, v[10:11]
	;; [unrolled: 3-line block ×4, first 2 shown]
	s_waitcnt vmcnt(0) lgkmcnt(0)
	ds_write_b16 v75, v1 offset:9216
	ds_write_b16 v136, v12 offset:9216
	;; [unrolled: 1-line block ×4, first 2 shown]
	v_add_co_u32_e32 v10, vcc, v14, v52
	v_addc_co_u32_e32 v11, vcc, v15, v53, vcc
	flat_load_ushort v1, v[10:11]
	v_add_co_u32_e32 v10, vcc, v14, v54
	v_addc_co_u32_e32 v11, vcc, v15, v55, vcc
	v_add_co_u32_e32 v12, vcc, v14, v56
	v_addc_co_u32_e32 v13, vcc, v15, v57, vcc
	flat_load_ushort v10, v[10:11]
	s_nop 0
	flat_load_ushort v11, v[12:13]
	v_add_co_u32_e32 v12, vcc, v14, v58
	v_addc_co_u32_e32 v13, vcc, v15, v59, vcc
	flat_load_ushort v12, v[12:13]
.LBB0_45:                               ;   in Loop: Header=BB0_40 Depth=2
	s_or_b64 exec, exec, s[30:31]
	s_waitcnt vmcnt(0) lgkmcnt(0)
	ds_write_b16 v142, v1 offset:9216
	ds_write_b16 v144, v10 offset:9216
	;; [unrolled: 1-line block ×4, first 2 shown]
.LBB0_46:                               ;   in Loop: Header=BB0_40 Depth=2
	s_mul_hi_i32 s31, s40, s78
	s_mul_i32 s30, s40, s78
	s_lshl_b64 s[30:31], s[30:31], 2
	s_add_u32 s30, s81, s30
	s_addc_u32 s31, s83, s31
	v_add_co_u32_e32 v1, vcc, s30, v32
	v_mov_b32_e32 v10, s31
	v_addc_co_u32_e32 v10, vcc, v10, v33, vcc
	v_lshlrev_b32_e32 v173, 2, v22
	v_add_co_u32_e32 v1, vcc, v1, v173
	v_addc_co_u32_e32 v10, vcc, 0, v10, vcc
	v_mov_b32_e32 v14, s89
	v_mov_b32_e32 v15, s88
	buffer_store_dword v134, off, s[0:3], 0
	buffer_store_dword v134, off, s[0:3], 0 offset:4
	buffer_store_dword v134, off, s[0:3], 0 offset:8
	;; [unrolled: 1-line block ×3, first 2 shown]
	v_cndmask_b32_e64 v11, v14, v10, s[6:7]
	v_cndmask_b32_e64 v10, v15, v1, s[6:7]
	flat_load_dwordx4 v[10:13], v[10:11]
	v_add_co_u32_e32 v1, vcc, s30, v34
	s_waitcnt vmcnt(0) lgkmcnt(0)
	ds_write_b128 v77, v[10:13]
	v_mov_b32_e32 v10, s31
	v_addc_co_u32_e32 v10, vcc, v10, v35, vcc
	v_add_co_u32_e32 v1, vcc, v1, v173
	v_addc_co_u32_e32 v10, vcc, 0, v10, vcc
	v_cndmask_b32_e64 v11, v14, v10, s[54:55]
	v_cndmask_b32_e64 v10, v15, v1, s[54:55]
	flat_load_dwordx4 v[10:13], v[10:11]
	v_add_u32_e32 v1, v73, v78
	s_and_b64 vcc, exec, s[38:39]
	s_waitcnt vmcnt(0) lgkmcnt(0)
	ds_write_b128 v150, v[10:13]
	s_waitcnt lgkmcnt(0)
	s_barrier
	ds_read2_b64 v[10:13], v1 offset1:4
	s_waitcnt lgkmcnt(0)
	v_mfma_f32_16x16x16f16 v[14:17], v[10:11], v[6:7], 0
	v_mfma_f32_16x16x16f16 v[10:13], v[12:13], v[8:9], v[14:17]
	s_nop 7
	s_nop 1
	ds_read2_b64 v[14:17], v1 offset0:8 offset1:12
	s_waitcnt lgkmcnt(0)
	v_mfma_f32_16x16x16f16 v[10:13], v[14:15], v[2:3], v[10:13]
	v_add_u32_e32 v1, 0x1000, v1
	v_mfma_f32_16x16x16f16 v[14:17], v[16:17], v[4:5], v[10:13]
	s_nop 7
	s_nop 0
	ds_read2_b64 v[10:13], v1 offset0:64 offset1:68
	s_waitcnt lgkmcnt(0)
	v_mfma_f32_16x16x16f16 v[176:179], v[10:11], v[6:7], 0
	v_mfma_f32_16x16x16f16 v[10:13], v[12:13], v[8:9], v[176:179]
	s_nop 7
	s_nop 1
	ds_read2_b64 v[176:179], v1 offset0:72 offset1:76
	s_waitcnt lgkmcnt(0)
	v_mfma_f32_16x16x16f16 v[10:13], v[176:177], v[2:3], v[10:13]
	s_barrier
	v_mfma_f32_16x16x16f16 v[10:13], v[178:179], v[4:5], v[10:13]
	s_cbranch_vccnz .LBB0_48
; %bb.47:                               ;   in Loop: Header=BB0_40 Depth=2
	v_add_u32_e32 v1, 0x2400, v100
	ds_read2_b32 v[176:177], v1 offset1:1
	ds_read_b32 v1, v103 offset:9216
	v_mov_b32_e32 v39, v38
	s_waitcnt lgkmcnt(1)
	v_cvt_f32_f16_e32 v178, v176
	v_cvt_f32_f16_sdwa v179, v176 dst_sel:DWORD dst_unused:UNUSED_PAD src0_sel:WORD_1
	v_cvt_f32_f16_e32 v176, v177
	v_cvt_f32_f16_sdwa v177, v177 dst_sel:DWORD dst_unused:UNUSED_PAD src0_sel:WORD_1
	v_pk_fma_f32 v[14:15], v[42:43], v[178:179], v[14:15]
	v_pk_fma_f32 v[16:17], v[38:39], v[176:177], v[16:17]
	s_waitcnt lgkmcnt(0)
	v_cvt_f32_f16_sdwa v177, v1 dst_sel:DWORD dst_unused:UNUSED_PAD src0_sel:WORD_1
	v_cvt_f32_f16_e32 v176, v1
	ds_read_b32 v1, v105 offset:9216
	v_pk_fma_f32 v[10:11], v[42:43], v[176:177], v[10:11]
	s_waitcnt lgkmcnt(0)
	v_cvt_f32_f16_sdwa v179, v1 dst_sel:DWORD dst_unused:UNUSED_PAD src0_sel:WORD_1
	v_cvt_f32_f16_e32 v178, v1
	v_pk_fma_f32 v[12:13], v[38:39], v[178:179], v[12:13]
.LBB0_48:                               ;   in Loop: Header=BB0_40 Depth=2
	v_add_f32_e32 v1, 0x40051340, v14
	v_max_f32_e32 v39, v174, v174
	v_max_f32_e32 v1, v39, v1
	v_cndmask_b32_e64 v1, v174, v1, s[10:11]
	v_add_f32_e32 v39, 0x40051340, v15
	v_max_f32_e32 v175, v1, v1
	v_max_f32_e32 v39, v175, v39
	v_cndmask_b32_e64 v1, v1, v39, s[12:13]
	;; [unrolled: 4-line block ×8, first 2 shown]
	ds_bpermute_b32 v39, v23, v1
	v_max_f32_e32 v1, v1, v1
	v_cndmask_b32_e64 v16, v16, v16, s[12:13]
	v_cndmask_b32_e64 v17, v17, v17, s[12:13]
	;; [unrolled: 1-line block ×3, first 2 shown]
	s_waitcnt lgkmcnt(0)
	v_max_f32_e32 v39, v39, v39
	v_max_f32_e32 v1, v1, v39
	ds_bpermute_b32 v39, v60, v1
	v_cndmask_b32_e64 v12, v12, v12, s[18:19]
	v_cndmask_b32_e64 v13, v13, v13, s[18:19]
	s_mul_hi_i32 s31, s40, s58
	s_mul_i32 s30, s40, s58
	s_waitcnt lgkmcnt(0)
	v_max_f32_e32 v39, v39, v39
	v_max_f32_e32 v1, v1, v39
	v_sub_f32_e32 v14, v14, v1
	v_mul_f32_e32 v39, 0x3fb8aa3b, v14
	v_fma_f32 v175, v14, s82, -v39
	v_rndne_f32_e32 v176, v39
	v_fmac_f32_e32 v175, 0x32a5705f, v14
	v_sub_f32_e32 v39, v39, v176
	v_add_f32_e32 v39, v39, v175
	v_exp_f32_e32 v39, v39
	v_cvt_i32_f32_e32 v175, v176
	v_cmp_ngt_f32_e32 vcc, s84, v14
	v_sub_f32_e32 v15, v15, v1
	v_sub_f32_e32 v16, v16, v1
	v_ldexp_f32 v39, v39, v175
	v_cndmask_b32_e32 v39, 0, v39, vcc
	v_cmp_nlt_f32_e32 vcc, s77, v14
	v_cndmask_b32_e32 v14, v168, v39, vcc
	v_mul_f32_e32 v39, 0x3fb8aa3b, v15
	v_fma_f32 v175, v15, s82, -v39
	v_rndne_f32_e32 v176, v39
	v_fmac_f32_e32 v175, 0x32a5705f, v15
	v_sub_f32_e32 v39, v39, v176
	v_add_f32_e32 v39, v39, v175
	v_exp_f32_e32 v39, v39
	v_cvt_i32_f32_e32 v175, v176
	v_cmp_ngt_f32_e32 vcc, s84, v15
	v_cndmask_b32_e64 v14, 0, v14, s[10:11]
	v_sub_f32_e32 v10, v10, v1
	v_ldexp_f32 v39, v39, v175
	v_cndmask_b32_e32 v39, 0, v39, vcc
	v_cmp_nlt_f32_e32 vcc, s77, v15
	v_cndmask_b32_e32 v39, v168, v39, vcc
	v_mov_b32_e32 v15, s87
	v_add_f32_e32 v175, v39, v14
	v_cndmask_b32_e64 v176, v15, v39, s[12:13]
	v_mul_f32_e32 v39, 0x3fb8aa3b, v16
	v_cndmask_b32_e64 v15, v14, v175, s[12:13]
	v_fma_f32 v175, v16, s82, -v39
	v_rndne_f32_e32 v177, v39
	v_fmac_f32_e32 v175, 0x32a5705f, v16
	v_sub_f32_e32 v39, v39, v177
	v_add_f32_e32 v39, v39, v175
	v_exp_f32_e32 v39, v39
	v_cvt_i32_f32_e32 v175, v177
	v_cmp_ngt_f32_e32 vcc, s84, v16
	v_sub_f32_e32 v11, v11, v1
	s_lshl_b64 s[30:31], s[30:31], 2
	v_ldexp_f32 v39, v39, v175
	v_cndmask_b32_e32 v39, 0, v39, vcc
	v_cmp_nlt_f32_e32 vcc, s77, v16
	v_cndmask_b32_e32 v39, v168, v39, vcc
	v_add_f32_e32 v175, v15, v39
	v_mov_b32_e32 v16, s87
	v_cndmask_b32_e64 v177, v16, v39, s[14:15]
	v_cndmask_b32_e64 v16, v15, v175, s[14:15]
	v_sub_f32_e32 v15, v17, v1
	v_mul_f32_e32 v17, 0x3fb8aa3b, v15
	v_fma_f32 v39, v15, s82, -v17
	v_rndne_f32_e32 v175, v17
	v_fmac_f32_e32 v39, 0x32a5705f, v15
	v_sub_f32_e32 v17, v17, v175
	v_add_f32_e32 v17, v17, v39
	v_exp_f32_e32 v17, v17
	v_cvt_i32_f32_e32 v39, v175
	v_cmp_ngt_f32_e32 vcc, s84, v15
	s_add_u32 s30, s93, s30
	s_addc_u32 s31, s80, s31
	v_ldexp_f32 v17, v17, v39
	v_cndmask_b32_e32 v17, 0, v17, vcc
	v_cmp_nlt_f32_e32 vcc, s77, v15
	v_cndmask_b32_e32 v17, v168, v17, vcc
	v_mov_b32_e32 v15, s87
	v_add_f32_e32 v39, v16, v17
	v_cndmask_b32_e64 v15, v15, v17, s[16:17]
	v_mul_f32_e32 v17, 0x3fb8aa3b, v10
	v_cndmask_b32_e64 v16, v16, v39, s[16:17]
	v_fma_f32 v39, v10, s82, -v17
	v_rndne_f32_e32 v175, v17
	v_fmac_f32_e32 v39, 0x32a5705f, v10
	v_sub_f32_e32 v17, v17, v175
	v_add_f32_e32 v17, v17, v39
	v_exp_f32_e32 v17, v17
	v_cvt_i32_f32_e32 v39, v175
	v_cmp_ngt_f32_e32 vcc, s84, v10
	buffer_store_dword v134, off, s[0:3], 0
	buffer_store_dword v134, off, s[0:3], 0 offset:4
	buffer_store_dword v134, off, s[0:3], 0 offset:8
	;; [unrolled: 1-line block ×3, first 2 shown]
	s_add_i32 s42, s42, 1
	v_ldexp_f32 v17, v17, v39
	v_cndmask_b32_e32 v17, 0, v17, vcc
	v_cmp_nlt_f32_e32 vcc, s77, v10
	v_cndmask_b32_e32 v17, v168, v17, vcc
	v_add_f32_e32 v39, v17, v16
	v_mov_b32_e32 v10, s87
	v_cndmask_b32_e64 v175, v10, v17, s[18:19]
	v_cndmask_b32_e64 v10, v16, v39, s[18:19]
	v_mul_f32_e32 v16, 0x3fb8aa3b, v11
	v_fma_f32 v17, v11, s82, -v16
	v_rndne_f32_e32 v39, v16
	v_fmac_f32_e32 v17, 0x32a5705f, v11
	v_sub_f32_e32 v16, v16, v39
	v_add_f32_e32 v16, v16, v17
	v_exp_f32_e32 v16, v16
	v_cvt_i32_f32_e32 v17, v39
	v_cmp_ngt_f32_e32 vcc, s84, v11
	s_add_i32 s40, s40, 64
	s_cmp_lt_i32 s42, s43
	v_ldexp_f32 v16, v16, v17
	v_cndmask_b32_e32 v16, 0, v16, vcc
	v_cmp_nlt_f32_e32 vcc, s77, v11
	v_cndmask_b32_e32 v16, v168, v16, vcc
	v_add_f32_e32 v17, v16, v10
	v_mov_b32_e32 v11, s87
	v_cndmask_b32_e64 v178, v11, v16, s[20:21]
	v_cndmask_b32_e64 v11, v10, v17, s[20:21]
	v_sub_f32_e32 v10, v12, v1
	v_mul_f32_e32 v12, 0x3fb8aa3b, v10
	v_fma_f32 v16, v10, s82, -v12
	v_rndne_f32_e32 v17, v12
	v_fmac_f32_e32 v16, 0x32a5705f, v10
	v_sub_f32_e32 v12, v12, v17
	v_add_f32_e32 v12, v12, v16
	v_exp_f32_e32 v12, v12
	v_cvt_i32_f32_e32 v16, v17
	v_cmp_ngt_f32_e32 vcc, s84, v10
	v_ldexp_f32 v12, v12, v16
	v_cndmask_b32_e32 v12, 0, v12, vcc
	v_cmp_nlt_f32_e32 vcc, s77, v10
	v_cndmask_b32_e32 v12, v168, v12, vcc
	v_add_f32_e32 v16, v12, v11
	v_mov_b32_e32 v10, s87
	v_cndmask_b32_e64 v179, v10, v12, s[22:23]
	v_cndmask_b32_e64 v10, v11, v16, s[22:23]
	v_sub_f32_e32 v11, v13, v1
	v_mul_f32_e32 v12, 0x3fb8aa3b, v11
	v_fma_f32 v13, v11, s82, -v12
	v_rndne_f32_e32 v16, v12
	v_fmac_f32_e32 v13, 0x32a5705f, v11
	v_sub_f32_e32 v12, v12, v16
	v_add_f32_e32 v12, v12, v13
	v_exp_f32_e32 v12, v12
	v_cvt_i32_f32_e32 v13, v16
	v_cmp_ngt_f32_e32 vcc, s84, v11
	v_ldexp_f32 v12, v12, v13
	v_cndmask_b32_e32 v12, 0, v12, vcc
	v_cmp_nlt_f32_e32 vcc, s77, v11
	v_cndmask_b32_e32 v12, v168, v12, vcc
	v_add_f32_e32 v13, v12, v10
	v_mov_b32_e32 v11, s87
	v_cndmask_b32_e64 v16, v10, v13, s[24:25]
	v_sub_f32_e32 v10, v174, v1
	v_cndmask_b32_e64 v11, v11, v12, s[24:25]
	v_mul_f32_e32 v12, 0x3fb8aa3b, v10
	v_fma_f32 v13, v10, s82, -v12
	v_rndne_f32_e32 v17, v12
	v_fmac_f32_e32 v13, 0x32a5705f, v10
	v_sub_f32_e32 v12, v12, v17
	v_add_f32_e32 v12, v12, v13
	v_exp_f32_e32 v12, v12
	v_cvt_i32_f32_e32 v13, v17
	v_cmp_ngt_f32_e32 vcc, s84, v10
	v_cvt_f16_f32_e32 v11, v11
	v_ldexp_f32 v12, v12, v13
	v_cndmask_b32_e32 v12, 0, v12, vcc
	v_cmp_nlt_f32_e32 vcc, s77, v10
	v_cndmask_b32_e32 v12, v168, v12, vcc
	v_cmp_le_f32_e32 vcc, s85, v10
	v_cndmask_b32_e32 v10, 0, v12, vcc
	v_fmac_f32_e32 v16, v172, v10
	v_cvt_f16_f32_e32 v10, v10
	v_cvt_f16_f32_e32 v12, v176
	;; [unrolled: 1-line block ×3, first 2 shown]
	v_mov_b32_e32 v15, s31
	v_pk_mul_f16 v172, v10, v61 op_sel_hi:[0,1]
	v_pk_mul_f16 v61, v10, v62 op_sel_hi:[0,1]
	v_pk_mul_f16 v64, v10, v64 op_sel_hi:[0,1]
	v_pk_mul_f16 v63, v10, v63 op_sel_hi:[0,1]
	v_pk_mul_f16 v66, v10, v66 op_sel_hi:[0,1]
	v_pk_mul_f16 v65, v10, v65 op_sel_hi:[0,1]
	v_pk_mul_f16 v39, v10, v171 op_sel_hi:[0,1]
	v_pk_mul_f16 v17, v10, v67 op_sel_hi:[0,1]
	v_cvt_f16_f32_e32 v10, v14
	v_cvt_f16_f32_e32 v14, v178
	v_mov_b32_e32 v62, s89
	v_mov_b32_e32 v67, s88
	v_pack_b32_f16 v12, v10, v12
	v_cvt_f16_f32_e32 v10, v177
	v_pack_b32_f16 v13, v10, v13
	v_cvt_f16_f32_e32 v10, v175
	;; [unrolled: 2-line block ×3, first 2 shown]
	v_pack_b32_f16 v11, v14, v11
	v_add_co_u32_e32 v14, vcc, s30, v28
	v_addc_co_u32_e32 v15, vcc, v15, v29, vcc
	v_add_co_u32_e32 v14, vcc, v14, v173
	v_addc_co_u32_e32 v15, vcc, 0, v15, vcc
	v_cndmask_b32_e64 v175, v62, v15, s[6:7]
	v_cndmask_b32_e64 v174, v67, v14, s[6:7]
	flat_load_dwordx4 v[174:177], v[174:175]
	v_add_co_u32_e32 v14, vcc, s30, v30
	v_mov_b32_e32 v15, s31
	v_addc_co_u32_e32 v15, vcc, v15, v31, vcc
	v_add_co_u32_e32 v14, vcc, v14, v173
	v_addc_co_u32_e32 v15, vcc, 0, v15, vcc
	v_cndmask_b32_e64 v15, v62, v15, s[54:55]
	v_cndmask_b32_e64 v14, v67, v14, s[54:55]
	s_waitcnt vmcnt(0) lgkmcnt(0)
	ds_write_b128 v77, v[174:177]
	flat_load_dwordx4 v[174:177], v[14:15]
	s_waitcnt vmcnt(0) lgkmcnt(0)
	ds_write_b128 v150, v[174:177]
	s_waitcnt lgkmcnt(0)
	s_barrier
	ds_read_u16 v14, v81 offset:144
	ds_read_u16 v15, v81 offset:288
	v_cvt_f32_f16_e32 v176, v61
	v_cvt_f32_f16_sdwa v177, v61 dst_sel:DWORD dst_unused:UNUSED_PAD src0_sel:WORD_1
	ds_read_u16 v61, v82
	ds_read_u16 v67, v82 offset:32
	v_cvt_f32_f16_e32 v174, v172
	v_cvt_f32_f16_sdwa v175, v172 dst_sel:DWORD dst_unused:UNUSED_PAD src0_sel:WORD_1
	s_waitcnt lgkmcnt(1)
	v_perm_b32 v15, v61, v15, s26
	ds_read_u16 v61, v80
	ds_read_u16 v171, v80 offset:32
	s_waitcnt lgkmcnt(1)
	v_perm_b32 v14, v14, v61, s26
	s_nop 1
	v_mfma_f32_16x16x16f16 v[172:175], v[14:15], v[12:13], v[174:177]
	s_nop 6
	ds_read_u16 v176, v80 offset:4608
	ds_read_u16 v177, v151 offset:144
	;; [unrolled: 1-line block ×4, first 2 shown]
	v_cvt_f16_f32_e32 v14, v172
	v_cvt_f16_f32_e32 v15, v173
	;; [unrolled: 1-line block ×4, first 2 shown]
	v_cvt_f32_f16_e32 v172, v14
	v_cvt_f32_f16_e32 v173, v15
	s_waitcnt lgkmcnt(0)
	v_perm_b32 v15, v179, v178, s26
	v_perm_b32 v14, v177, v176, s26
	v_cvt_f32_f16_e32 v174, v61
	v_cvt_f32_f16_e32 v175, v62
	s_nop 1
	v_mfma_f32_16x16x16f16 v[172:175], v[14:15], v[10:11], v[172:175]
	s_nop 7
	s_nop 2
	v_cvt_f16_f32_e32 v14, v172
	v_cvt_f16_f32_e32 v15, v173
	;; [unrolled: 1-line block ×4, first 2 shown]
	v_cvt_f32_f16_sdwa v173, v64 dst_sel:DWORD dst_unused:UNUSED_PAD src0_sel:WORD_1
	v_pack_b32_f16 v61, v14, v15
	ds_read_u16 v14, v152 offset:144
	ds_read_u16 v15, v152 offset:288
	v_pack_b32_f16 v62, v62, v172
	v_cvt_f32_f16_e32 v172, v64
	v_cvt_f32_f16_e32 v174, v63
	s_waitcnt lgkmcnt(1)
	v_perm_b32 v14, v14, v171, s26
	s_waitcnt lgkmcnt(0)
	v_perm_b32 v15, v67, v15, s26
	v_cvt_f32_f16_sdwa v175, v63 dst_sel:DWORD dst_unused:UNUSED_PAD src0_sel:WORD_1
	ds_read_u16 v67, v83 offset:4608
	ds_read_u16 v171, v84 offset:144
	;; [unrolled: 1-line block ×4, first 2 shown]
	v_mfma_f32_16x16x16f16 v[172:175], v[14:15], v[12:13], v[172:175]
	s_nop 7
	s_nop 2
	v_cvt_f16_f32_e32 v14, v172
	v_cvt_f16_f32_e32 v15, v173
	;; [unrolled: 1-line block ×4, first 2 shown]
	v_cvt_f32_f16_e32 v172, v14
	v_cvt_f32_f16_e32 v173, v15
	s_waitcnt lgkmcnt(0)
	v_perm_b32 v15, v177, v176, s26
	v_perm_b32 v14, v171, v67, s26
	v_cvt_f32_f16_e32 v174, v63
	v_cvt_f32_f16_e32 v175, v64
	s_nop 1
	v_mfma_f32_16x16x16f16 v[172:175], v[14:15], v[10:11], v[172:175]
	s_nop 7
	s_nop 2
	v_cvt_f16_f32_e32 v14, v172
	v_cvt_f16_f32_e32 v15, v173
	;; [unrolled: 1-line block ×4, first 2 shown]
	v_cvt_f32_f16_e32 v172, v66
	v_pack_b32_f16 v64, v14, v15
	v_cvt_f32_f16_sdwa v173, v66 dst_sel:DWORD dst_unused:UNUSED_PAD src0_sel:WORD_1
	v_pack_b32_f16 v63, v63, v67
	ds_read_u16 v14, v80 offset:64
	ds_read_u16 v67, v154 offset:144
	;; [unrolled: 1-line block ×4, first 2 shown]
	v_cvt_f32_f16_e32 v174, v65
	v_cvt_f32_f16_sdwa v175, v65 dst_sel:DWORD dst_unused:UNUSED_PAD src0_sel:WORD_1
	s_waitcnt lgkmcnt(2)
	v_perm_b32 v14, v67, v14, s26
	s_waitcnt lgkmcnt(0)
	v_perm_b32 v15, v171, v15, s26
	ds_read_u16 v67, v86 offset:4608
	ds_read_u16 v171, v87 offset:144
	;; [unrolled: 1-line block ×4, first 2 shown]
	v_mfma_f32_16x16x16f16 v[172:175], v[14:15], v[12:13], v[172:175]
	s_nop 7
	s_nop 2
	v_cvt_f16_f32_e32 v14, v172
	v_cvt_f16_f32_e32 v15, v173
	;; [unrolled: 1-line block ×4, first 2 shown]
	v_cvt_f32_f16_e32 v172, v14
	v_cvt_f32_f16_e32 v173, v15
	s_waitcnt lgkmcnt(0)
	v_perm_b32 v15, v177, v176, s26
	v_perm_b32 v14, v171, v67, s26
	v_cvt_f32_f16_e32 v174, v65
	v_cvt_f32_f16_e32 v175, v66
	s_nop 1
	v_mfma_f32_16x16x16f16 v[172:175], v[14:15], v[10:11], v[172:175]
	s_nop 7
	s_nop 2
	v_cvt_f16_f32_e32 v14, v172
	v_cvt_f16_f32_e32 v15, v173
	;; [unrolled: 1-line block ×4, first 2 shown]
	v_cvt_f32_f16_e32 v172, v39
	v_pack_b32_f16 v66, v14, v15
	v_cvt_f32_f16_sdwa v173, v39 dst_sel:DWORD dst_unused:UNUSED_PAD src0_sel:WORD_1
	v_pack_b32_f16 v65, v65, v67
	ds_read_u16 v14, v80 offset:96
	ds_read_u16 v67, v156 offset:144
	;; [unrolled: 1-line block ×4, first 2 shown]
	v_cvt_f32_f16_e32 v174, v17
	v_cvt_f32_f16_sdwa v175, v17 dst_sel:DWORD dst_unused:UNUSED_PAD src0_sel:WORD_1
	s_waitcnt lgkmcnt(2)
	v_perm_b32 v14, v67, v14, s26
	s_waitcnt lgkmcnt(0)
	v_perm_b32 v15, v171, v15, s26
	ds_read_u16 v17, v89 offset:4608
	ds_read_u16 v39, v90 offset:144
	;; [unrolled: 1-line block ×4, first 2 shown]
	v_mfma_f32_16x16x16f16 v[12:15], v[14:15], v[12:13], v[172:175]
	s_waitcnt lgkmcnt(0)
	s_barrier
	s_nop 4
	v_perm_b32 v173, v171, v67, s26
	v_perm_b32 v172, v39, v17, s26
	s_nop 1
	v_cvt_f16_f32_e32 v12, v12
	v_cvt_f16_f32_e32 v13, v13
	;; [unrolled: 1-line block ×4, first 2 shown]
	v_cvt_f32_f16_e32 v12, v12
	v_cvt_f32_f16_e32 v13, v13
	;; [unrolled: 1-line block ×4, first 2 shown]
	s_nop 1
	v_mfma_f32_16x16x16f16 v[10:13], v[172:173], v[10:11], v[12:15]
	s_nop 7
	s_nop 2
	v_cvt_f16_f32_e32 v10, v10
	v_cvt_f16_f32_e32 v11, v11
	;; [unrolled: 1-line block ×4, first 2 shown]
	v_pack_b32_f16 v171, v10, v11
	v_pack_b32_f16 v67, v12, v13
	s_cbranch_scc0 .LBB0_52
; %bb.49:                               ;   in Loop: Header=BB0_40 Depth=2
	v_mov_b32_e32 v172, v16
	v_mov_b32_e32 v174, v1
	s_branch .LBB0_40
.LBB0_50:                               ;   in Loop: Header=BB0_14 Depth=1
	s_cbranch_execz .LBB0_13
	s_branch .LBB0_115
.LBB0_51:                               ;   in Loop: Header=BB0_14 Depth=1
	v_mov_b32_e32 v16, 0
	v_mov_b32_e32 v1, 0xfeffffff
	;; [unrolled: 1-line block ×9, first 2 shown]
.LBB0_52:                               ;   in Loop: Header=BB0_14 Depth=1
	s_lshl_b32 s30, s42, 6
	v_readlane_b32 s36, v187, 4
	v_cmp_eq_u64_e32 vcc, 0, v[40:41]
	s_sub_i32 s56, s36, s30
	v_cmp_ne_u64_e64 s[40:41], 0, v[40:41]
	s_ashr_i32 s31, s30, 31
	v_readlane_b32 s37, v187, 5
	s_cbranch_vccnz .LBB0_62
; %bb.53:                               ;   in Loop: Header=BB0_14 Depth=1
	v_cmp_le_i32_e32 vcc, s56, v18
                                        ; implicit-def: $sgpr42
	s_and_saveexec_b64 s[36:37], vcc
	s_xor_b64 s[36:37], exec, s[36:37]
	s_cbranch_execz .LBB0_55
; %bb.54:                               ;   in Loop: Header=BB0_14 Depth=1
	ds_write_b16 v75, v134 offset:9216
	ds_write_b16 v136, v134 offset:9216
	s_mov_b32 s42, 0
.LBB0_55:                               ;   in Loop: Header=BB0_14 Depth=1
	s_or_saveexec_b64 s[38:39], s[36:37]
	s_lshl_b64 s[36:37], s[30:31], 1
	v_mov_b32_e32 v10, s37
	v_add_co_u32_e64 v11, s[36:37], s36, v40
	v_addc_co_u32_e64 v12, s[36:37], v41, v10, s[36:37]
	v_lshlrev_b32_e32 v10, 1, v18
	v_add_co_u32_e64 v10, s[36:37], v11, v10
	v_addc_co_u32_e64 v11, s[36:37], 0, v12, s[36:37]
	v_mov_b32_e32 v12, s42
	v_mov_b32_e32 v13, s42
	s_xor_b64 exec, exec, s[38:39]
	s_cbranch_execz .LBB0_57
; %bb.56:                               ;   in Loop: Header=BB0_14 Depth=1
	v_add_u32_e32 v12, s99, v68
	v_mul_hi_u32 v13, s90, v12
	v_add_u32_e32 v13, v12, v13
	v_lshrrev_b32_e32 v13, s91, v13
	v_mul_lo_u32 v13, v13, s76
	v_sub_u32_e32 v12, v12, v13
	v_mad_i64_i32 v[12:13], s[36:37], v12, s92, 0
	v_lshlrev_b64 v[12:13], 1, v[12:13]
	v_add_co_u32_e64 v12, s[36:37], v10, v12
	v_addc_co_u32_e64 v13, s[36:37], v11, v13, s[36:37]
	flat_load_ushort v14, v[12:13]
	v_add_u32_e32 v12, s99, v135
	v_mul_hi_u32 v13, s90, v12
	v_add_u32_e32 v13, v12, v13
	v_lshrrev_b32_e32 v13, s91, v13
	v_mul_lo_u32 v13, v13, s76
	v_sub_u32_e32 v12, v12, v13
	v_mad_i64_i32 v[12:13], s[36:37], v12, s92, 0
	v_lshlrev_b64 v[12:13], 1, v[12:13]
	v_add_co_u32_e64 v12, s[36:37], v10, v12
	v_addc_co_u32_e64 v13, s[36:37], v11, v13, s[36:37]
	flat_load_ushort v12, v[12:13]
	s_waitcnt vmcnt(0) lgkmcnt(0)
	ds_write_b16 v75, v14 offset:9216
	ds_write_b16 v136, v12 offset:9216
	v_add_u32_e32 v12, s99, v137
	v_mul_hi_u32 v13, s90, v12
	v_add_u32_e32 v13, v12, v13
	v_lshrrev_b32_e32 v13, s91, v13
	v_mul_lo_u32 v13, v13, s76
	v_sub_u32_e32 v12, v12, v13
	v_mad_i64_i32 v[12:13], s[36:37], v12, s92, 0
	v_lshlrev_b64 v[12:13], 1, v[12:13]
	v_add_co_u32_e64 v12, s[36:37], v10, v12
	v_addc_co_u32_e64 v13, s[36:37], v11, v13, s[36:37]
	flat_load_ushort v12, v[12:13]
	v_add_u32_e32 v13, s99, v139
	v_mul_hi_u32 v14, s90, v13
	v_add_u32_e32 v14, v13, v14
	v_lshrrev_b32_e32 v14, s91, v14
	v_mul_lo_u32 v14, v14, s76
	v_sub_u32_e32 v13, v13, v14
	v_mad_i64_i32 v[14:15], s[36:37], v13, s92, 0
	v_lshlrev_b64 v[14:15], 1, v[14:15]
	v_add_co_u32_e64 v14, s[36:37], v10, v14
	v_addc_co_u32_e64 v15, s[36:37], v11, v15, s[36:37]
	flat_load_ushort v13, v[14:15]
.LBB0_57:                               ;   in Loop: Header=BB0_14 Depth=1
	s_or_b64 exec, exec, s[38:39]
	s_waitcnt vmcnt(0) lgkmcnt(0)
	ds_write_b16 v138, v12 offset:9216
	ds_write_b16 v140, v13 offset:9216
                                        ; implicit-def: $sgpr31
	s_and_saveexec_b64 s[36:37], vcc
	s_xor_b64 s[36:37], exec, s[36:37]
	s_cbranch_execz .LBB0_59
; %bb.58:                               ;   in Loop: Header=BB0_14 Depth=1
	ds_write_b16 v142, v134 offset:9216
	ds_write_b16 v144, v134 offset:9216
	s_mov_b32 s31, 0
                                        ; implicit-def: $vgpr10
                                        ; implicit-def: $vgpr11
.LBB0_59:                               ;   in Loop: Header=BB0_14 Depth=1
	s_or_saveexec_b64 s[36:37], s[36:37]
	v_mov_b32_e32 v12, s31
	v_mov_b32_e32 v13, s31
	s_xor_b64 exec, exec, s[36:37]
	s_cbranch_execz .LBB0_61
; %bb.60:                               ;   in Loop: Header=BB0_14 Depth=1
	v_add_u32_e32 v12, s99, v141
	v_mul_hi_u32 v13, s90, v12
	v_add_u32_e32 v13, v12, v13
	v_lshrrev_b32_e32 v13, s91, v13
	v_mul_lo_u32 v13, v13, s76
	v_sub_u32_e32 v12, v12, v13
	v_mad_i64_i32 v[12:13], s[38:39], v12, s92, 0
	v_lshlrev_b64 v[12:13], 1, v[12:13]
	v_add_co_u32_e32 v12, vcc, v10, v12
	v_addc_co_u32_e32 v13, vcc, v11, v13, vcc
	flat_load_ushort v14, v[12:13]
	v_add_u32_e32 v12, s99, v143
	v_mul_hi_u32 v13, s90, v12
	v_add_u32_e32 v13, v12, v13
	v_lshrrev_b32_e32 v13, s91, v13
	v_mul_lo_u32 v13, v13, s76
	v_sub_u32_e32 v12, v12, v13
	v_mad_i64_i32 v[12:13], s[38:39], v12, s92, 0
	v_lshlrev_b64 v[12:13], 1, v[12:13]
	v_add_co_u32_e32 v12, vcc, v10, v12
	v_addc_co_u32_e32 v13, vcc, v11, v13, vcc
	flat_load_ushort v12, v[12:13]
	s_waitcnt vmcnt(0) lgkmcnt(0)
	ds_write_b16 v142, v14 offset:9216
	ds_write_b16 v144, v12 offset:9216
	v_add_u32_e32 v12, s99, v145
	v_mul_hi_u32 v13, s90, v12
	v_add_u32_e32 v13, v12, v13
	v_lshrrev_b32_e32 v13, s91, v13
	v_mul_lo_u32 v13, v13, s76
	v_sub_u32_e32 v12, v12, v13
	v_mad_i64_i32 v[12:13], s[38:39], v12, s92, 0
	v_lshlrev_b64 v[12:13], 1, v[12:13]
	v_add_co_u32_e32 v12, vcc, v10, v12
	v_addc_co_u32_e32 v13, vcc, v11, v13, vcc
	flat_load_ushort v12, v[12:13]
	v_add_u32_e32 v13, s99, v147
	v_mul_hi_u32 v14, s90, v13
	v_add_u32_e32 v14, v13, v14
	v_lshrrev_b32_e32 v14, s91, v14
	v_mul_lo_u32 v14, v14, s76
	v_sub_u32_e32 v13, v13, v14
	v_mad_i64_i32 v[14:15], s[38:39], v13, s92, 0
	v_lshlrev_b64 v[14:15], 1, v[14:15]
	v_add_co_u32_e32 v10, vcc, v10, v14
	v_addc_co_u32_e32 v11, vcc, v11, v15, vcc
	flat_load_ushort v13, v[10:11]
.LBB0_61:                               ;   in Loop: Header=BB0_14 Depth=1
	s_or_b64 exec, exec, s[36:37]
	s_waitcnt vmcnt(0) lgkmcnt(0)
	ds_write_b16 v146, v12 offset:9216
	ds_write_b16 v148, v13 offset:9216
.LBB0_62:                               ;   in Loop: Header=BB0_14 Depth=1
	s_mul_hi_i32 s37, s30, s78
	s_mul_i32 s36, s30, s78
	s_lshl_b64 s[36:37], s[36:37], 2
	s_add_u32 s31, s81, s36
	s_addc_u32 s38, s83, s37
	v_mov_b32_e32 v10, s38
	v_add_co_u32_e32 v11, vcc, s31, v32
	v_addc_co_u32_e32 v10, vcc, v10, v33, vcc
	v_lshlrev_b32_e32 v21, 2, v22
	v_add_co_u32_e32 v12, vcc, v11, v21
	v_addc_co_u32_e32 v10, vcc, 0, v10, vcc
	v_mov_b32_e32 v14, s89
	v_cmp_gt_i32_e64 s[36:37], s56, v76
	v_mov_b32_e32 v17, s88
	buffer_store_dword v134, off, s[0:3], 0
	buffer_store_dword v134, off, s[0:3], 0 offset:4
	buffer_store_dword v134, off, s[0:3], 0 offset:8
	;; [unrolled: 1-line block ×3, first 2 shown]
	v_cndmask_b32_e64 v11, v14, v10, s[36:37]
	v_cndmask_b32_e64 v10, v17, v12, s[36:37]
	flat_load_dwordx4 v[10:13], v[10:11]
	v_mov_b32_e32 v15, s38
	v_add_co_u32_e32 v19, vcc, s31, v34
	v_addc_co_u32_e32 v15, vcc, v15, v35, vcc
	v_add_co_u32_e32 v19, vcc, v19, v21
	v_addc_co_u32_e32 v15, vcc, 0, v15, vcc
	v_cmp_gt_i32_e64 s[38:39], s56, v149
	v_cndmask_b32_e64 v15, v14, v15, s[38:39]
	v_cndmask_b32_e64 v14, v17, v19, s[38:39]
	s_andn2_b64 vcc, exec, s[40:41]
	s_waitcnt vmcnt(0) lgkmcnt(0)
	ds_write_b128 v77, v[10:13]
	flat_load_dwordx4 v[10:13], v[14:15]
	v_add_u32_e32 v14, v73, v78
	v_add_u32_e32 v15, 0x1000, v14
	s_waitcnt vmcnt(0) lgkmcnt(0)
	ds_write_b128 v150, v[10:13]
	s_waitcnt lgkmcnt(0)
	s_barrier
	ds_read2_b64 v[10:13], v14 offset1:4
	ds_read2_b64 v[46:49], v15 offset0:64 offset1:68
	s_waitcnt lgkmcnt(1)
	v_mfma_f32_16x16x16f16 v[42:45], v[10:11], v[6:7], 0
	s_waitcnt lgkmcnt(0)
	v_mfma_f32_16x16x16f16 v[50:53], v[46:47], v[6:7], 0
	v_mfma_f32_16x16x16f16 v[10:13], v[12:13], v[8:9], v[42:45]
	;; [unrolled: 1-line block ×3, first 2 shown]
	s_nop 6
	ds_read2_b64 v[42:45], v14 offset0:8 offset1:12
	ds_read2_b64 v[46:49], v15 offset0:72 offset1:76
	s_waitcnt lgkmcnt(0)
	s_barrier
	v_mfma_f32_16x16x16f16 v[10:13], v[42:43], v[2:3], v[10:13]
	v_mfma_f32_16x16x16f16 v[50:53], v[46:47], v[2:3], v[6:9]
	;; [unrolled: 1-line block ×4, first 2 shown]
	s_cbranch_vccnz .LBB0_64
; %bb.63:                               ;   in Loop: Header=BB0_14 Depth=1
	s_nop 6
	v_add_u32_e32 v10, 0x2400, v100
	ds_read2_b32 v[10:11], v10 offset1:1
	s_waitcnt lgkmcnt(0)
	v_cvt_f32_f16_e32 v12, v10
	v_cvt_f32_f16_sdwa v13, v10 dst_sel:DWORD dst_unused:UNUSED_PAD src0_sel:WORD_1
	v_cvt_f32_f16_e32 v10, v11
	v_cvt_f32_f16_sdwa v11, v11 dst_sel:DWORD dst_unused:UNUSED_PAD src0_sel:WORD_1
	v_pk_fma_f32 v[6:7], v[38:39], v[12:13], v[6:7] op_sel_hi:[0,1,1]
	ds_read_b32 v12, v105 offset:9216
	v_pk_fma_f32 v[8:9], v[38:39], v[10:11], v[8:9] op_sel_hi:[0,1,1]
	ds_read_b32 v10, v103 offset:9216
	s_waitcnt lgkmcnt(1)
	v_cvt_f32_f16_sdwa v13, v12 dst_sel:DWORD dst_unused:UNUSED_PAD src0_sel:WORD_1
	v_cvt_f32_f16_e32 v12, v12
	s_waitcnt lgkmcnt(0)
	v_cvt_f32_f16_sdwa v11, v10 dst_sel:DWORD dst_unused:UNUSED_PAD src0_sel:WORD_1
	v_cvt_f32_f16_e32 v10, v10
	v_pk_fma_f32 v[4:5], v[38:39], v[12:13], v[4:5] op_sel_hi:[0,1,1]
	v_pk_fma_f32 v[2:3], v[38:39], v[10:11], v[2:3] op_sel_hi:[0,1,1]
.LBB0_64:                               ;   in Loop: Header=BB0_14 Depth=1
	s_nop 7
	s_nop 0
	v_add_f32_e32 v10, 0x40051340, v6
	v_max_f32_e32 v11, v1, v1
	v_cmp_gt_u32_e64 s[52:53], s56, v79
	v_max_f32_e32 v10, v11, v10
	v_cndmask_b32_e64 v10, v1, v10, s[52:53]
	v_add_f32_e32 v11, 0x40051340, v7
	v_max_f32_e32 v12, v10, v10
	v_cmp_gt_u32_e64 s[50:51], s56, v158
	v_max_f32_e32 v11, v12, v11
	v_cndmask_b32_e64 v10, v10, v11, s[50:51]
	;; [unrolled: 5-line block ×7, first 2 shown]
	v_add_f32_e32 v11, 0x40051340, v5
	v_max_f32_e32 v12, v10, v10
	v_cmp_gt_u32_e32 vcc, s56, v162
	v_max_f32_e32 v11, v12, v11
	v_cndmask_b32_e32 v10, v10, v11, vcc
	v_and_b32_e32 v11, 64, v170
	v_add_u32_e32 v12, 64, v11
	v_xor_b32_e32 v11, 32, v170
	v_cmp_lt_i32_e64 s[56:57], v11, v12
	v_cndmask_b32_e64 v11, v170, v11, s[56:57]
	v_lshlrev_b32_e32 v11, 2, v11
	ds_bpermute_b32 v13, v11, v10
	v_max_f32_e32 v10, v10, v10
	v_cndmask_b32_e64 v8, v8, v8, s[50:51]
	v_cndmask_b32_e64 v9, v9, v9, s[50:51]
	v_cndmask_b32_e64 v3, v3, v3, s[44:45]
	s_waitcnt lgkmcnt(0)
	v_max_f32_e32 v13, v13, v13
	v_max_f32_e32 v10, v10, v13
	v_xor_b32_e32 v13, 16, v170
	v_cmp_lt_i32_e64 s[56:57], v13, v12
	v_cndmask_b32_e64 v12, v170, v13, s[56:57]
	v_lshlrev_b32_e32 v13, 2, v12
	ds_bpermute_b32 v12, v13, v10
	v_cndmask_b32_e64 v5, v5, v5, s[44:45]
	v_cndmask_b32_e64 v4, v4, v4, s[44:45]
	s_mul_hi_i32 s31, s30, s58
	s_mul_i32 s30, s30, s58
	s_waitcnt lgkmcnt(0)
	v_max_f32_e32 v12, v12, v12
	v_max_f32_e32 v10, v10, v12
	v_sub_f32_e32 v6, v6, v10
	v_mul_f32_e32 v12, 0x3fb8aa3b, v6
	v_fma_f32 v14, v6, s82, -v12
	v_rndne_f32_e32 v15, v12
	v_fmac_f32_e32 v14, 0x32a5705f, v6
	v_sub_f32_e32 v12, v12, v15
	v_add_f32_e32 v12, v12, v14
	v_exp_f32_e32 v12, v12
	v_cvt_i32_f32_e32 v14, v15
	v_cmp_ngt_f32_e64 s[56:57], s84, v6
	v_sub_f32_e32 v7, v7, v10
	v_sub_f32_e32 v8, v8, v10
	v_ldexp_f32 v12, v12, v14
	v_cndmask_b32_e64 v12, 0, v12, s[56:57]
	v_cmp_nlt_f32_e64 s[56:57], s77, v6
	v_cndmask_b32_e64 v6, v168, v12, s[56:57]
	v_mul_f32_e32 v12, 0x3fb8aa3b, v7
	v_fma_f32 v14, v7, s82, -v12
	v_rndne_f32_e32 v15, v12
	v_fmac_f32_e32 v14, 0x32a5705f, v7
	v_sub_f32_e32 v12, v12, v15
	v_add_f32_e32 v12, v12, v14
	v_exp_f32_e32 v12, v12
	v_cvt_i32_f32_e32 v14, v15
	v_cndmask_b32_e64 v6, 0, v6, s[52:53]
	v_cmp_ngt_f32_e64 s[52:53], s84, v7
	v_sub_f32_e32 v2, v2, v10
	v_ldexp_f32 v12, v12, v14
	v_cndmask_b32_e64 v12, 0, v12, s[52:53]
	v_cmp_nlt_f32_e64 s[52:53], s77, v7
	v_cndmask_b32_e64 v12, v168, v12, s[52:53]
	v_mov_b32_e32 v7, s87
	v_add_f32_e32 v14, v12, v6
	v_cndmask_b32_e64 v23, v7, v12, s[50:51]
	v_mul_f32_e32 v12, 0x3fb8aa3b, v8
	v_cndmask_b32_e64 v7, v6, v14, s[50:51]
	v_fma_f32 v14, v8, s82, -v12
	v_rndne_f32_e32 v15, v12
	v_fmac_f32_e32 v14, 0x32a5705f, v8
	v_sub_f32_e32 v12, v12, v15
	v_add_f32_e32 v12, v12, v14
	v_exp_f32_e32 v12, v12
	v_cvt_i32_f32_e32 v14, v15
	v_cmp_ngt_f32_e64 s[50:51], s84, v8
	v_sub_f32_e32 v3, v3, v10
	v_sub_f32_e32 v1, v1, v10
	v_ldexp_f32 v12, v12, v14
	v_cndmask_b32_e64 v12, 0, v12, s[50:51]
	v_cmp_nlt_f32_e64 s[50:51], s77, v8
	v_cndmask_b32_e64 v12, v168, v12, s[50:51]
	v_add_f32_e32 v14, v7, v12
	v_mov_b32_e32 v8, s87
	v_cndmask_b32_e64 v39, v8, v12, s[48:49]
	v_cndmask_b32_e64 v8, v7, v14, s[48:49]
	v_sub_f32_e32 v7, v9, v10
	v_mul_f32_e32 v9, 0x3fb8aa3b, v7
	v_fma_f32 v12, v7, s82, -v9
	v_rndne_f32_e32 v14, v9
	v_fmac_f32_e32 v12, 0x32a5705f, v7
	v_sub_f32_e32 v9, v9, v14
	v_add_f32_e32 v9, v9, v12
	v_exp_f32_e32 v9, v9
	v_cvt_i32_f32_e32 v12, v14
	v_cmp_ngt_f32_e64 s[48:49], s84, v7
	s_lshl_b64 s[30:31], s[30:31], 2
	s_add_u32 s30, s93, s30
	v_ldexp_f32 v9, v9, v12
	v_cndmask_b32_e64 v9, 0, v9, s[48:49]
	v_cmp_nlt_f32_e64 s[48:49], s77, v7
	v_cndmask_b32_e64 v9, v168, v9, s[48:49]
	v_mov_b32_e32 v7, s87
	v_add_f32_e32 v12, v8, v9
	v_cndmask_b32_e64 v7, v7, v9, s[46:47]
	v_mul_f32_e32 v9, 0x3fb8aa3b, v2
	v_cndmask_b32_e64 v8, v8, v12, s[46:47]
	v_fma_f32 v12, v2, s82, -v9
	v_rndne_f32_e32 v14, v9
	v_fmac_f32_e32 v12, 0x32a5705f, v2
	v_sub_f32_e32 v9, v9, v14
	v_add_f32_e32 v9, v9, v12
	v_exp_f32_e32 v9, v9
	v_cvt_i32_f32_e32 v12, v14
	v_cmp_ngt_f32_e64 s[46:47], s84, v2
	s_addc_u32 s31, s80, s31
	buffer_store_dword v134, off, s[0:3], 0
	buffer_store_dword v134, off, s[0:3], 0 offset:4
	buffer_store_dword v134, off, s[0:3], 0 offset:8
	;; [unrolled: 1-line block ×3, first 2 shown]
	v_ldexp_f32 v9, v9, v12
	v_cndmask_b32_e64 v9, 0, v9, s[46:47]
	v_cmp_nlt_f32_e64 s[46:47], s77, v2
	v_cndmask_b32_e64 v9, v168, v9, s[46:47]
	v_add_f32_e32 v12, v9, v8
	v_mov_b32_e32 v2, s87
	v_cndmask_b32_e64 v42, v2, v9, s[44:45]
	v_cndmask_b32_e64 v2, v8, v12, s[44:45]
	v_mul_f32_e32 v8, 0x3fb8aa3b, v3
	v_fma_f32 v9, v3, s82, -v8
	v_rndne_f32_e32 v12, v8
	v_fmac_f32_e32 v9, 0x32a5705f, v3
	v_sub_f32_e32 v8, v8, v12
	v_add_f32_e32 v8, v8, v9
	v_exp_f32_e32 v8, v8
	v_cvt_i32_f32_e32 v9, v12
	v_cmp_ngt_f32_e64 s[44:45], s84, v3
	s_cmp_eq_u64 s[8:9], 0
	v_ldexp_f32 v8, v8, v9
	v_cndmask_b32_e64 v8, 0, v8, s[44:45]
	v_cmp_nlt_f32_e64 s[44:45], s77, v3
	v_cndmask_b32_e64 v8, v168, v8, s[44:45]
	v_add_f32_e32 v9, v8, v2
	v_mov_b32_e32 v3, s87
	v_cndmask_b32_e64 v43, v3, v8, s[42:43]
	v_cndmask_b32_e64 v3, v2, v9, s[42:43]
	v_sub_f32_e32 v2, v4, v10
	v_mul_f32_e32 v4, 0x3fb8aa3b, v2
	v_fma_f32 v8, v2, s82, -v4
	v_rndne_f32_e32 v9, v4
	v_fmac_f32_e32 v8, 0x32a5705f, v2
	v_sub_f32_e32 v4, v4, v9
	v_add_f32_e32 v4, v4, v8
	v_exp_f32_e32 v4, v4
	v_cvt_i32_f32_e32 v8, v9
	v_cmp_ngt_f32_e64 s[42:43], s84, v2
	v_ldexp_f32 v4, v4, v8
	v_cndmask_b32_e64 v4, 0, v4, s[42:43]
	v_cmp_nlt_f32_e64 s[42:43], s77, v2
	v_cndmask_b32_e64 v4, v168, v4, s[42:43]
	v_add_f32_e32 v8, v4, v3
	v_mov_b32_e32 v2, s87
	v_cndmask_b32_e64 v44, v2, v4, s[40:41]
	v_cndmask_b32_e64 v2, v3, v8, s[40:41]
	v_sub_f32_e32 v3, v5, v10
	v_mul_f32_e32 v4, 0x3fb8aa3b, v3
	v_fma_f32 v5, v3, s82, -v4
	v_rndne_f32_e32 v8, v4
	v_fmac_f32_e32 v5, 0x32a5705f, v3
	v_sub_f32_e32 v4, v4, v8
	v_add_f32_e32 v4, v4, v5
	v_exp_f32_e32 v4, v4
	v_cvt_i32_f32_e32 v5, v8
	v_cmp_ngt_f32_e64 s[40:41], s84, v3
	v_ldexp_f32 v4, v4, v5
	v_cndmask_b32_e64 v4, 0, v4, s[40:41]
	v_cmp_nlt_f32_e64 s[40:41], s77, v3
	v_cndmask_b32_e64 v4, v168, v4, s[40:41]
	v_add_f32_e32 v5, v4, v2
	v_mov_b32_e32 v3, s87
	v_cndmask_b32_e32 v14, v2, v5, vcc
	v_mul_f32_e32 v2, 0x3fb8aa3b, v1
	v_cndmask_b32_e32 v3, v3, v4, vcc
	v_fma_f32 v4, v1, s82, -v2
	v_rndne_f32_e32 v5, v2
	v_fmac_f32_e32 v4, 0x32a5705f, v1
	v_sub_f32_e32 v2, v2, v5
	v_add_f32_e32 v2, v2, v4
	v_exp_f32_e32 v2, v2
	v_cvt_i32_f32_e32 v4, v5
	v_cmp_ngt_f32_e32 vcc, s84, v1
	v_cvt_f16_f32_e32 v5, v7
	v_cvt_f16_f32_e32 v3, v3
	v_ldexp_f32 v2, v2, v4
	v_cndmask_b32_e32 v2, 0, v2, vcc
	v_cmp_nlt_f32_e32 vcc, s77, v1
	v_cndmask_b32_e32 v2, v168, v2, vcc
	v_cmp_le_f32_e32 vcc, s85, v1
	v_cndmask_b32_e32 v1, 0, v2, vcc
	v_cvt_f16_f32_e32 v2, v1
	v_fmac_f32_e32 v14, v16, v1
	v_cvt_f16_f32_e32 v4, v23
	v_mov_b32_e32 v7, s31
	v_pk_mul_f16 v19, v2, v61 op_sel_hi:[0,1]
	v_pk_mul_f16 v1, v2, v62 op_sel_hi:[0,1]
	;; [unrolled: 1-line block ×8, first 2 shown]
	v_cvt_f16_f32_e32 v2, v6
	v_cvt_f16_f32_e32 v6, v43
	v_mov_b32_e32 v23, s89
	v_readlane_b32 s40, v187, 52
	v_pack_b32_f16 v4, v2, v4
	v_cvt_f16_f32_e32 v2, v39
	v_mov_b32_e32 v39, s88
	v_readlane_b32 s41, v187, 53
	v_pack_b32_f16 v5, v2, v5
	v_cvt_f16_f32_e32 v2, v42
	v_pack_b32_f16 v2, v2, v6
	v_cvt_f16_f32_e32 v6, v44
	v_pack_b32_f16 v3, v6, v3
	v_add_co_u32_e32 v6, vcc, s30, v28
	v_addc_co_u32_e32 v7, vcc, v7, v29, vcc
	v_add_co_u32_e32 v6, vcc, v6, v21
	v_addc_co_u32_e32 v7, vcc, 0, v7, vcc
	v_cndmask_b32_e64 v43, v23, v7, s[36:37]
	v_cndmask_b32_e64 v42, v39, v6, s[36:37]
	flat_load_dwordx4 v[42:45], v[42:43]
	v_add_co_u32_e32 v6, vcc, s30, v30
	v_mov_b32_e32 v7, s31
	v_addc_co_u32_e32 v7, vcc, v7, v31, vcc
	v_add_co_u32_e32 v6, vcc, v6, v21
	v_addc_co_u32_e32 v7, vcc, 0, v7, vcc
	v_cndmask_b32_e64 v7, v23, v7, s[38:39]
	v_cndmask_b32_e64 v6, v39, v6, s[38:39]
	s_cselect_b64 s[30:31], -1, 0
	s_xor_b64 s[36:37], s[40:41], -1
	s_or_b64 s[30:31], s[36:37], s[30:31]
	s_waitcnt vmcnt(0) lgkmcnt(0)
	ds_write_b128 v77, v[42:45]
	flat_load_dwordx4 v[42:45], v[6:7]
	s_waitcnt vmcnt(0) lgkmcnt(0)
	ds_write_b128 v150, v[42:45]
	s_waitcnt lgkmcnt(0)
	s_barrier
	ds_read_u16 v6, v81 offset:144
	ds_read_u16 v7, v81 offset:288
	v_cvt_f32_f16_e32 v42, v19
	v_cvt_f32_f16_sdwa v43, v19 dst_sel:DWORD dst_unused:UNUSED_PAD src0_sel:WORD_1
	v_cvt_f32_f16_e32 v44, v1
	v_cvt_f32_f16_sdwa v45, v1 dst_sel:DWORD dst_unused:UNUSED_PAD src0_sel:WORD_1
	ds_read_u16 v1, v82
	ds_read_u16 v19, v82 offset:32
	s_waitcnt lgkmcnt(1)
	v_perm_b32 v7, v1, v7, s26
	ds_read_u16 v1, v80
	ds_read_u16 v21, v80 offset:32
	ds_read_u16 v39, v80 offset:4608
	;; [unrolled: 1-line block ×5, first 2 shown]
	s_waitcnt lgkmcnt(5)
	v_perm_b32 v6, v6, v1, s26
	s_nop 1
	v_mfma_f32_16x16x16f16 v[42:45], v[6:7], v[4:5], v[42:45]
	s_nop 7
	s_nop 2
	v_cvt_f16_f32_e32 v6, v43
	v_cvt_f16_f32_e32 v7, v44
	;; [unrolled: 1-line block ×4, first 2 shown]
	v_cvt_f32_f16_e32 v43, v6
	v_cvt_f32_f16_e32 v44, v7
	s_waitcnt lgkmcnt(0)
	v_perm_b32 v7, v48, v47, s26
	v_perm_b32 v6, v46, v39, s26
	v_cvt_f32_f16_e32 v42, v1
	v_cvt_f32_f16_e32 v45, v23
	s_nop 1
	v_mfma_f32_16x16x16f16 v[42:45], v[6:7], v[2:3], v[42:45]
	s_nop 7
	s_nop 2
	v_cvt_f16_f32_e32 v1, v42
	v_cvt_f16_f32_e32 v6, v43
	;; [unrolled: 1-line block ×4, first 2 shown]
	v_cvt_f32_f16_e32 v42, v17
	v_pack_b32_f16 v6, v1, v6
	v_cvt_f32_f16_sdwa v43, v17 dst_sel:DWORD dst_unused:UNUSED_PAD src0_sel:WORD_1
	v_pack_b32_f16 v1, v7, v23
	ds_read_u16 v7, v152 offset:144
	ds_read_u16 v23, v152 offset:288
	v_cvt_f32_f16_e32 v44, v8
	v_cvt_f32_f16_sdwa v45, v8 dst_sel:DWORD dst_unused:UNUSED_PAD src0_sel:WORD_1
	s_waitcnt lgkmcnt(1)
	v_perm_b32 v46, v7, v21, s26
	s_waitcnt lgkmcnt(0)
	v_perm_b32 v47, v19, v23, s26
	s_nop 1
	v_mfma_f32_16x16x16f16 v[42:45], v[46:47], v[4:5], v[42:45]
	ds_read_u16 v21, v83 offset:4608
	ds_read_u16 v23, v84 offset:144
	;; [unrolled: 1-line block ×4, first 2 shown]
	s_waitcnt lgkmcnt(0)
	v_perm_b32 v47, v46, v39, s26
	v_perm_b32 v46, v23, v21, s26
	s_nop 3
	v_cvt_f16_f32_e32 v7, v42
	v_cvt_f16_f32_e32 v8, v43
	;; [unrolled: 1-line block ×4, first 2 shown]
	v_cvt_f32_f16_e32 v42, v7
	v_cvt_f32_f16_e32 v43, v8
	;; [unrolled: 1-line block ×4, first 2 shown]
	s_nop 1
	v_mfma_f32_16x16x16f16 v[42:45], v[46:47], v[2:3], v[42:45]
	s_nop 7
	s_nop 2
	v_cvt_f16_f32_e32 v7, v42
	v_cvt_f16_f32_e32 v8, v43
	;; [unrolled: 1-line block ×4, first 2 shown]
	v_cvt_f32_f16_e32 v42, v12
	v_pack_b32_f16 v8, v7, v8
	v_cvt_f32_f16_sdwa v43, v12 dst_sel:DWORD dst_unused:UNUSED_PAD src0_sel:WORD_1
	v_pack_b32_f16 v7, v17, v19
	ds_read_u16 v17, v80 offset:64
	ds_read_u16 v19, v154 offset:144
	;; [unrolled: 1-line block ×4, first 2 shown]
	v_cvt_f32_f16_e32 v44, v9
	v_cvt_f32_f16_sdwa v45, v9 dst_sel:DWORD dst_unused:UNUSED_PAD src0_sel:WORD_1
	s_waitcnt lgkmcnt(2)
	v_perm_b32 v46, v19, v17, s26
	s_waitcnt lgkmcnt(0)
	v_perm_b32 v47, v23, v21, s26
	s_nop 1
	v_mfma_f32_16x16x16f16 v[42:45], v[46:47], v[4:5], v[42:45]
	ds_read_u16 v21, v86 offset:4608
	ds_read_u16 v23, v87 offset:144
	;; [unrolled: 1-line block ×4, first 2 shown]
	s_waitcnt lgkmcnt(0)
	v_perm_b32 v47, v46, v39, s26
	v_perm_b32 v46, v23, v21, s26
	s_nop 3
	v_cvt_f16_f32_e32 v9, v42
	v_cvt_f16_f32_e32 v12, v43
	;; [unrolled: 1-line block ×4, first 2 shown]
	v_cvt_f32_f16_e32 v42, v9
	v_cvt_f32_f16_e32 v43, v12
	v_cvt_f32_f16_e32 v44, v17
	v_cvt_f32_f16_e32 v45, v19
	s_nop 1
	v_mfma_f32_16x16x16f16 v[42:45], v[46:47], v[2:3], v[42:45]
	s_nop 7
	s_nop 2
	v_cvt_f16_f32_e32 v9, v42
	v_cvt_f16_f32_e32 v12, v43
	;; [unrolled: 1-line block ×4, first 2 shown]
	v_cvt_f32_f16_e32 v42, v16
	v_pack_b32_f16 v12, v9, v12
	v_cvt_f32_f16_sdwa v43, v16 dst_sel:DWORD dst_unused:UNUSED_PAD src0_sel:WORD_1
	v_pack_b32_f16 v9, v17, v19
	ds_read_u16 v19, v80 offset:96
	ds_read_u16 v21, v156 offset:144
	;; [unrolled: 1-line block ×4, first 2 shown]
	v_cvt_f32_f16_e32 v44, v15
	v_cvt_f32_f16_sdwa v45, v15 dst_sel:DWORD dst_unused:UNUSED_PAD src0_sel:WORD_1
	s_waitcnt lgkmcnt(2)
	v_perm_b32 v16, v21, v19, s26
	s_waitcnt lgkmcnt(0)
	v_perm_b32 v17, v23, v17, s26
	s_nop 1
	v_mfma_f32_16x16x16f16 v[42:45], v[16:17], v[4:5], v[42:45]
	ds_read_u16 v17, v89 offset:4608
	ds_read_u16 v19, v90 offset:144
	;; [unrolled: 1-line block ×4, first 2 shown]
	s_waitcnt lgkmcnt(0)
	s_barrier
	s_nop 4
	v_cvt_f16_f32_e32 v4, v42
	v_cvt_f16_f32_e32 v5, v43
	;; [unrolled: 1-line block ×4, first 2 shown]
	v_cvt_f32_f16_e32 v42, v4
	v_cvt_f32_f16_e32 v43, v5
	v_perm_b32 v5, v23, v21, s26
	v_perm_b32 v4, v19, v17, s26
	v_cvt_f32_f16_e32 v44, v15
	v_cvt_f32_f16_e32 v45, v16
	s_nop 1
	v_mfma_f32_16x16x16f16 v[2:5], v[4:5], v[2:3], v[42:45]
	s_nop 7
	s_nop 2
	v_cvt_f16_f32_e32 v2, v2
	v_cvt_f16_f32_e32 v3, v3
	;; [unrolled: 1-line block ×4, first 2 shown]
	v_pack_b32_f16 v2, v2, v3
	v_pack_b32_f16 v3, v4, v5
	ds_bpermute_b32 v4, v11, v14
	s_waitcnt lgkmcnt(0)
	v_add_f32_e32 v4, v14, v4
	ds_bpermute_b32 v5, v13, v4
	s_waitcnt lgkmcnt(0)
	v_add_f32_e32 v11, v4, v5
	s_and_saveexec_b64 s[36:37], s[30:31]
	s_xor_b64 s[30:31], exec, s[36:37]
	s_andn2_saveexec_b64 s[30:31], s[30:31]
	s_cbranch_execz .LBB0_66
; %bb.65:                               ;   in Loop: Header=BB0_14 Depth=1
	global_load_dword v5, v134, s[8:9]
	v_max_f32_e32 v14, v10, v10
	s_waitcnt vmcnt(0)
	v_max_f32_e32 v4, v5, v5
	v_max_f32_e32 v4, v14, v4
	v_sub_f32_e32 v10, v10, v4
	v_mul_f32_e32 v14, 0x3fb8aa3b, v10
	v_fma_f32 v15, v10, s82, -v14
	v_rndne_f32_e32 v16, v14
	v_fmac_f32_e32 v15, 0x32a5705f, v10
	v_sub_f32_e32 v14, v14, v16
	v_add_f32_e32 v14, v14, v15
	v_exp_f32_e32 v14, v14
	v_cvt_i32_f32_e32 v15, v16
	v_cmp_ngt_f32_e32 vcc, s84, v10
	v_sub_f32_e32 v5, v5, v4
	v_ldexp_f32 v14, v14, v15
	v_cndmask_b32_e32 v14, 0, v14, vcc
	v_cmp_nlt_f32_e32 vcc, s77, v10
	v_cndmask_b32_e32 v14, v168, v14, vcc
	v_cmp_le_f32_e32 vcc, s85, v10
	v_cndmask_b32_e32 v10, 0, v14, vcc
	v_cvt_f16_f32_e32 v14, v10
	v_cmp_ngt_f32_e32 vcc, s84, v5
	v_pk_mul_f16 v6, v14, v6 op_sel_hi:[0,1]
	v_pk_mul_f16 v1, v14, v1 op_sel_hi:[0,1]
	v_pk_mul_f16 v8, v14, v8 op_sel_hi:[0,1]
	v_pk_mul_f16 v7, v14, v7 op_sel_hi:[0,1]
	v_pk_mul_f16 v12, v14, v12 op_sel_hi:[0,1]
	v_pk_mul_f16 v9, v14, v9 op_sel_hi:[0,1]
	v_pk_mul_f16 v2, v14, v2 op_sel_hi:[0,1]
	v_pk_mul_f16 v3, v14, v3 op_sel_hi:[0,1]
	v_mul_f32_e32 v14, 0x3fb8aa3b, v5
	v_fma_f32 v15, v5, s82, -v14
	v_rndne_f32_e32 v16, v14
	v_fmac_f32_e32 v15, 0x32a5705f, v5
	v_sub_f32_e32 v14, v14, v16
	v_add_f32_e32 v14, v14, v15
	v_exp_f32_e32 v14, v14
	v_cvt_i32_f32_e32 v15, v16
	v_ldexp_f32 v14, v14, v15
	v_cndmask_b32_e32 v14, 0, v14, vcc
	v_cmp_nlt_f32_e32 vcc, s77, v5
	v_cndmask_b32_e32 v5, v168, v14, vcc
	v_fmac_f32_e32 v5, v11, v10
	v_pk_mov_b32 v[10:11], v[4:5], v[4:5] op_sel:[0,1]
.LBB0_66:                               ;   in Loop: Header=BB0_14 Depth=1
	s_or_b64 exec, exec, s[30:31]
	s_mov_b64 s[30:31], exec
	v_readlane_b32 s36, v187, 56
	v_readlane_b32 s37, v187, 57
	s_and_b64 s[36:37], s[30:31], s[36:37]
	v_readlane_b32 s45, v187, 62
	s_mov_b64 exec, s[36:37]
	s_cbranch_execz .LBB0_68
; %bb.67:                               ;   in Loop: Header=BB0_14 Depth=1
	v_add_u32_e32 v4, 0, v106
	ds_write2_b32 v4, v10, v11 offset0:32 offset1:33
.LBB0_68:                               ;   in Loop: Header=BB0_14 Depth=1
	s_or_b64 exec, exec, s[30:31]
	s_waitcnt lgkmcnt(0)
	s_barrier
	s_mov_b64 s[30:31], exec
	v_readlane_b32 s36, v187, 54
	v_readlane_b32 s37, v187, 55
	s_and_b64 s[36:37], s[30:31], s[36:37]
	s_xor_b64 s[30:31], s[36:37], s[30:31]
	s_mov_b64 exec, s[36:37]
	s_cbranch_execz .LBB0_70
; %bb.69:                               ;   in Loop: Header=BB0_14 Depth=1
	s_barrier
	s_waitcnt lgkmcnt(0)
                                        ; implicit-def: $vgpr13
.LBB0_70:                               ;   in Loop: Header=BB0_14 Depth=1
	s_andn2_saveexec_b64 s[30:31], s[30:31]
	s_cbranch_execz .LBB0_76
; %bb.71:                               ;   in Loop: Header=BB0_14 Depth=1
	v_add_u32_e32 v5, 0, v107
	ds_read_b64 v[14:15], v5 offset:128
	s_waitcnt lgkmcnt(0)
	s_barrier
	ds_bpermute_b32 v4, v13, v14
	v_max_f32_e32 v10, v14, v14
	s_waitcnt lgkmcnt(0)
	v_max_f32_e32 v4, v4, v4
	v_max_f32_e32 v4, v10, v4
	v_sub_f32_e32 v10, v14, v4
	v_mul_f32_e32 v11, 0x3fb8aa3b, v10
	v_fma_f32 v14, v10, s82, -v11
	v_rndne_f32_e32 v16, v11
	v_fmac_f32_e32 v14, 0x32a5705f, v10
	v_sub_f32_e32 v11, v11, v16
	v_add_f32_e32 v11, v11, v14
	v_cvt_i32_f32_e32 v16, v16
	v_exp_f32_e32 v11, v11
	v_cmp_ngt_f32_e32 vcc, s84, v10
	v_ldexp_f32 v11, v11, v16
	v_cndmask_b32_e32 v11, 0, v11, vcc
	v_cmp_nlt_f32_e32 vcc, s77, v10
	v_cndmask_b32_e32 v10, v168, v11, vcc
	v_mul_f32_e32 v11, v15, v10
	ds_bpermute_b32 v11, v13, v11
	s_waitcnt lgkmcnt(0)
	v_fmac_f32_e32 v11, v15, v10
	s_mov_b64 s[36:37], exec
	v_readlane_b32 s38, v187, 58
	v_readlane_b32 s39, v187, 59
	s_and_b64 s[38:39], s[36:37], s[38:39]
	s_mov_b64 exec, s[38:39]
	s_cbranch_execz .LBB0_73
; %bb.72:                               ;   in Loop: Header=BB0_14 Depth=1
	ds_write_b64 v5, v[10:11] offset:128
.LBB0_73:                               ;   in Loop: Header=BB0_14 Depth=1
	s_or_b64 exec, exec, s[36:37]
	s_mov_b64 s[36:37], exec
	v_readlane_b32 s38, v187, 56
	v_readlane_b32 s39, v187, 57
	s_and_b64 s[38:39], s[36:37], s[38:39]
	s_mov_b64 exec, s[38:39]
	s_cbranch_execz .LBB0_75
; %bb.74:                               ;   in Loop: Header=BB0_14 Depth=1
	v_mov_b32_e32 v5, v11
	global_store_dwordx2 v[24:25], v[4:5], off
.LBB0_75:                               ;   in Loop: Header=BB0_14 Depth=1
	s_or_b64 exec, exec, s[36:37]
.LBB0_76:                               ;   in Loop: Header=BB0_14 Depth=1
	s_or_b64 exec, exec, s[30:31]
	ds_write2_b32 v108, v6, v1 offset1:1
	ds_write2_b32 v108, v8, v7 offset0:8 offset1:9
	ds_write2_b32 v108, v12, v9 offset0:16 offset1:17
	ds_write2_b32 v108, v2, v3 offset0:24 offset1:25
	s_waitcnt lgkmcnt(0)
	s_barrier
	s_and_saveexec_b64 s[30:31], s[40:41]
	s_cbranch_execz .LBB0_114
; %bb.77:                               ;   in Loop: Header=BB0_14 Depth=1
	v_add_u32_e32 v2, s99, v92
	v_cmp_gt_i32_e32 vcc, s76, v2
	v_mov_b32_e32 v1, 0x47
	s_and_saveexec_b64 s[36:37], vcc
	s_cbranch_execz .LBB0_79
; %bb.78:                               ;   in Loop: Header=BB0_14 Depth=1
	v_readlane_b32 s38, v187, 42
	v_mul_lo_u32 v1, s38, v2
	v_add_u32_e32 v2, 0, v110
	v_add_u32_e32 v2, 0x80, v2
	ds_read2st64_b32 v[2:3], v2 offset1:9
	ds_read2st64_b32 v[4:5], v111 offset1:9
	v_or_b32_e32 v6, v1, v26
	v_ashrrev_i32_e32 v7, 31, v6
	v_lshlrev_b64 v[6:7], 3, v[6:7]
	v_readlane_b32 s38, v186, 0
	s_waitcnt lgkmcnt(0)
	v_cvt_f32_f16_sdwa v9, v4 dst_sel:DWORD dst_unused:UNUSED_PAD src0_sel:WORD_1
	v_cvt_f32_f16_e32 v8, v4
	v_cvt_f32_f16_sdwa v11, v5 dst_sel:DWORD dst_unused:UNUSED_PAD src0_sel:WORD_1
	v_cvt_f32_f16_e32 v10, v5
	v_add_co_u32_e32 v6, vcc, s38, v6
	v_readlane_b32 s38, v186, 1
	v_mov_b32_e32 v1, s38
	v_pk_fma_f32 v[8:9], v[2:3], v[8:9], 0 op_sel_hi:[0,1,0]
	v_mov_b32_e32 v2, v3
	v_addc_co_u32_e32 v7, vcc, v1, v7, vcc
	v_pk_fma_f32 v[2:3], v[2:3], v[10:11], v[8:9] op_sel_hi:[0,1,1]
	v_mov_b32_e32 v1, 0
	global_store_dwordx2 v[6:7], v[2:3], off
.LBB0_79:                               ;   in Loop: Header=BB0_14 Depth=1
	s_or_b64 exec, exec, s[36:37]
	s_movk_i32 s36, 0x47
	v_cmp_gt_i32_e32 vcc, s36, v1
	s_mov_b64 s[36:37], -1
	s_and_saveexec_b64 s[38:39], vcc
; %bb.80:                               ;   in Loop: Header=BB0_14 Depth=1
	v_cmp_eq_u32_e32 vcc, 0, v1
	s_orn2_b64 s[36:37], vcc, exec
; %bb.81:                               ;   in Loop: Header=BB0_14 Depth=1
	s_or_b64 exec, exec, s[38:39]
	s_and_b64 exec, exec, s[36:37]
	s_cbranch_execz .LBB0_114
; %bb.82:                               ;   in Loop: Header=BB0_14 Depth=1
	v_add_u32_e32 v2, s99, v93
	v_cmp_gt_i32_e32 vcc, s76, v2
	v_mov_b32_e32 v1, 0x47
	s_and_saveexec_b64 s[36:37], vcc
	s_cbranch_execz .LBB0_84
; %bb.83:                               ;   in Loop: Header=BB0_14 Depth=1
	v_readlane_b32 s38, v187, 42
	v_mul_lo_u32 v1, s38, v2
	v_add_u32_e32 v2, 0, v112
	v_add_u32_e32 v2, 0x80, v2
	ds_read2st64_b32 v[2:3], v2 offset1:9
	ds_read2st64_b32 v[4:5], v113 offset1:9
	v_or_b32_e32 v6, v1, v26
	v_ashrrev_i32_e32 v7, 31, v6
	v_lshlrev_b64 v[6:7], 3, v[6:7]
	v_readlane_b32 s38, v186, 0
	s_waitcnt lgkmcnt(0)
	v_cvt_f32_f16_sdwa v9, v4 dst_sel:DWORD dst_unused:UNUSED_PAD src0_sel:WORD_1
	v_cvt_f32_f16_e32 v8, v4
	v_cvt_f32_f16_sdwa v11, v5 dst_sel:DWORD dst_unused:UNUSED_PAD src0_sel:WORD_1
	v_cvt_f32_f16_e32 v10, v5
	v_add_co_u32_e32 v6, vcc, s38, v6
	v_readlane_b32 s38, v186, 1
	v_mov_b32_e32 v1, s38
	v_pk_fma_f32 v[8:9], v[2:3], v[8:9], 0 op_sel_hi:[0,1,0]
	v_mov_b32_e32 v2, v3
	v_addc_co_u32_e32 v7, vcc, v1, v7, vcc
	v_pk_fma_f32 v[2:3], v[2:3], v[10:11], v[8:9] op_sel_hi:[0,1,1]
	v_mov_b32_e32 v1, 0
	global_store_dwordx2 v[6:7], v[2:3], off
.LBB0_84:                               ;   in Loop: Header=BB0_14 Depth=1
	s_or_b64 exec, exec, s[36:37]
	s_movk_i32 s36, 0x47
	v_cmp_gt_i32_e32 vcc, s36, v1
	s_mov_b64 s[36:37], -1
	s_and_saveexec_b64 s[38:39], vcc
; %bb.85:                               ;   in Loop: Header=BB0_14 Depth=1
	v_cmp_eq_u32_e32 vcc, 0, v1
	s_orn2_b64 s[36:37], vcc, exec
; %bb.86:                               ;   in Loop: Header=BB0_14 Depth=1
	s_or_b64 exec, exec, s[38:39]
	s_and_b64 exec, exec, s[36:37]
	;; [unrolled: 44-line block ×4, first 2 shown]
	s_cbranch_execz .LBB0_114
; %bb.97:                               ;   in Loop: Header=BB0_14 Depth=1
	v_add_u32_e32 v2, s99, v96
	v_cmp_gt_i32_e32 vcc, s76, v2
	v_mov_b32_e32 v1, 0x47
	s_and_saveexec_b64 s[36:37], vcc
	s_cbranch_execz .LBB0_99
; %bb.98:                               ;   in Loop: Header=BB0_14 Depth=1
	v_readlane_b32 s38, v187, 42
	v_mul_lo_u32 v1, s38, v2
	v_add_u32_e32 v2, 0, v118
	v_add_u32_e32 v2, 0x80, v2
	ds_read2st64_b32 v[2:3], v2 offset1:9
	ds_read2st64_b32 v[4:5], v119 offset1:9
	v_or_b32_e32 v6, v1, v26
	v_ashrrev_i32_e32 v7, 31, v6
	v_lshlrev_b64 v[6:7], 3, v[6:7]
	v_readlane_b32 s38, v186, 0
	s_waitcnt lgkmcnt(0)
	v_cvt_f32_f16_sdwa v9, v4 dst_sel:DWORD dst_unused:UNUSED_PAD src0_sel:WORD_1
	v_cvt_f32_f16_e32 v8, v4
	v_cvt_f32_f16_sdwa v11, v5 dst_sel:DWORD dst_unused:UNUSED_PAD src0_sel:WORD_1
	v_cvt_f32_f16_e32 v10, v5
	v_add_co_u32_e32 v6, vcc, s38, v6
	v_readlane_b32 s38, v186, 1
	v_mov_b32_e32 v1, s38
	v_pk_fma_f32 v[8:9], v[2:3], v[8:9], 0 op_sel_hi:[0,1,0]
	v_mov_b32_e32 v2, v3
	v_addc_co_u32_e32 v7, vcc, v1, v7, vcc
	v_pk_fma_f32 v[2:3], v[2:3], v[10:11], v[8:9] op_sel_hi:[0,1,1]
	v_mov_b32_e32 v1, 0
	global_store_dwordx2 v[6:7], v[2:3], off
.LBB0_99:                               ;   in Loop: Header=BB0_14 Depth=1
	s_or_b64 exec, exec, s[36:37]
	s_movk_i32 s36, 0x47
	v_cmp_gt_i32_e32 vcc, s36, v1
	s_mov_b64 s[36:37], -1
	s_and_saveexec_b64 s[38:39], vcc
; %bb.100:                              ;   in Loop: Header=BB0_14 Depth=1
	v_cmp_eq_u32_e32 vcc, 0, v1
	s_orn2_b64 s[36:37], vcc, exec
; %bb.101:                              ;   in Loop: Header=BB0_14 Depth=1
	s_or_b64 exec, exec, s[38:39]
	s_and_b64 exec, exec, s[36:37]
	s_cbranch_execz .LBB0_114
; %bb.102:                              ;   in Loop: Header=BB0_14 Depth=1
	v_add_u32_e32 v2, s99, v97
	v_cmp_gt_i32_e32 vcc, s76, v2
	v_mov_b32_e32 v1, 0x47
	s_and_saveexec_b64 s[36:37], vcc
	s_cbranch_execz .LBB0_104
; %bb.103:                              ;   in Loop: Header=BB0_14 Depth=1
	v_readlane_b32 s38, v187, 42
	v_mul_lo_u32 v1, s38, v2
	v_add_u32_e32 v2, 0, v120
	v_add_u32_e32 v2, 0x80, v2
	ds_read2st64_b32 v[2:3], v2 offset1:9
	ds_read2st64_b32 v[4:5], v121 offset1:9
	v_or_b32_e32 v6, v1, v26
	v_ashrrev_i32_e32 v7, 31, v6
	v_lshlrev_b64 v[6:7], 3, v[6:7]
	v_readlane_b32 s38, v186, 0
	s_waitcnt lgkmcnt(0)
	v_cvt_f32_f16_sdwa v9, v4 dst_sel:DWORD dst_unused:UNUSED_PAD src0_sel:WORD_1
	v_cvt_f32_f16_e32 v8, v4
	v_cvt_f32_f16_sdwa v11, v5 dst_sel:DWORD dst_unused:UNUSED_PAD src0_sel:WORD_1
	v_cvt_f32_f16_e32 v10, v5
	v_add_co_u32_e32 v6, vcc, s38, v6
	v_readlane_b32 s38, v186, 1
	v_mov_b32_e32 v1, s38
	v_pk_fma_f32 v[8:9], v[2:3], v[8:9], 0 op_sel_hi:[0,1,0]
	v_mov_b32_e32 v2, v3
	v_addc_co_u32_e32 v7, vcc, v1, v7, vcc
	v_pk_fma_f32 v[2:3], v[2:3], v[10:11], v[8:9] op_sel_hi:[0,1,1]
	v_mov_b32_e32 v1, 0
	global_store_dwordx2 v[6:7], v[2:3], off
.LBB0_104:                              ;   in Loop: Header=BB0_14 Depth=1
	s_or_b64 exec, exec, s[36:37]
	s_movk_i32 s36, 0x47
	v_cmp_gt_i32_e32 vcc, s36, v1
	s_mov_b64 s[36:37], -1
	s_and_saveexec_b64 s[38:39], vcc
; %bb.105:                              ;   in Loop: Header=BB0_14 Depth=1
	v_cmp_eq_u32_e32 vcc, 0, v1
	s_orn2_b64 s[36:37], vcc, exec
; %bb.106:                              ;   in Loop: Header=BB0_14 Depth=1
	s_or_b64 exec, exec, s[38:39]
	s_and_b64 exec, exec, s[36:37]
	s_cbranch_execz .LBB0_114
; %bb.107:                              ;   in Loop: Header=BB0_14 Depth=1
	v_add_u32_e32 v2, s99, v98
	v_cmp_gt_i32_e32 vcc, s76, v2
	v_mov_b32_e32 v1, 0x47
	s_and_saveexec_b64 s[36:37], vcc
	s_cbranch_execz .LBB0_109
; %bb.108:                              ;   in Loop: Header=BB0_14 Depth=1
	v_readlane_b32 s38, v187, 42
	v_mul_lo_u32 v1, s38, v2
	v_add_u32_e32 v2, 0, v122
	v_add_u32_e32 v2, 0x80, v2
	ds_read2st64_b32 v[2:3], v2 offset1:9
	ds_read2st64_b32 v[4:5], v123 offset1:9
	v_or_b32_e32 v6, v1, v26
	v_ashrrev_i32_e32 v7, 31, v6
	v_lshlrev_b64 v[6:7], 3, v[6:7]
	v_readlane_b32 s38, v186, 0
	s_waitcnt lgkmcnt(0)
	v_cvt_f32_f16_sdwa v9, v4 dst_sel:DWORD dst_unused:UNUSED_PAD src0_sel:WORD_1
	v_cvt_f32_f16_e32 v8, v4
	v_cvt_f32_f16_sdwa v11, v5 dst_sel:DWORD dst_unused:UNUSED_PAD src0_sel:WORD_1
	v_cvt_f32_f16_e32 v10, v5
	v_add_co_u32_e32 v6, vcc, s38, v6
	v_readlane_b32 s38, v186, 1
	v_mov_b32_e32 v1, s38
	v_pk_fma_f32 v[8:9], v[2:3], v[8:9], 0 op_sel_hi:[0,1,0]
	v_mov_b32_e32 v2, v3
	v_addc_co_u32_e32 v7, vcc, v1, v7, vcc
	v_pk_fma_f32 v[2:3], v[2:3], v[10:11], v[8:9] op_sel_hi:[0,1,1]
	v_mov_b32_e32 v1, 0
	global_store_dwordx2 v[6:7], v[2:3], off
.LBB0_109:                              ;   in Loop: Header=BB0_14 Depth=1
	s_or_b64 exec, exec, s[36:37]
	s_movk_i32 s36, 0x47
	v_cmp_gt_i32_e32 vcc, s36, v1
	s_mov_b64 s[36:37], -1
	s_and_saveexec_b64 s[38:39], vcc
; %bb.110:                              ;   in Loop: Header=BB0_14 Depth=1
	v_cmp_eq_u32_e32 vcc, 0, v1
	s_orn2_b64 s[36:37], vcc, exec
; %bb.111:                              ;   in Loop: Header=BB0_14 Depth=1
	s_or_b64 exec, exec, s[38:39]
	s_and_b64 exec, exec, s[36:37]
	s_cbranch_execz .LBB0_114
; %bb.112:                              ;   in Loop: Header=BB0_14 Depth=1
	v_add_u32_e32 v1, s99, v99
	v_cmp_gt_i32_e32 vcc, s76, v1
	s_and_b64 exec, exec, vcc
	s_cbranch_execz .LBB0_114
; %bb.113:                              ;   in Loop: Header=BB0_14 Depth=1
	v_add_u32_e32 v2, 0, v124
	v_add_u32_e32 v2, 0x80, v2
	ds_read2st64_b32 v[2:3], v2 offset1:9
	ds_read2st64_b32 v[4:5], v125 offset1:9
	v_readlane_b32 s36, v187, 42
	v_mul_lo_u32 v1, s36, v1
	v_or_b32_e32 v6, v1, v26
	v_ashrrev_i32_e32 v7, 31, v6
	s_waitcnt lgkmcnt(0)
	v_cvt_f32_f16_sdwa v9, v4 dst_sel:DWORD dst_unused:UNUSED_PAD src0_sel:WORD_1
	v_cvt_f32_f16_e32 v8, v4
	v_cvt_f32_f16_sdwa v11, v5 dst_sel:DWORD dst_unused:UNUSED_PAD src0_sel:WORD_1
	v_cvt_f32_f16_e32 v10, v5
	v_lshlrev_b64 v[6:7], 3, v[6:7]
	v_readlane_b32 s36, v186, 0
	v_add_co_u32_e32 v6, vcc, s36, v6
	v_readlane_b32 s36, v186, 1
	v_mov_b32_e32 v1, s36
	v_pk_fma_f32 v[8:9], v[2:3], v[8:9], 0 op_sel_hi:[0,1,0]
	v_mov_b32_e32 v2, v3
	v_addc_co_u32_e32 v7, vcc, v1, v7, vcc
	v_pk_fma_f32 v[2:3], v[2:3], v[10:11], v[8:9] op_sel_hi:[0,1,1]
	global_store_dwordx2 v[6:7], v[2:3], off
.LBB0_114:                              ;   in Loop: Header=BB0_14 Depth=1
	s_or_b64 exec, exec, s[30:31]
	s_barrier
	s_branch .LBB0_13
.LBB0_115:                              ;   in Loop: Header=BB0_14 Depth=1
	s_lshl_b32 s29, s29, 5
	v_add_u32_e32 v1, s29, v37
	v_cmp_le_i32_e32 vcc, s76, v1
	s_and_saveexec_b64 s[30:31], vcc
	s_xor_b64 s[30:31], exec, s[30:31]
	s_cbranch_execz .LBB0_117
; %bb.116:                              ;   in Loop: Header=BB0_14 Depth=1
	ds_write_b32 v109, v134
                                        ; implicit-def: $vgpr1
.LBB0_117:                              ;   in Loop: Header=BB0_14 Depth=1
	s_andn2_saveexec_b64 s[30:31], s[30:31]
	s_cbranch_execz .LBB0_119
; %bb.118:                              ;   in Loop: Header=BB0_14 Depth=1
	v_mad_u64_u32 v[2:3], s[36:37], v1, s45, v[26:27]
	v_ashrrev_i32_e32 v3, 31, v2
	v_lshlrev_b64 v[2:3], 3, v[2:3]
	v_mov_b32_e32 v1, s98
	v_add_co_u32_e32 v2, vcc, s86, v2
	v_addc_co_u32_e32 v3, vcc, v1, v3, vcc
	global_load_dwordx2 v[2:3], v[2:3], off
	s_waitcnt vmcnt(0)
	v_cvt_f16_f32_e32 v1, v2
	v_cvt_f16_f32_e32 v2, v3
	v_pack_b32_f16 v1, v1, v2
	v_pk_mul_f16 v1, v27, v1
	ds_write_b32 v109, v1
.LBB0_119:                              ;   in Loop: Header=BB0_14 Depth=1
	s_or_b64 exec, exec, s[30:31]
	v_add_u32_e32 v1, s29, v163
	v_cmp_le_i32_e32 vcc, s76, v1
	s_and_saveexec_b64 s[30:31], vcc
	s_xor_b64 s[30:31], exec, s[30:31]
	s_cbranch_execz .LBB0_121
; %bb.120:                              ;   in Loop: Header=BB0_14 Depth=1
	ds_write_b32 v109, v134 offset:1152
                                        ; implicit-def: $vgpr1
.LBB0_121:                              ;   in Loop: Header=BB0_14 Depth=1
	s_andn2_saveexec_b64 s[30:31], s[30:31]
	s_cbranch_execz .LBB0_123
; %bb.122:                              ;   in Loop: Header=BB0_14 Depth=1
	v_mad_u64_u32 v[2:3], s[36:37], v1, s45, v[26:27]
	v_ashrrev_i32_e32 v3, 31, v2
	v_lshlrev_b64 v[2:3], 3, v[2:3]
	v_mov_b32_e32 v1, s98
	v_add_co_u32_e32 v2, vcc, s86, v2
	v_addc_co_u32_e32 v3, vcc, v1, v3, vcc
	global_load_dwordx2 v[2:3], v[2:3], off
	s_waitcnt vmcnt(0)
	v_cvt_f16_f32_e32 v1, v2
	v_cvt_f16_f32_e32 v2, v3
	v_pack_b32_f16 v1, v1, v2
	v_pk_mul_f16 v1, v27, v1
	ds_write_b32 v109, v1 offset:1152
.LBB0_123:                              ;   in Loop: Header=BB0_14 Depth=1
	s_or_b64 exec, exec, s[30:31]
	v_add_u32_e32 v1, s29, v164
	v_cmp_le_i32_e32 vcc, s76, v1
	s_and_saveexec_b64 s[30:31], vcc
	s_xor_b64 s[30:31], exec, s[30:31]
	s_cbranch_execz .LBB0_125
; %bb.124:                              ;   in Loop: Header=BB0_14 Depth=1
	ds_write_b32 v109, v134 offset:2304
                                        ; implicit-def: $vgpr1
.LBB0_125:                              ;   in Loop: Header=BB0_14 Depth=1
	s_andn2_saveexec_b64 s[30:31], s[30:31]
	s_cbranch_execz .LBB0_127
; %bb.126:                              ;   in Loop: Header=BB0_14 Depth=1
	v_mad_u64_u32 v[2:3], s[36:37], v1, s45, v[26:27]
	v_ashrrev_i32_e32 v3, 31, v2
	v_lshlrev_b64 v[2:3], 3, v[2:3]
	v_mov_b32_e32 v1, s98
	v_add_co_u32_e32 v2, vcc, s86, v2
	v_addc_co_u32_e32 v3, vcc, v1, v3, vcc
	global_load_dwordx2 v[2:3], v[2:3], off
	s_waitcnt vmcnt(0)
	v_cvt_f16_f32_e32 v1, v2
	v_cvt_f16_f32_e32 v2, v3
	v_pack_b32_f16 v1, v1, v2
	v_pk_mul_f16 v1, v27, v1
	ds_write_b32 v109, v1 offset:2304
.LBB0_127:                              ;   in Loop: Header=BB0_14 Depth=1
	;; [unrolled: 27-line block ×3, first 2 shown]
	s_or_b64 exec, exec, s[30:31]
	s_waitcnt lgkmcnt(0)
	s_barrier
	ds_read2_b64 v[6:9], v74 offset1:4
	ds_read2_b64 v[2:5], v74 offset0:8 offset1:12
	s_mov_b32 s40, 0
	s_cmp_lt_i32 s33, 2
	v_mov_b32_e32 v175, 0
	v_cmp_ne_u64_e64 s[36:37], 0, v[40:41]
	s_waitcnt lgkmcnt(0)
	s_barrier
	s_cbranch_scc1 .LBB0_142
; %bb.132:                              ;   in Loop: Header=BB0_14 Depth=1
	v_add_u32_e32 v1, s29, v68
	v_mul_hi_u32 v10, s90, v1
	v_add_u32_e32 v10, v1, v10
	v_lshrrev_b32_e32 v10, s91, v10
	v_mul_lo_u32 v10, v10, s76
	v_sub_u32_e32 v10, v1, v10
	v_add_u32_e32 v1, s29, v135
	v_mul_hi_u32 v11, s90, v1
	v_add_u32_e32 v11, v1, v11
	v_lshrrev_b32_e32 v11, s91, v11
	v_mul_lo_u32 v11, v11, s76
	v_sub_u32_e32 v11, v1, v11
	;; [unrolled: 6-line block ×8, first 2 shown]
	v_and_b32_e32 v1, 64, v170
	v_add_u32_e32 v1, 64, v1
	v_xor_b32_e32 v19, 32, v170
	v_cmp_lt_i32_e32 vcc, v19, v1
	v_cndmask_b32_e32 v19, v170, v19, vcc
	s_add_i32 s40, s33, -1
	v_lshlrev_b32_e32 v45, 2, v19
	v_xor_b32_e32 v19, 16, v170
	v_readlane_b32 s30, v186, 2
	v_readlane_b32 s31, v186, 4
	v_cmp_lt_i32_e32 vcc, v19, v1
	s_add_u32 s30, s30, s31
	v_readlane_b32 s31, v186, 3
	v_readlane_b32 s33, v186, 5
	v_cndmask_b32_e32 v1, v170, v19, vcc
	s_addc_u32 s31, s31, s33
	v_lshlrev_b32_e32 v47, 2, v1
	v_mov_b32_e32 v1, s31
	v_add_co_u32_e32 v44, vcc, s30, v126
	v_addc_co_u32_e32 v1, vcc, v127, v1, vcc
	v_mov_b32_e32 v19, s31
	v_add_co_u32_e32 v46, vcc, s30, v128
	v_readlane_b32 s30, v186, 6
	v_readlane_b32 s31, v186, 8
	s_add_u32 s30, s30, s31
	v_readlane_b32 s31, v186, 7
	v_addc_co_u32_e32 v19, vcc, v129, v19, vcc
	s_addc_u32 s28, s31, s28
	v_mov_b32_e32 v21, s28
	v_add_co_u32_e32 v48, vcc, s30, v130
	v_addc_co_u32_e32 v21, vcc, v131, v21, vcc
	v_add_co_u32_e32 v50, vcc, s30, v132
	v_readlane_b32 s30, v187, 60
	v_mov_b32_e32 v23, s28
	v_readlane_b32 s31, v187, 61
	s_mov_b32 s28, s30
	v_mov_b32_e32 v49, 0
	v_mov_b32_e32 v42, v38
	v_mov_b32_e32 v43, v38
	v_addc_co_u32_e32 v23, vcc, v133, v23, vcc
	v_mad_i64_i32 v[52:53], s[30:31], s28, v13, v[40:41]
	v_mad_i64_i32 v[54:55], s[30:31], s28, v12, v[40:41]
	;; [unrolled: 1-line block ×8, first 2 shown]
	v_mov_b32_e32 v177, 0
	v_mov_b32_e32 v178, 0xfeffffff
	s_mov_b32 s28, s40
	v_mov_b32_e32 v51, 0
	v_mov_b32_e32 v172, 0
	;; [unrolled: 1-line block ×7, first 2 shown]
	v_cndmask_b32_e64 v10, 0, 1, s[36:37]
	v_cmp_ne_u32_e64 s[38:39], 1, v10
	s_andn2_b64 vcc, exec, s[36:37]
	s_cbranch_vccnz .LBB0_138
.LBB0_133:                              ;   in Loop: Header=BB0_14 Depth=1
                                        ; implicit-def: $sgpr33
	s_and_saveexec_b64 s[30:31], s[4:5]
	s_xor_b64 s[30:31], exec, s[30:31]
	s_cbranch_execz .LBB0_135
; %bb.134:                              ;   in Loop: Header=BB0_14 Depth=1
	ds_write_b16 v75, v134 offset:9216
	ds_write_b16 v136, v134 offset:9216
	;; [unrolled: 1-line block ×4, first 2 shown]
	s_mov_b32 s33, 0
.LBB0_135:                              ;   in Loop: Header=BB0_14 Depth=1
	s_or_saveexec_b64 s[30:31], s[30:31]
	v_mov_b32_e32 v10, s33
	v_mov_b32_e32 v11, s33
	;; [unrolled: 1-line block ×4, first 2 shown]
	s_xor_b64 exec, exec, s[30:31]
	s_cbranch_execz .LBB0_137
; %bb.136:                              ;   in Loop: Header=BB0_14 Depth=1
	v_add_co_u32_e32 v10, vcc, v58, v20
	v_addc_co_u32_e32 v11, vcc, 0, v59, vcc
	flat_load_ushort v12, v[10:11]
	v_add_co_u32_e32 v10, vcc, v56, v20
	v_addc_co_u32_e32 v11, vcc, 0, v57, vcc
	flat_load_ushort v13, v[10:11]
	;; [unrolled: 3-line block ×4, first 2 shown]
	s_waitcnt vmcnt(0) lgkmcnt(0)
	ds_write_b16 v75, v12 offset:9216
	ds_write_b16 v136, v13 offset:9216
	;; [unrolled: 1-line block ×4, first 2 shown]
	v_add_co_u32_e32 v10, vcc, v66, v20
	v_addc_co_u32_e32 v11, vcc, 0, v67, vcc
	v_add_co_u32_e32 v12, vcc, v64, v20
	v_addc_co_u32_e32 v13, vcc, 0, v65, vcc
	flat_load_ushort v10, v[10:11]
	s_nop 0
	flat_load_ushort v11, v[12:13]
	v_add_co_u32_e32 v12, vcc, v62, v20
	v_addc_co_u32_e32 v13, vcc, 0, v63, vcc
	v_add_co_u32_e32 v14, vcc, v60, v20
	v_addc_co_u32_e32 v15, vcc, 0, v61, vcc
	flat_load_ushort v12, v[12:13]
	s_nop 0
	flat_load_ushort v13, v[14:15]
.LBB0_137:                              ;   in Loop: Header=BB0_14 Depth=1
	s_or_b64 exec, exec, s[30:31]
	s_waitcnt vmcnt(0) lgkmcnt(0)
	ds_write_b16 v142, v10 offset:9216
	ds_write_b16 v144, v11 offset:9216
	;; [unrolled: 1-line block ×4, first 2 shown]
.LBB0_138:                              ;   Parent Loop BB0_14 Depth=1
                                        ; =>  This Inner Loop Header: Depth=2
	v_add_co_u32_e32 v10, vcc, v48, v36
	v_addc_co_u32_e32 v11, vcc, 0, v21, vcc
	v_mov_b32_e32 v14, s89
	v_mov_b32_e32 v15, s88
	buffer_store_dword v134, off, s[0:3], 0
	buffer_store_dword v134, off, s[0:3], 0 offset:4
	buffer_store_dword v134, off, s[0:3], 0 offset:8
	;; [unrolled: 1-line block ×3, first 2 shown]
	v_cndmask_b32_e64 v11, v14, v11, s[6:7]
	v_cndmask_b32_e64 v10, v15, v10, s[6:7]
	flat_load_dwordx4 v[10:13], v[10:11]
	v_add_u32_e32 v39, v73, v78
	s_waitcnt vmcnt(0) lgkmcnt(0)
	ds_write_b128 v77, v[10:13]
	v_add_co_u32_e32 v10, vcc, v50, v36
	v_addc_co_u32_e32 v11, vcc, 0, v23, vcc
	v_cndmask_b32_e64 v11, v14, v11, s[54:55]
	v_cndmask_b32_e64 v10, v15, v10, s[54:55]
	flat_load_dwordx4 v[10:13], v[10:11]
	s_and_b64 vcc, exec, s[38:39]
	s_waitcnt vmcnt(0) lgkmcnt(0)
	ds_write_b128 v150, v[10:13]
	s_waitcnt lgkmcnt(0)
	s_barrier
	ds_read2_b64 v[10:13], v39 offset1:4
	s_waitcnt lgkmcnt(0)
	v_mfma_f32_16x16x16f16 v[14:17], v[10:11], v[6:7], 0
	v_mfma_f32_16x16x16f16 v[10:13], v[12:13], v[8:9], v[14:17]
	s_nop 7
	s_nop 1
	ds_read2_b64 v[14:17], v39 offset0:8 offset1:12
	s_waitcnt lgkmcnt(0)
	v_mfma_f32_16x16x16f16 v[10:13], v[14:15], v[2:3], v[10:13]
	v_add_u32_e32 v39, 0x1000, v39
	v_mfma_f32_16x16x16f16 v[14:17], v[16:17], v[4:5], v[10:13]
	s_nop 7
	s_nop 0
	ds_read2_b64 v[10:13], v39 offset0:64 offset1:68
	s_waitcnt lgkmcnt(0)
	v_mfma_f32_16x16x16f16 v[180:183], v[10:11], v[6:7], 0
	v_mfma_f32_16x16x16f16 v[10:13], v[12:13], v[8:9], v[180:183]
	s_nop 7
	s_nop 1
	ds_read2_b64 v[180:183], v39 offset0:72 offset1:76
	s_waitcnt lgkmcnt(0)
	v_mfma_f32_16x16x16f16 v[10:13], v[180:181], v[2:3], v[10:13]
	s_barrier
	v_mfma_f32_16x16x16f16 v[10:13], v[182:183], v[4:5], v[10:13]
	s_cbranch_vccnz .LBB0_140
; %bb.139:                              ;   in Loop: Header=BB0_138 Depth=2
	v_add_u32_e32 v39, 0x2400, v100
	ds_read2_b32 v[180:181], v39 offset1:1
	ds_read_b32 v179, v103 offset:9216
	v_mov_b32_e32 v39, v38
	s_waitcnt lgkmcnt(1)
	v_cvt_f32_f16_e32 v182, v180
	v_cvt_f32_f16_sdwa v183, v180 dst_sel:DWORD dst_unused:UNUSED_PAD src0_sel:WORD_1
	v_cvt_f32_f16_e32 v180, v181
	v_cvt_f32_f16_sdwa v181, v181 dst_sel:DWORD dst_unused:UNUSED_PAD src0_sel:WORD_1
	v_pk_fma_f32 v[14:15], v[42:43], v[182:183], v[14:15]
	v_pk_fma_f32 v[16:17], v[38:39], v[180:181], v[16:17]
	s_waitcnt lgkmcnt(0)
	v_cvt_f32_f16_sdwa v181, v179 dst_sel:DWORD dst_unused:UNUSED_PAD src0_sel:WORD_1
	v_cvt_f32_f16_e32 v180, v179
	ds_read_b32 v179, v105 offset:9216
	v_pk_fma_f32 v[10:11], v[42:43], v[180:181], v[10:11]
	s_waitcnt lgkmcnt(0)
	v_cvt_f32_f16_sdwa v183, v179 dst_sel:DWORD dst_unused:UNUSED_PAD src0_sel:WORD_1
	v_cvt_f32_f16_e32 v182, v179
	v_pk_fma_f32 v[12:13], v[38:39], v[182:183], v[12:13]
.LBB0_140:                              ;   in Loop: Header=BB0_138 Depth=2
	v_add_f32_e32 v39, 0x40051340, v14
	v_max_f32_e32 v179, v178, v178
	v_max_f32_e32 v39, v179, v39
	v_cndmask_b32_e64 v39, v178, v39, s[10:11]
	v_add_f32_e32 v179, 0x40051340, v15
	v_max_f32_e32 v180, v39, v39
	v_max_f32_e32 v179, v180, v179
	v_cndmask_b32_e64 v39, v39, v179, s[12:13]
	;; [unrolled: 4-line block ×8, first 2 shown]
	ds_bpermute_b32 v179, v45, v39
	v_max_f32_e32 v39, v39, v39
	v_cndmask_b32_e64 v16, v16, v16, s[12:13]
	v_cndmask_b32_e64 v17, v17, v17, s[12:13]
	v_cndmask_b32_e64 v11, v11, v11, s[18:19]
	s_waitcnt lgkmcnt(0)
	v_max_f32_e32 v179, v179, v179
	v_max_f32_e32 v39, v39, v179
	ds_bpermute_b32 v179, v47, v39
	v_cndmask_b32_e64 v12, v12, v12, s[18:19]
	v_cndmask_b32_e64 v13, v13, v13, s[18:19]
	buffer_store_dword v134, off, s[0:3], 0
	buffer_store_dword v134, off, s[0:3], 0 offset:4
	buffer_store_dword v134, off, s[0:3], 0 offset:8
	;; [unrolled: 1-line block ×3, first 2 shown]
	s_add_i32 s28, s28, -1
	s_waitcnt lgkmcnt(0)
	v_max_f32_e32 v179, v179, v179
	v_max_f32_e32 v39, v39, v179
	v_sub_f32_e32 v14, v14, v39
	v_mul_f32_e32 v179, 0x3fb8aa3b, v14
	v_fma_f32 v180, v14, s82, -v179
	v_rndne_f32_e32 v181, v179
	v_fmac_f32_e32 v180, 0x32a5705f, v14
	v_sub_f32_e32 v179, v179, v181
	v_add_f32_e32 v179, v179, v180
	v_exp_f32_e32 v179, v179
	v_cvt_i32_f32_e32 v180, v181
	v_cmp_ngt_f32_e32 vcc, s84, v14
	v_sub_f32_e32 v15, v15, v39
	v_sub_f32_e32 v16, v16, v39
	v_ldexp_f32 v179, v179, v180
	v_cndmask_b32_e32 v179, 0, v179, vcc
	v_cmp_nlt_f32_e32 vcc, s77, v14
	v_cndmask_b32_e32 v14, v168, v179, vcc
	v_mul_f32_e32 v179, 0x3fb8aa3b, v15
	v_fma_f32 v180, v15, s82, -v179
	v_rndne_f32_e32 v181, v179
	v_fmac_f32_e32 v180, 0x32a5705f, v15
	v_sub_f32_e32 v179, v179, v181
	v_add_f32_e32 v179, v179, v180
	v_exp_f32_e32 v179, v179
	v_cvt_i32_f32_e32 v180, v181
	v_cmp_ngt_f32_e32 vcc, s84, v15
	v_cndmask_b32_e64 v14, 0, v14, s[10:11]
	v_sub_f32_e32 v10, v10, v39
	v_ldexp_f32 v179, v179, v180
	v_cndmask_b32_e32 v179, 0, v179, vcc
	v_cmp_nlt_f32_e32 vcc, s77, v15
	v_cndmask_b32_e32 v179, v168, v179, vcc
	v_add_f32_e32 v180, v179, v14
	v_mov_b32_e32 v15, s87
	v_cndmask_b32_e64 v179, v15, v179, s[12:13]
	v_cndmask_b32_e64 v15, v14, v180, s[12:13]
	v_mul_f32_e32 v180, 0x3fb8aa3b, v16
	v_fma_f32 v181, v16, s82, -v180
	v_rndne_f32_e32 v182, v180
	v_fmac_f32_e32 v181, 0x32a5705f, v16
	v_sub_f32_e32 v180, v180, v182
	v_add_f32_e32 v180, v180, v181
	v_exp_f32_e32 v180, v180
	v_cvt_i32_f32_e32 v181, v182
	v_cmp_ngt_f32_e32 vcc, s84, v16
	v_sub_f32_e32 v11, v11, v39
	s_cmp_lg_u32 s28, 0
	v_ldexp_f32 v180, v180, v181
	v_cndmask_b32_e32 v180, 0, v180, vcc
	v_cmp_nlt_f32_e32 vcc, s77, v16
	v_cndmask_b32_e32 v180, v168, v180, vcc
	v_add_f32_e32 v181, v15, v180
	v_mov_b32_e32 v16, s87
	v_cndmask_b32_e64 v180, v16, v180, s[14:15]
	v_cndmask_b32_e64 v16, v15, v181, s[14:15]
	v_sub_f32_e32 v15, v17, v39
	v_mul_f32_e32 v17, 0x3fb8aa3b, v15
	v_fma_f32 v181, v15, s82, -v17
	v_rndne_f32_e32 v182, v17
	v_fmac_f32_e32 v181, 0x32a5705f, v15
	v_sub_f32_e32 v17, v17, v182
	v_add_f32_e32 v17, v17, v181
	v_exp_f32_e32 v17, v17
	v_cvt_i32_f32_e32 v181, v182
	v_cmp_ngt_f32_e32 vcc, s84, v15
	v_ldexp_f32 v17, v17, v181
	v_cndmask_b32_e32 v17, 0, v17, vcc
	v_cmp_nlt_f32_e32 vcc, s77, v15
	v_cndmask_b32_e32 v17, v168, v17, vcc
	v_mov_b32_e32 v15, s87
	v_add_f32_e32 v181, v16, v17
	v_cndmask_b32_e64 v15, v15, v17, s[16:17]
	v_mul_f32_e32 v17, 0x3fb8aa3b, v10
	v_cndmask_b32_e64 v16, v16, v181, s[16:17]
	v_fma_f32 v181, v10, s82, -v17
	v_rndne_f32_e32 v182, v17
	v_fmac_f32_e32 v181, 0x32a5705f, v10
	v_sub_f32_e32 v17, v17, v182
	v_add_f32_e32 v17, v17, v181
	v_exp_f32_e32 v17, v17
	v_cvt_i32_f32_e32 v181, v182
	v_cmp_ngt_f32_e32 vcc, s84, v10
	v_ldexp_f32 v17, v17, v181
	v_cndmask_b32_e32 v17, 0, v17, vcc
	v_cmp_nlt_f32_e32 vcc, s77, v10
	v_cndmask_b32_e32 v17, v168, v17, vcc
	v_add_f32_e32 v181, v17, v16
	v_mov_b32_e32 v10, s87
	v_cndmask_b32_e64 v182, v10, v17, s[18:19]
	v_cndmask_b32_e64 v10, v16, v181, s[18:19]
	v_mul_f32_e32 v16, 0x3fb8aa3b, v11
	v_fma_f32 v17, v11, s82, -v16
	v_rndne_f32_e32 v181, v16
	v_fmac_f32_e32 v17, 0x32a5705f, v11
	v_sub_f32_e32 v16, v16, v181
	v_add_f32_e32 v16, v16, v17
	v_exp_f32_e32 v16, v16
	v_cvt_i32_f32_e32 v17, v181
	v_cmp_ngt_f32_e32 vcc, s84, v11
	v_ldexp_f32 v16, v16, v17
	v_cndmask_b32_e32 v16, 0, v16, vcc
	v_cmp_nlt_f32_e32 vcc, s77, v11
	v_cndmask_b32_e32 v16, v168, v16, vcc
	v_add_f32_e32 v17, v16, v10
	v_mov_b32_e32 v11, s87
	v_cndmask_b32_e64 v181, v11, v16, s[20:21]
	v_cndmask_b32_e64 v11, v10, v17, s[20:21]
	v_sub_f32_e32 v10, v12, v39
	v_mul_f32_e32 v12, 0x3fb8aa3b, v10
	v_fma_f32 v16, v10, s82, -v12
	v_rndne_f32_e32 v17, v12
	v_fmac_f32_e32 v16, 0x32a5705f, v10
	v_sub_f32_e32 v12, v12, v17
	v_add_f32_e32 v12, v12, v16
	v_exp_f32_e32 v12, v12
	v_cvt_i32_f32_e32 v16, v17
	v_cmp_ngt_f32_e32 vcc, s84, v10
	v_ldexp_f32 v12, v12, v16
	v_cndmask_b32_e32 v12, 0, v12, vcc
	v_cmp_nlt_f32_e32 vcc, s77, v10
	v_cndmask_b32_e32 v12, v168, v12, vcc
	v_add_f32_e32 v16, v12, v11
	v_mov_b32_e32 v10, s87
	v_cndmask_b32_e64 v183, v10, v12, s[22:23]
	v_cndmask_b32_e64 v10, v11, v16, s[22:23]
	v_sub_f32_e32 v11, v13, v39
	v_mul_f32_e32 v12, 0x3fb8aa3b, v11
	v_fma_f32 v13, v11, s82, -v12
	v_rndne_f32_e32 v16, v12
	v_fmac_f32_e32 v13, 0x32a5705f, v11
	v_sub_f32_e32 v12, v12, v16
	v_add_f32_e32 v12, v12, v13
	v_exp_f32_e32 v12, v12
	v_cvt_i32_f32_e32 v13, v16
	v_cmp_ngt_f32_e32 vcc, s84, v11
	v_ldexp_f32 v12, v12, v13
	v_cndmask_b32_e32 v12, 0, v12, vcc
	v_cmp_nlt_f32_e32 vcc, s77, v11
	v_cndmask_b32_e32 v12, v168, v12, vcc
	v_add_f32_e32 v13, v12, v10
	v_mov_b32_e32 v11, s87
	v_cndmask_b32_e64 v16, v10, v13, s[24:25]
	v_sub_f32_e32 v10, v178, v39
	v_cndmask_b32_e64 v11, v11, v12, s[24:25]
	v_mul_f32_e32 v12, 0x3fb8aa3b, v10
	v_fma_f32 v13, v10, s82, -v12
	v_rndne_f32_e32 v17, v12
	v_fmac_f32_e32 v13, 0x32a5705f, v10
	v_sub_f32_e32 v12, v12, v17
	v_add_f32_e32 v12, v12, v13
	v_exp_f32_e32 v12, v12
	v_cvt_i32_f32_e32 v13, v17
	v_cmp_ngt_f32_e32 vcc, s84, v10
	v_cvt_f16_f32_e32 v11, v11
	v_ldexp_f32 v12, v12, v13
	v_cndmask_b32_e32 v12, 0, v12, vcc
	v_cmp_nlt_f32_e32 vcc, s77, v10
	v_cndmask_b32_e32 v12, v168, v12, vcc
	v_cmp_le_f32_e32 vcc, s85, v10
	v_cndmask_b32_e32 v10, 0, v12, vcc
	v_fmac_f32_e32 v16, v177, v10
	v_cvt_f16_f32_e32 v10, v10
	v_cvt_f16_f32_e32 v12, v179
	;; [unrolled: 1-line block ×3, first 2 shown]
	v_pk_mul_f16 v177, v10, v49 op_sel_hi:[0,1]
	v_pk_mul_f16 v49, v10, v51 op_sel_hi:[0,1]
	;; [unrolled: 1-line block ×8, first 2 shown]
	v_cvt_f16_f32_e32 v10, v14
	v_cvt_f16_f32_e32 v14, v181
	v_mov_b32_e32 v51, s89
	v_mov_b32_e32 v175, s88
	v_pack_b32_f16 v12, v10, v12
	v_cvt_f16_f32_e32 v10, v180
	v_pack_b32_f16 v13, v10, v13
	v_cvt_f16_f32_e32 v10, v182
	;; [unrolled: 2-line block ×3, first 2 shown]
	v_pack_b32_f16 v11, v14, v11
	v_add_co_u32_e32 v14, vcc, v44, v36
	v_addc_co_u32_e32 v15, vcc, 0, v1, vcc
	v_cndmask_b32_e64 v179, v51, v15, s[6:7]
	v_cndmask_b32_e64 v178, v175, v14, s[6:7]
	flat_load_dwordx4 v[178:181], v[178:179]
	v_add_co_u32_e32 v14, vcc, v46, v36
	v_addc_co_u32_e32 v15, vcc, 0, v19, vcc
	v_cndmask_b32_e64 v15, v51, v15, s[54:55]
	v_cndmask_b32_e64 v14, v175, v14, s[54:55]
	v_add_co_u32_e32 v44, vcc, s94, v44
	s_waitcnt vmcnt(0) lgkmcnt(0)
	ds_write_b128 v77, v[178:181]
	flat_load_dwordx4 v[178:181], v[14:15]
	s_waitcnt vmcnt(0) lgkmcnt(0)
	ds_write_b128 v150, v[178:181]
	s_waitcnt lgkmcnt(0)
	s_barrier
	ds_read_u16 v14, v81 offset:144
	ds_read_u16 v15, v81 offset:288
	v_cvt_f32_f16_e32 v180, v49
	v_cvt_f32_f16_sdwa v181, v49 dst_sel:DWORD dst_unused:UNUSED_PAD src0_sel:WORD_1
	ds_read_u16 v49, v82
	ds_read_u16 v175, v82 offset:32
	v_cvt_f32_f16_e32 v178, v177
	v_cvt_f32_f16_sdwa v179, v177 dst_sel:DWORD dst_unused:UNUSED_PAD src0_sel:WORD_1
	s_waitcnt lgkmcnt(1)
	v_perm_b32 v15, v49, v15, s26
	ds_read_u16 v49, v80
	ds_read_u16 v177, v80 offset:32
	ds_read_u16 v182, v80 offset:4608
	ds_read_u16 v183, v151 offset:144
	ds_read_u16 v184, v151 offset:288
	ds_read_u16 v185, v82 offset:4608
	s_waitcnt lgkmcnt(5)
	v_perm_b32 v14, v14, v49, s26
	s_nop 1
	v_mfma_f32_16x16x16f16 v[178:181], v[14:15], v[12:13], v[178:181]
	s_nop 7
	s_nop 2
	v_cvt_f16_f32_e32 v14, v178
	v_cvt_f16_f32_e32 v15, v179
	;; [unrolled: 1-line block ×4, first 2 shown]
	v_cvt_f32_f16_e32 v178, v14
	v_cvt_f32_f16_e32 v179, v15
	s_waitcnt lgkmcnt(0)
	v_perm_b32 v15, v185, v184, s26
	v_perm_b32 v14, v183, v182, s26
	v_cvt_f32_f16_e32 v180, v49
	v_cvt_f32_f16_e32 v181, v51
	s_nop 1
	v_mfma_f32_16x16x16f16 v[178:181], v[14:15], v[10:11], v[178:181]
	s_nop 7
	s_nop 2
	v_cvt_f16_f32_e32 v14, v178
	v_cvt_f16_f32_e32 v15, v179
	;; [unrolled: 1-line block ×4, first 2 shown]
	v_cvt_f32_f16_sdwa v179, v172 dst_sel:DWORD dst_unused:UNUSED_PAD src0_sel:WORD_1
	v_pack_b32_f16 v49, v14, v15
	ds_read_u16 v14, v152 offset:144
	ds_read_u16 v15, v152 offset:288
	v_pack_b32_f16 v51, v51, v178
	v_cvt_f32_f16_e32 v178, v172
	v_cvt_f32_f16_e32 v180, v171
	s_waitcnt lgkmcnt(1)
	v_perm_b32 v14, v14, v177, s26
	s_waitcnt lgkmcnt(0)
	v_perm_b32 v15, v175, v15, s26
	v_cvt_f32_f16_sdwa v181, v171 dst_sel:DWORD dst_unused:UNUSED_PAD src0_sel:WORD_1
	ds_read_u16 v175, v83 offset:4608
	ds_read_u16 v177, v84 offset:144
	;; [unrolled: 1-line block ×4, first 2 shown]
	v_mfma_f32_16x16x16f16 v[178:181], v[14:15], v[12:13], v[178:181]
	s_nop 7
	s_nop 2
	v_cvt_f16_f32_e32 v14, v178
	v_cvt_f16_f32_e32 v15, v179
	;; [unrolled: 1-line block ×4, first 2 shown]
	v_cvt_f32_f16_e32 v178, v14
	v_cvt_f32_f16_e32 v179, v15
	s_waitcnt lgkmcnt(0)
	v_perm_b32 v15, v183, v182, s26
	v_perm_b32 v14, v177, v175, s26
	v_cvt_f32_f16_e32 v180, v171
	v_cvt_f32_f16_e32 v181, v172
	s_nop 1
	v_mfma_f32_16x16x16f16 v[178:181], v[14:15], v[10:11], v[178:181]
	s_nop 7
	s_nop 2
	v_cvt_f16_f32_e32 v14, v178
	v_cvt_f16_f32_e32 v15, v179
	;; [unrolled: 1-line block ×4, first 2 shown]
	v_cvt_f32_f16_e32 v178, v174
	v_pack_b32_f16 v172, v14, v15
	v_cvt_f32_f16_sdwa v179, v174 dst_sel:DWORD dst_unused:UNUSED_PAD src0_sel:WORD_1
	v_pack_b32_f16 v171, v171, v175
	ds_read_u16 v14, v80 offset:64
	ds_read_u16 v175, v154 offset:144
	;; [unrolled: 1-line block ×4, first 2 shown]
	v_cvt_f32_f16_e32 v180, v173
	v_cvt_f32_f16_sdwa v181, v173 dst_sel:DWORD dst_unused:UNUSED_PAD src0_sel:WORD_1
	s_waitcnt lgkmcnt(2)
	v_perm_b32 v14, v175, v14, s26
	s_waitcnt lgkmcnt(0)
	v_perm_b32 v15, v177, v15, s26
	ds_read_u16 v175, v86 offset:4608
	ds_read_u16 v177, v87 offset:144
	;; [unrolled: 1-line block ×4, first 2 shown]
	v_mfma_f32_16x16x16f16 v[178:181], v[14:15], v[12:13], v[178:181]
	s_nop 7
	s_nop 2
	v_cvt_f16_f32_e32 v14, v178
	v_cvt_f16_f32_e32 v15, v179
	;; [unrolled: 1-line block ×4, first 2 shown]
	v_cvt_f32_f16_e32 v178, v14
	v_cvt_f32_f16_e32 v179, v15
	s_waitcnt lgkmcnt(0)
	v_perm_b32 v15, v183, v182, s26
	v_perm_b32 v14, v177, v175, s26
	v_cvt_f32_f16_e32 v180, v173
	v_cvt_f32_f16_e32 v181, v174
	s_nop 1
	v_mfma_f32_16x16x16f16 v[178:181], v[14:15], v[10:11], v[178:181]
	s_nop 7
	s_nop 2
	v_cvt_f16_f32_e32 v14, v178
	v_cvt_f16_f32_e32 v15, v179
	;; [unrolled: 1-line block ×4, first 2 shown]
	v_cvt_f32_f16_e32 v178, v176
	v_pack_b32_f16 v174, v14, v15
	v_cvt_f32_f16_sdwa v179, v176 dst_sel:DWORD dst_unused:UNUSED_PAD src0_sel:WORD_1
	v_pack_b32_f16 v173, v173, v175
	ds_read_u16 v14, v80 offset:96
	ds_read_u16 v175, v156 offset:144
	ds_read_u16 v15, v156 offset:288
	ds_read_u16 v177, v82 offset:96
	v_cvt_f32_f16_e32 v180, v17
	v_cvt_f32_f16_sdwa v181, v17 dst_sel:DWORD dst_unused:UNUSED_PAD src0_sel:WORD_1
	s_waitcnt lgkmcnt(2)
	v_perm_b32 v14, v175, v14, s26
	s_waitcnt lgkmcnt(0)
	v_perm_b32 v15, v177, v15, s26
	ds_read_u16 v17, v89 offset:4608
	ds_read_u16 v175, v90 offset:144
	;; [unrolled: 1-line block ×4, first 2 shown]
	v_mfma_f32_16x16x16f16 v[12:15], v[14:15], v[12:13], v[178:181]
	s_waitcnt lgkmcnt(0)
	v_perm_b32 v177, v177, v176, s26
	v_perm_b32 v176, v175, v17, s26
	s_barrier
	s_nop 6
	v_cvt_f16_f32_e32 v12, v12
	v_cvt_f16_f32_e32 v13, v13
	v_cvt_f16_f32_e32 v14, v14
	v_cvt_f16_f32_e32 v15, v15
	v_cvt_f32_f16_e32 v12, v12
	v_cvt_f32_f16_e32 v13, v13
	;; [unrolled: 1-line block ×4, first 2 shown]
	s_nop 1
	v_mfma_f32_16x16x16f16 v[10:13], v[176:177], v[10:11], v[12:15]
	s_nop 7
	s_nop 2
	v_cvt_f16_f32_e32 v10, v10
	v_cvt_f16_f32_e32 v11, v11
	;; [unrolled: 1-line block ×4, first 2 shown]
	v_pack_b32_f16 v176, v10, v11
	v_mov_b32_e32 v10, s95
	v_addc_co_u32_e32 v1, vcc, v1, v10, vcc
	v_add_co_u32_e32 v46, vcc, s94, v46
	v_addc_co_u32_e32 v19, vcc, v19, v10, vcc
	v_add_co_u32_e32 v48, vcc, s34, v48
	v_mov_b32_e32 v10, s35
	v_addc_co_u32_e32 v21, vcc, v21, v10, vcc
	v_add_co_u32_e32 v50, vcc, s34, v50
	v_addc_co_u32_e32 v23, vcc, v23, v10, vcc
	v_add_co_u32_e32 v52, vcc, s27, v52
	;; [unrolled: 2-line block ×9, first 2 shown]
	v_pack_b32_f16 v175, v12, v13
	v_addc_co_u32_e32 v67, vcc, 0, v67, vcc
	s_cbranch_scc0 .LBB0_143
; %bb.141:                              ;   in Loop: Header=BB0_138 Depth=2
	v_mov_b32_e32 v177, v16
	v_mov_b32_e32 v178, v39
	v_cndmask_b32_e64 v10, 0, 1, s[36:37]
	v_cmp_ne_u32_e64 s[38:39], 1, v10
	s_andn2_b64 vcc, exec, s[36:37]
	s_cbranch_vccz .LBB0_133
	s_branch .LBB0_138
.LBB0_142:                              ;   in Loop: Header=BB0_14 Depth=1
	v_mov_b32_e32 v16, 0
	v_mov_b32_e32 v39, 0xfeffffff
	v_mov_b32_e32 v176, 0
	v_mov_b32_e32 v173, 0
	v_mov_b32_e32 v174, 0
	v_mov_b32_e32 v171, 0
	v_mov_b32_e32 v172, 0
	v_mov_b32_e32 v51, 0
	v_mov_b32_e32 v49, 0
.LBB0_143:                              ;   in Loop: Header=BB0_14 Depth=1
	s_lshl_b32 s86, s40, 6
	v_readlane_b32 s30, v187, 4
	v_cmp_eq_u64_e32 vcc, 0, v[40:41]
	s_sub_i32 s28, s30, s86
	v_cmp_ne_u64_e64 s[40:41], 0, v[40:41]
	v_readlane_b32 s31, v187, 5
	s_cbranch_vccnz .LBB0_153
; %bb.144:                              ;   in Loop: Header=BB0_14 Depth=1
	v_cmp_le_i32_e32 vcc, s28, v18
                                        ; implicit-def: $sgpr33
	s_and_saveexec_b64 s[30:31], vcc
	s_xor_b64 s[30:31], exec, s[30:31]
	s_cbranch_execz .LBB0_146
; %bb.145:                              ;   in Loop: Header=BB0_14 Depth=1
	ds_write_b16 v75, v134 offset:9216
	ds_write_b16 v136, v134 offset:9216
	s_mov_b32 s33, 0
.LBB0_146:                              ;   in Loop: Header=BB0_14 Depth=1
	s_or_saveexec_b64 s[30:31], s[30:31]
	s_lshl_b64 s[36:37], s[86:87], 1
	v_mov_b32_e32 v1, s37
	v_add_co_u32_e64 v10, s[36:37], s36, v40
	v_addc_co_u32_e64 v11, s[36:37], v41, v1, s[36:37]
	v_lshlrev_b32_e32 v1, 1, v18
	v_add_co_u32_e64 v1, s[36:37], v10, v1
	v_addc_co_u32_e64 v10, s[36:37], 0, v11, s[36:37]
	v_mov_b32_e32 v11, s33
	v_mov_b32_e32 v12, s33
	s_xor_b64 exec, exec, s[30:31]
	s_cbranch_execz .LBB0_148
; %bb.147:                              ;   in Loop: Header=BB0_14 Depth=1
	v_add_u32_e32 v11, s29, v68
	v_mul_hi_u32 v12, s90, v11
	v_add_u32_e32 v12, v11, v12
	v_lshrrev_b32_e32 v12, s91, v12
	v_mul_lo_u32 v12, v12, s76
	v_sub_u32_e32 v11, v11, v12
	v_mad_i64_i32 v[12:13], s[36:37], v11, s92, 0
	v_lshlrev_b64 v[12:13], 1, v[12:13]
	v_add_co_u32_e64 v12, s[36:37], v1, v12
	v_addc_co_u32_e64 v13, s[36:37], v10, v13, s[36:37]
	flat_load_ushort v11, v[12:13]
	v_add_u32_e32 v12, s29, v135
	v_mul_hi_u32 v13, s90, v12
	v_add_u32_e32 v13, v12, v13
	v_lshrrev_b32_e32 v13, s91, v13
	v_mul_lo_u32 v13, v13, s76
	v_sub_u32_e32 v12, v12, v13
	v_mad_i64_i32 v[12:13], s[36:37], v12, s92, 0
	v_lshlrev_b64 v[12:13], 1, v[12:13]
	v_add_co_u32_e64 v12, s[36:37], v1, v12
	v_addc_co_u32_e64 v13, s[36:37], v10, v13, s[36:37]
	flat_load_ushort v12, v[12:13]
	s_waitcnt vmcnt(0) lgkmcnt(0)
	ds_write_b16 v75, v11 offset:9216
	ds_write_b16 v136, v12 offset:9216
	v_add_u32_e32 v11, s29, v137
	v_mul_hi_u32 v12, s90, v11
	v_add_u32_e32 v12, v11, v12
	v_lshrrev_b32_e32 v12, s91, v12
	v_mul_lo_u32 v12, v12, s76
	v_sub_u32_e32 v11, v11, v12
	v_mad_i64_i32 v[12:13], s[36:37], v11, s92, 0
	v_lshlrev_b64 v[12:13], 1, v[12:13]
	v_add_co_u32_e64 v12, s[36:37], v1, v12
	v_addc_co_u32_e64 v13, s[36:37], v10, v13, s[36:37]
	flat_load_ushort v11, v[12:13]
	v_add_u32_e32 v12, s29, v139
	v_mul_hi_u32 v13, s90, v12
	v_add_u32_e32 v13, v12, v13
	v_lshrrev_b32_e32 v13, s91, v13
	v_mul_lo_u32 v13, v13, s76
	v_sub_u32_e32 v12, v12, v13
	v_mad_i64_i32 v[12:13], s[36:37], v12, s92, 0
	v_lshlrev_b64 v[12:13], 1, v[12:13]
	v_add_co_u32_e64 v12, s[36:37], v1, v12
	v_addc_co_u32_e64 v13, s[36:37], v10, v13, s[36:37]
	flat_load_ushort v12, v[12:13]
.LBB0_148:                              ;   in Loop: Header=BB0_14 Depth=1
	s_or_b64 exec, exec, s[30:31]
	s_waitcnt vmcnt(0) lgkmcnt(0)
	ds_write_b16 v138, v11 offset:9216
	ds_write_b16 v140, v12 offset:9216
                                        ; implicit-def: $sgpr33
	s_and_saveexec_b64 s[30:31], vcc
	s_xor_b64 s[30:31], exec, s[30:31]
	s_cbranch_execz .LBB0_150
; %bb.149:                              ;   in Loop: Header=BB0_14 Depth=1
	ds_write_b16 v142, v134 offset:9216
	ds_write_b16 v144, v134 offset:9216
	s_mov_b32 s33, 0
                                        ; implicit-def: $vgpr1
                                        ; implicit-def: $vgpr10
.LBB0_150:                              ;   in Loop: Header=BB0_14 Depth=1
	s_or_saveexec_b64 s[30:31], s[30:31]
	v_mov_b32_e32 v11, s33
	v_mov_b32_e32 v12, s33
	s_xor_b64 exec, exec, s[30:31]
	s_cbranch_execz .LBB0_152
; %bb.151:                              ;   in Loop: Header=BB0_14 Depth=1
	v_add_u32_e32 v11, s29, v141
	v_mul_hi_u32 v12, s90, v11
	v_add_u32_e32 v12, v11, v12
	v_lshrrev_b32_e32 v12, s91, v12
	v_mul_lo_u32 v12, v12, s76
	v_sub_u32_e32 v11, v11, v12
	v_mad_i64_i32 v[12:13], s[36:37], v11, s92, 0
	v_lshlrev_b64 v[12:13], 1, v[12:13]
	v_add_co_u32_e32 v12, vcc, v1, v12
	v_addc_co_u32_e32 v13, vcc, v10, v13, vcc
	flat_load_ushort v11, v[12:13]
	v_add_u32_e32 v12, s29, v143
	v_mul_hi_u32 v13, s90, v12
	v_add_u32_e32 v13, v12, v13
	v_lshrrev_b32_e32 v13, s91, v13
	v_mul_lo_u32 v13, v13, s76
	v_sub_u32_e32 v12, v12, v13
	v_mad_i64_i32 v[12:13], s[36:37], v12, s92, 0
	v_lshlrev_b64 v[12:13], 1, v[12:13]
	v_add_co_u32_e32 v12, vcc, v1, v12
	v_addc_co_u32_e32 v13, vcc, v10, v13, vcc
	flat_load_ushort v12, v[12:13]
	s_waitcnt vmcnt(0) lgkmcnt(0)
	ds_write_b16 v142, v11 offset:9216
	ds_write_b16 v144, v12 offset:9216
	v_add_u32_e32 v11, s29, v145
	v_mul_hi_u32 v12, s90, v11
	v_add_u32_e32 v12, v11, v12
	v_lshrrev_b32_e32 v12, s91, v12
	v_mul_lo_u32 v12, v12, s76
	v_sub_u32_e32 v11, v11, v12
	v_mad_i64_i32 v[12:13], s[36:37], v11, s92, 0
	v_lshlrev_b64 v[12:13], 1, v[12:13]
	v_add_co_u32_e32 v12, vcc, v1, v12
	v_addc_co_u32_e32 v13, vcc, v10, v13, vcc
	flat_load_ushort v11, v[12:13]
	v_add_u32_e32 v12, s29, v147
	v_mul_hi_u32 v13, s90, v12
	v_add_u32_e32 v13, v12, v13
	v_lshrrev_b32_e32 v13, s91, v13
	v_mul_lo_u32 v13, v13, s76
	v_sub_u32_e32 v12, v12, v13
	v_mad_i64_i32 v[12:13], s[36:37], v12, s92, 0
	v_lshlrev_b64 v[12:13], 1, v[12:13]
	v_add_co_u32_e32 v12, vcc, v1, v12
	v_addc_co_u32_e32 v13, vcc, v10, v13, vcc
	flat_load_ushort v12, v[12:13]
.LBB0_152:                              ;   in Loop: Header=BB0_14 Depth=1
	s_or_b64 exec, exec, s[30:31]
	s_waitcnt vmcnt(0) lgkmcnt(0)
	ds_write_b16 v146, v11 offset:9216
	ds_write_b16 v148, v12 offset:9216
.LBB0_153:                              ;   in Loop: Header=BB0_14 Depth=1
	s_mul_i32 s30, s86, s79
	s_mul_hi_u32 s31, s86, s78
	s_add_i32 s31, s31, s30
	s_mul_i32 s30, s86, s78
	s_lshl_b64 s[30:31], s[30:31], 2
	s_add_u32 s30, s81, s30
	s_addc_u32 s31, s83, s31
	v_mov_b32_e32 v1, s31
	v_add_co_u32_e32 v10, vcc, s30, v32
	v_addc_co_u32_e32 v1, vcc, v1, v33, vcc
	v_lshlrev_b32_e32 v21, 2, v22
	v_add_co_u32_e32 v10, vcc, v10, v21
	v_addc_co_u32_e32 v1, vcc, 0, v1, vcc
	v_mov_b32_e32 v14, s89
	v_cmp_gt_i32_e64 s[36:37], s28, v76
	v_cndmask_b32_e64 v11, v14, v1, s[36:37]
	v_mov_b32_e32 v1, s88
	buffer_store_dword v134, off, s[0:3], 0
	buffer_store_dword v134, off, s[0:3], 0 offset:4
	buffer_store_dword v134, off, s[0:3], 0 offset:8
	;; [unrolled: 1-line block ×3, first 2 shown]
	v_cndmask_b32_e64 v10, v1, v10, s[36:37]
	flat_load_dwordx4 v[10:13], v[10:11]
	v_mov_b32_e32 v15, s31
	v_add_co_u32_e32 v17, vcc, s30, v34
	v_addc_co_u32_e32 v15, vcc, v15, v35, vcc
	v_add_co_u32_e32 v17, vcc, v17, v21
	v_addc_co_u32_e32 v15, vcc, 0, v15, vcc
	v_cmp_gt_i32_e64 s[38:39], s28, v149
	v_cndmask_b32_e64 v15, v14, v15, s[38:39]
	v_cndmask_b32_e64 v14, v1, v17, s[38:39]
	v_add_u32_e32 v1, v73, v78
	s_andn2_b64 vcc, exec, s[40:41]
	s_waitcnt vmcnt(0) lgkmcnt(0)
	ds_write_b128 v77, v[10:13]
	flat_load_dwordx4 v[10:13], v[14:15]
	v_add_u32_e32 v14, 0x1000, v1
	s_waitcnt vmcnt(0) lgkmcnt(0)
	ds_write_b128 v150, v[10:13]
	s_waitcnt lgkmcnt(0)
	s_barrier
	ds_read2_b64 v[10:13], v1 offset1:4
	ds_read2_b64 v[44:47], v14 offset0:64 offset1:68
	s_waitcnt lgkmcnt(1)
	v_mfma_f32_16x16x16f16 v[40:43], v[10:11], v[6:7], 0
	s_waitcnt lgkmcnt(0)
	v_mfma_f32_16x16x16f16 v[52:55], v[44:45], v[6:7], 0
	v_mfma_f32_16x16x16f16 v[10:13], v[12:13], v[8:9], v[40:43]
	;; [unrolled: 1-line block ×3, first 2 shown]
	s_nop 6
	ds_read2_b64 v[40:43], v1 offset0:8 offset1:12
	ds_read2_b64 v[44:47], v14 offset0:72 offset1:76
	s_waitcnt lgkmcnt(0)
	s_barrier
	v_mfma_f32_16x16x16f16 v[10:13], v[40:41], v[2:3], v[10:13]
	v_mfma_f32_16x16x16f16 v[52:55], v[44:45], v[2:3], v[6:9]
	;; [unrolled: 1-line block ×4, first 2 shown]
	s_cbranch_vccnz .LBB0_155
; %bb.154:                              ;   in Loop: Header=BB0_14 Depth=1
	v_add_u32_e32 v1, 0x2400, v100
	s_nop 5
	ds_read2_b32 v[10:11], v1 offset1:1
	ds_read_b32 v1, v103 offset:9216
	s_waitcnt lgkmcnt(1)
	v_cvt_f32_f16_e32 v12, v10
	v_cvt_f32_f16_sdwa v13, v10 dst_sel:DWORD dst_unused:UNUSED_PAD src0_sel:WORD_1
	v_cvt_f32_f16_e32 v10, v11
	v_cvt_f32_f16_sdwa v11, v11 dst_sel:DWORD dst_unused:UNUSED_PAD src0_sel:WORD_1
	v_pk_fma_f32 v[6:7], v[38:39], v[12:13], v[6:7] op_sel_hi:[0,1,1]
	v_pk_fma_f32 v[8:9], v[38:39], v[10:11], v[8:9] op_sel_hi:[0,1,1]
	s_waitcnt lgkmcnt(0)
	v_cvt_f32_f16_sdwa v11, v1 dst_sel:DWORD dst_unused:UNUSED_PAD src0_sel:WORD_1
	v_cvt_f32_f16_e32 v10, v1
	ds_read_b32 v1, v105 offset:9216
	v_pk_fma_f32 v[2:3], v[38:39], v[10:11], v[2:3] op_sel_hi:[0,1,1]
	s_waitcnt lgkmcnt(0)
	v_cvt_f32_f16_sdwa v13, v1 dst_sel:DWORD dst_unused:UNUSED_PAD src0_sel:WORD_1
	v_cvt_f32_f16_e32 v12, v1
	v_pk_fma_f32 v[4:5], v[38:39], v[12:13], v[4:5] op_sel_hi:[0,1,1]
.LBB0_155:                              ;   in Loop: Header=BB0_14 Depth=1
	s_nop 7
	s_nop 0
	v_add_f32_e32 v1, 0x40051340, v6
	v_max_f32_e32 v10, v39, v39
	v_cmp_gt_u32_e64 s[52:53], s28, v79
	v_max_f32_e32 v1, v10, v1
	v_cndmask_b32_e64 v1, v39, v1, s[52:53]
	v_add_f32_e32 v10, 0x40051340, v7
	v_max_f32_e32 v11, v1, v1
	v_cmp_gt_u32_e64 s[50:51], s28, v158
	v_max_f32_e32 v10, v11, v10
	v_cndmask_b32_e64 v1, v1, v10, s[50:51]
	v_add_f32_e32 v10, 0x40051340, v8
	v_max_f32_e32 v11, v1, v1
	v_cmp_gt_u32_e64 s[48:49], s28, v159
	v_max_f32_e32 v10, v11, v10
	v_cndmask_b32_e64 v1, v1, v10, s[48:49]
	v_add_f32_e32 v10, 0x40051340, v9
	v_max_f32_e32 v11, v1, v1
	v_cmp_gt_u32_e64 s[46:47], s28, v160
	v_max_f32_e32 v10, v11, v10
	v_cndmask_b32_e64 v1, v1, v10, s[46:47]
	v_add_f32_e32 v10, 0x40051340, v2
	v_max_f32_e32 v11, v1, v1
	v_cmp_gt_u32_e64 s[44:45], s28, v101
	v_max_f32_e32 v10, v11, v10
	v_cndmask_b32_e64 v1, v1, v10, s[44:45]
	v_add_f32_e32 v10, 0x40051340, v3
	v_max_f32_e32 v11, v1, v1
	v_cmp_gt_u32_e64 s[42:43], s28, v161
	v_max_f32_e32 v10, v11, v10
	v_cndmask_b32_e64 v1, v1, v10, s[42:43]
	v_add_f32_e32 v10, 0x40051340, v4
	v_max_f32_e32 v11, v1, v1
	v_cmp_gt_u32_e64 s[40:41], s28, v104
	v_max_f32_e32 v10, v11, v10
	v_cndmask_b32_e64 v1, v1, v10, s[40:41]
	v_add_f32_e32 v10, 0x40051340, v5
	v_max_f32_e32 v11, v1, v1
	v_cmp_gt_u32_e32 vcc, s28, v162
	v_max_f32_e32 v10, v11, v10
	v_cndmask_b32_e32 v1, v1, v10, vcc
	v_and_b32_e32 v10, 64, v170
	v_add_u32_e32 v10, 64, v10
	v_xor_b32_e32 v11, 32, v170
	v_cmp_lt_i32_e64 s[56:57], v11, v10
	v_cndmask_b32_e64 v11, v170, v11, s[56:57]
	v_lshlrev_b32_e32 v11, 2, v11
	ds_bpermute_b32 v12, v11, v1
	v_max_f32_e32 v1, v1, v1
	v_cndmask_b32_e64 v8, v8, v8, s[50:51]
	v_cndmask_b32_e64 v9, v9, v9, s[50:51]
	v_cndmask_b32_e64 v3, v3, v3, s[44:45]
	s_waitcnt lgkmcnt(0)
	v_max_f32_e32 v12, v12, v12
	v_max_f32_e32 v1, v1, v12
	v_xor_b32_e32 v12, 16, v170
	v_cmp_lt_i32_e64 s[56:57], v12, v10
	v_cndmask_b32_e64 v10, v170, v12, s[56:57]
	v_lshlrev_b32_e32 v13, 2, v10
	ds_bpermute_b32 v10, v13, v1
	v_cndmask_b32_e64 v5, v5, v5, s[44:45]
	v_cndmask_b32_e64 v4, v4, v4, s[44:45]
	s_mul_i32 s28, s86, s59
	s_mul_hi_u32 s30, s86, s58
	s_waitcnt lgkmcnt(0)
	v_max_f32_e32 v10, v10, v10
	v_max_f32_e32 v10, v1, v10
	v_sub_f32_e32 v1, v6, v10
	v_mul_f32_e32 v6, 0x3fb8aa3b, v1
	v_fma_f32 v12, v1, s82, -v6
	v_rndne_f32_e32 v14, v6
	v_fmac_f32_e32 v12, 0x32a5705f, v1
	v_sub_f32_e32 v6, v6, v14
	v_add_f32_e32 v6, v6, v12
	v_exp_f32_e32 v6, v6
	v_cvt_i32_f32_e32 v12, v14
	v_cmp_ngt_f32_e64 s[56:57], s84, v1
	v_sub_f32_e32 v2, v2, v10
	s_add_i32 s31, s30, s28
	v_ldexp_f32 v6, v6, v12
	v_cndmask_b32_e64 v6, 0, v6, s[56:57]
	v_cmp_nlt_f32_e64 s[56:57], s77, v1
	v_cndmask_b32_e64 v1, v168, v6, s[56:57]
	v_cndmask_b32_e64 v6, 0, v1, s[52:53]
	v_sub_f32_e32 v1, v7, v10
	v_mul_f32_e32 v7, 0x3fb8aa3b, v1
	v_fma_f32 v12, v1, s82, -v7
	v_rndne_f32_e32 v14, v7
	v_fmac_f32_e32 v12, 0x32a5705f, v1
	v_sub_f32_e32 v7, v7, v14
	v_add_f32_e32 v7, v7, v12
	v_exp_f32_e32 v7, v7
	v_cvt_i32_f32_e32 v12, v14
	v_cmp_ngt_f32_e64 s[52:53], s84, v1
	s_mul_i32 s30, s86, s58
	s_lshl_b64 s[30:31], s[30:31], 2
	v_ldexp_f32 v7, v7, v12
	v_cndmask_b32_e64 v7, 0, v7, s[52:53]
	v_cmp_nlt_f32_e64 s[52:53], s77, v1
	v_cndmask_b32_e64 v7, v168, v7, s[52:53]
	v_mov_b32_e32 v1, s87
	v_add_f32_e32 v12, v7, v6
	v_cndmask_b32_e64 v23, v1, v7, s[50:51]
	v_sub_f32_e32 v7, v8, v10
	v_mul_f32_e32 v8, 0x3fb8aa3b, v7
	v_cndmask_b32_e64 v1, v6, v12, s[50:51]
	v_fma_f32 v12, v7, s82, -v8
	v_rndne_f32_e32 v14, v8
	v_fmac_f32_e32 v12, 0x32a5705f, v7
	v_sub_f32_e32 v8, v8, v14
	v_add_f32_e32 v8, v8, v12
	v_exp_f32_e32 v8, v8
	v_cvt_i32_f32_e32 v12, v14
	v_cmp_ngt_f32_e64 s[50:51], s84, v7
	s_add_u32 s28, s93, s30
	s_addc_u32 s30, s80, s31
	v_ldexp_f32 v8, v8, v12
	v_cndmask_b32_e64 v8, 0, v8, s[50:51]
	v_cmp_nlt_f32_e64 s[50:51], s77, v7
	v_cndmask_b32_e64 v7, v168, v8, s[50:51]
	v_mov_b32_e32 v8, s87
	v_add_f32_e32 v12, v1, v7
	v_cndmask_b32_e64 v38, v8, v7, s[48:49]
	v_sub_f32_e32 v7, v9, v10
	v_mul_f32_e32 v8, 0x3fb8aa3b, v7
	v_cndmask_b32_e64 v1, v1, v12, s[48:49]
	v_fma_f32 v9, v7, s82, -v8
	v_rndne_f32_e32 v12, v8
	v_fmac_f32_e32 v9, 0x32a5705f, v7
	v_sub_f32_e32 v8, v8, v12
	v_add_f32_e32 v8, v8, v9
	v_exp_f32_e32 v8, v8
	v_cvt_i32_f32_e32 v9, v12
	v_cmp_ngt_f32_e64 s[48:49], s84, v7
	buffer_store_dword v134, off, s[0:3], 0
	buffer_store_dword v134, off, s[0:3], 0 offset:4
	buffer_store_dword v134, off, s[0:3], 0 offset:8
	;; [unrolled: 1-line block ×3, first 2 shown]
	s_cmp_eq_u64 s[8:9], 0
	v_ldexp_f32 v8, v8, v9
	v_cndmask_b32_e64 v8, 0, v8, s[48:49]
	v_cmp_nlt_f32_e64 s[48:49], s77, v7
	v_cndmask_b32_e64 v8, v168, v8, s[48:49]
	v_mov_b32_e32 v7, s87
	v_add_f32_e32 v9, v1, v8
	v_cndmask_b32_e64 v7, v7, v8, s[46:47]
	v_mul_f32_e32 v8, 0x3fb8aa3b, v2
	v_cndmask_b32_e64 v1, v1, v9, s[46:47]
	v_fma_f32 v9, v2, s82, -v8
	v_rndne_f32_e32 v12, v8
	v_fmac_f32_e32 v9, 0x32a5705f, v2
	v_sub_f32_e32 v8, v8, v12
	v_add_f32_e32 v8, v8, v9
	v_exp_f32_e32 v8, v8
	v_cvt_i32_f32_e32 v9, v12
	v_cmp_ngt_f32_e64 s[46:47], s84, v2
	v_ldexp_f32 v8, v8, v9
	v_cndmask_b32_e64 v8, 0, v8, s[46:47]
	v_cmp_nlt_f32_e64 s[46:47], s77, v2
	v_cndmask_b32_e64 v8, v168, v8, s[46:47]
	v_add_f32_e32 v9, v8, v1
	v_mov_b32_e32 v2, s87
	v_cndmask_b32_e64 v40, v2, v8, s[44:45]
	v_cndmask_b32_e64 v2, v1, v9, s[44:45]
	v_sub_f32_e32 v1, v3, v10
	v_mul_f32_e32 v3, 0x3fb8aa3b, v1
	v_fma_f32 v8, v1, s82, -v3
	v_rndne_f32_e32 v9, v3
	v_fmac_f32_e32 v8, 0x32a5705f, v1
	v_sub_f32_e32 v3, v3, v9
	v_add_f32_e32 v3, v3, v8
	v_exp_f32_e32 v3, v3
	v_cvt_i32_f32_e32 v8, v9
	v_cmp_ngt_f32_e64 s[44:45], s84, v1
	v_ldexp_f32 v3, v3, v8
	v_cndmask_b32_e64 v3, 0, v3, s[44:45]
	v_cmp_nlt_f32_e64 s[44:45], s77, v1
	v_cndmask_b32_e64 v3, v168, v3, s[44:45]
	v_add_f32_e32 v8, v3, v2
	v_mov_b32_e32 v1, s87
	v_cndmask_b32_e64 v41, v1, v3, s[42:43]
	v_cndmask_b32_e64 v1, v2, v8, s[42:43]
	v_sub_f32_e32 v2, v4, v10
	v_mul_f32_e32 v3, 0x3fb8aa3b, v2
	v_fma_f32 v4, v2, s82, -v3
	v_rndne_f32_e32 v8, v3
	v_fmac_f32_e32 v4, 0x32a5705f, v2
	v_sub_f32_e32 v3, v3, v8
	v_add_f32_e32 v3, v3, v4
	v_exp_f32_e32 v3, v3
	v_cvt_i32_f32_e32 v4, v8
	v_cmp_ngt_f32_e64 s[42:43], s84, v2
	v_ldexp_f32 v3, v3, v4
	v_cndmask_b32_e64 v3, 0, v3, s[42:43]
	v_cmp_nlt_f32_e64 s[42:43], s77, v2
	v_cndmask_b32_e64 v3, v168, v3, s[42:43]
	v_mov_b32_e32 v2, s87
	v_cndmask_b32_e64 v42, v2, v3, s[40:41]
	v_sub_f32_e32 v2, v5, v10
	v_add_f32_e32 v4, v3, v1
	v_mul_f32_e32 v3, 0x3fb8aa3b, v2
	v_cndmask_b32_e64 v1, v1, v4, s[40:41]
	v_fma_f32 v4, v2, s82, -v3
	v_rndne_f32_e32 v5, v3
	v_fmac_f32_e32 v4, 0x32a5705f, v2
	v_sub_f32_e32 v3, v3, v5
	v_add_f32_e32 v3, v3, v4
	v_exp_f32_e32 v3, v3
	v_cvt_i32_f32_e32 v4, v5
	v_cmp_ngt_f32_e64 s[40:41], s84, v2
	v_ldexp_f32 v3, v3, v4
	v_cndmask_b32_e64 v3, 0, v3, s[40:41]
	v_cmp_nlt_f32_e64 s[40:41], s77, v2
	v_cndmask_b32_e64 v2, v168, v3, s[40:41]
	v_add_f32_e32 v4, v2, v1
	v_mov_b32_e32 v3, s87
	v_cndmask_b32_e32 v14, v1, v4, vcc
	v_sub_f32_e32 v1, v39, v10
	v_cndmask_b32_e32 v3, v3, v2, vcc
	v_mul_f32_e32 v2, 0x3fb8aa3b, v1
	v_fma_f32 v4, v1, s82, -v2
	v_rndne_f32_e32 v5, v2
	v_fmac_f32_e32 v4, 0x32a5705f, v1
	v_sub_f32_e32 v2, v2, v5
	v_add_f32_e32 v2, v2, v4
	v_exp_f32_e32 v2, v2
	v_cvt_i32_f32_e32 v4, v5
	v_cmp_ngt_f32_e32 vcc, s84, v1
	v_cvt_f16_f32_e32 v5, v7
	v_cvt_f16_f32_e32 v3, v3
	v_ldexp_f32 v2, v2, v4
	v_cndmask_b32_e32 v2, 0, v2, vcc
	v_cmp_nlt_f32_e32 vcc, s77, v1
	v_cndmask_b32_e32 v2, v168, v2, vcc
	v_cmp_le_f32_e32 vcc, s85, v1
	v_cndmask_b32_e32 v1, 0, v2, vcc
	v_cvt_f16_f32_e32 v2, v1
	v_fmac_f32_e32 v14, v16, v1
	v_cvt_f16_f32_e32 v4, v23
	v_mov_b32_e32 v7, s30
	v_pk_mul_f16 v19, v2, v49 op_sel_hi:[0,1]
	v_pk_mul_f16 v1, v2, v51 op_sel_hi:[0,1]
	;; [unrolled: 1-line block ×8, first 2 shown]
	v_cvt_f16_f32_e32 v2, v6
	v_cvt_f16_f32_e32 v6, v41
	v_mov_b32_e32 v23, s89
	v_readlane_b32 s40, v187, 52
	v_pack_b32_f16 v4, v2, v4
	v_cvt_f16_f32_e32 v2, v38
	v_readlane_b32 s41, v187, 53
	v_pack_b32_f16 v5, v2, v5
	v_cvt_f16_f32_e32 v2, v40
	v_mov_b32_e32 v40, s88
	v_pack_b32_f16 v2, v2, v6
	v_cvt_f16_f32_e32 v6, v42
	v_pack_b32_f16 v3, v6, v3
	v_add_co_u32_e32 v6, vcc, s28, v28
	v_addc_co_u32_e32 v7, vcc, v7, v29, vcc
	v_add_co_u32_e32 v6, vcc, v6, v21
	v_addc_co_u32_e32 v7, vcc, 0, v7, vcc
	v_cndmask_b32_e64 v39, v23, v7, s[36:37]
	v_cndmask_b32_e64 v38, v40, v6, s[36:37]
	v_add_co_u32_e32 v6, vcc, s28, v30
	v_mov_b32_e32 v7, s30
	v_addc_co_u32_e32 v7, vcc, v7, v31, vcc
	v_add_co_u32_e32 v6, vcc, v6, v21
	v_cndmask_b32_e64 v6, v40, v6, s[38:39]
	flat_load_dwordx4 v[38:41], v[38:39]
	v_addc_co_u32_e32 v7, vcc, 0, v7, vcc
	v_cndmask_b32_e64 v7, v23, v7, s[38:39]
	s_cselect_b64 s[30:31], -1, 0
	s_xor_b64 s[36:37], s[40:41], -1
	s_or_b64 s[30:31], s[36:37], s[30:31]
	s_waitcnt vmcnt(0) lgkmcnt(0)
	ds_write_b128 v77, v[38:41]
	flat_load_dwordx4 v[38:41], v[6:7]
	s_waitcnt vmcnt(0) lgkmcnt(0)
	ds_write_b128 v150, v[38:41]
	s_waitcnt lgkmcnt(0)
	s_barrier
	ds_read_u16 v6, v81 offset:144
	ds_read_u16 v7, v81 offset:288
	v_cvt_f32_f16_e32 v38, v19
	v_cvt_f32_f16_sdwa v39, v19 dst_sel:DWORD dst_unused:UNUSED_PAD src0_sel:WORD_1
	v_cvt_f32_f16_e32 v40, v1
	v_cvt_f32_f16_sdwa v41, v1 dst_sel:DWORD dst_unused:UNUSED_PAD src0_sel:WORD_1
	ds_read_u16 v1, v82
	ds_read_u16 v19, v82 offset:32
	s_waitcnt lgkmcnt(1)
	v_perm_b32 v7, v1, v7, s26
	ds_read_u16 v1, v80
	ds_read_u16 v21, v80 offset:32
	ds_read_u16 v42, v80 offset:4608
	;; [unrolled: 1-line block ×5, first 2 shown]
	s_waitcnt lgkmcnt(5)
	v_perm_b32 v6, v6, v1, s26
	s_nop 1
	v_mfma_f32_16x16x16f16 v[38:41], v[6:7], v[4:5], v[38:41]
	s_nop 7
	s_nop 2
	v_cvt_f16_f32_e32 v6, v39
	v_cvt_f16_f32_e32 v7, v40
	;; [unrolled: 1-line block ×4, first 2 shown]
	v_cvt_f32_f16_e32 v39, v6
	v_cvt_f32_f16_e32 v40, v7
	s_waitcnt lgkmcnt(0)
	v_perm_b32 v7, v45, v44, s26
	v_perm_b32 v6, v43, v42, s26
	v_cvt_f32_f16_e32 v38, v1
	v_cvt_f32_f16_e32 v41, v23
	s_nop 1
	v_mfma_f32_16x16x16f16 v[38:41], v[6:7], v[2:3], v[38:41]
	s_nop 7
	s_nop 2
	v_cvt_f16_f32_e32 v1, v38
	v_cvt_f16_f32_e32 v6, v39
	;; [unrolled: 1-line block ×4, first 2 shown]
	v_cvt_f32_f16_e32 v38, v17
	v_pack_b32_f16 v6, v1, v6
	v_cvt_f32_f16_sdwa v39, v17 dst_sel:DWORD dst_unused:UNUSED_PAD src0_sel:WORD_1
	v_pack_b32_f16 v1, v7, v23
	ds_read_u16 v7, v152 offset:144
	ds_read_u16 v23, v152 offset:288
	v_cvt_f32_f16_e32 v40, v8
	v_cvt_f32_f16_sdwa v41, v8 dst_sel:DWORD dst_unused:UNUSED_PAD src0_sel:WORD_1
	s_waitcnt lgkmcnt(1)
	v_perm_b32 v42, v7, v21, s26
	s_waitcnt lgkmcnt(0)
	v_perm_b32 v43, v19, v23, s26
	s_nop 1
	v_mfma_f32_16x16x16f16 v[38:41], v[42:43], v[4:5], v[38:41]
	ds_read_u16 v21, v83 offset:4608
	ds_read_u16 v23, v84 offset:144
	;; [unrolled: 1-line block ×4, first 2 shown]
	s_waitcnt lgkmcnt(0)
	v_perm_b32 v43, v43, v42, s26
	v_perm_b32 v42, v23, v21, s26
	s_nop 3
	v_cvt_f16_f32_e32 v7, v38
	v_cvt_f16_f32_e32 v8, v39
	;; [unrolled: 1-line block ×4, first 2 shown]
	v_cvt_f32_f16_e32 v38, v7
	v_cvt_f32_f16_e32 v39, v8
	;; [unrolled: 1-line block ×4, first 2 shown]
	s_nop 1
	v_mfma_f32_16x16x16f16 v[38:41], v[42:43], v[2:3], v[38:41]
	s_nop 7
	s_nop 2
	v_cvt_f16_f32_e32 v7, v38
	v_cvt_f16_f32_e32 v8, v39
	;; [unrolled: 1-line block ×4, first 2 shown]
	v_cvt_f32_f16_e32 v38, v12
	v_pack_b32_f16 v8, v7, v8
	v_cvt_f32_f16_sdwa v39, v12 dst_sel:DWORD dst_unused:UNUSED_PAD src0_sel:WORD_1
	v_pack_b32_f16 v7, v17, v19
	ds_read_u16 v17, v80 offset:64
	ds_read_u16 v19, v154 offset:144
	;; [unrolled: 1-line block ×4, first 2 shown]
	v_cvt_f32_f16_e32 v40, v9
	v_cvt_f32_f16_sdwa v41, v9 dst_sel:DWORD dst_unused:UNUSED_PAD src0_sel:WORD_1
	s_waitcnt lgkmcnt(2)
	v_perm_b32 v42, v19, v17, s26
	s_waitcnt lgkmcnt(0)
	v_perm_b32 v43, v23, v21, s26
	s_nop 1
	v_mfma_f32_16x16x16f16 v[38:41], v[42:43], v[4:5], v[38:41]
	ds_read_u16 v21, v86 offset:4608
	ds_read_u16 v23, v87 offset:144
	;; [unrolled: 1-line block ×4, first 2 shown]
	s_waitcnt lgkmcnt(0)
	v_perm_b32 v43, v43, v42, s26
	v_perm_b32 v42, v23, v21, s26
	s_nop 3
	v_cvt_f16_f32_e32 v9, v38
	v_cvt_f16_f32_e32 v12, v39
	;; [unrolled: 1-line block ×4, first 2 shown]
	v_cvt_f32_f16_e32 v38, v9
	v_cvt_f32_f16_e32 v39, v12
	;; [unrolled: 1-line block ×4, first 2 shown]
	s_nop 1
	v_mfma_f32_16x16x16f16 v[38:41], v[42:43], v[2:3], v[38:41]
	s_nop 7
	s_nop 2
	v_cvt_f16_f32_e32 v9, v38
	v_cvt_f16_f32_e32 v12, v39
	;; [unrolled: 1-line block ×4, first 2 shown]
	v_cvt_f32_f16_e32 v38, v16
	v_pack_b32_f16 v12, v9, v12
	v_cvt_f32_f16_sdwa v39, v16 dst_sel:DWORD dst_unused:UNUSED_PAD src0_sel:WORD_1
	v_pack_b32_f16 v9, v17, v19
	ds_read_u16 v19, v80 offset:96
	ds_read_u16 v21, v156 offset:144
	ds_read_u16 v17, v156 offset:288
	ds_read_u16 v23, v82 offset:96
	v_cvt_f32_f16_e32 v40, v15
	v_cvt_f32_f16_sdwa v41, v15 dst_sel:DWORD dst_unused:UNUSED_PAD src0_sel:WORD_1
	s_waitcnt lgkmcnt(2)
	v_perm_b32 v16, v21, v19, s26
	s_waitcnt lgkmcnt(0)
	v_perm_b32 v17, v23, v17, s26
	s_nop 1
	v_mfma_f32_16x16x16f16 v[38:41], v[16:17], v[4:5], v[38:41]
	ds_read_u16 v17, v89 offset:4608
	ds_read_u16 v19, v90 offset:144
	;; [unrolled: 1-line block ×4, first 2 shown]
	s_waitcnt lgkmcnt(0)
	s_barrier
	s_nop 4
	v_cvt_f16_f32_e32 v4, v38
	v_cvt_f16_f32_e32 v5, v39
	;; [unrolled: 1-line block ×4, first 2 shown]
	v_cvt_f32_f16_e32 v38, v4
	v_cvt_f32_f16_e32 v39, v5
	v_perm_b32 v5, v23, v21, s26
	v_perm_b32 v4, v19, v17, s26
	v_cvt_f32_f16_e32 v40, v15
	v_cvt_f32_f16_e32 v41, v16
	s_nop 1
	v_mfma_f32_16x16x16f16 v[2:5], v[4:5], v[2:3], v[38:41]
	s_nop 7
	s_nop 2
	v_cvt_f16_f32_e32 v2, v2
	v_cvt_f16_f32_e32 v3, v3
	;; [unrolled: 1-line block ×4, first 2 shown]
	v_pack_b32_f16 v2, v2, v3
	v_pack_b32_f16 v3, v4, v5
	ds_bpermute_b32 v4, v11, v14
	s_waitcnt lgkmcnt(0)
	v_add_f32_e32 v4, v14, v4
	ds_bpermute_b32 v5, v13, v4
	s_waitcnt lgkmcnt(0)
	v_add_f32_e32 v11, v4, v5
	s_and_saveexec_b64 s[36:37], s[30:31]
	s_xor_b64 s[30:31], exec, s[36:37]
	s_andn2_saveexec_b64 s[30:31], s[30:31]
	s_cbranch_execz .LBB0_157
; %bb.156:                              ;   in Loop: Header=BB0_14 Depth=1
	global_load_dword v5, v134, s[8:9]
	v_max_f32_e32 v14, v10, v10
	s_waitcnt vmcnt(0)
	v_max_f32_e32 v4, v5, v5
	v_max_f32_e32 v4, v14, v4
	v_sub_f32_e32 v10, v10, v4
	v_mul_f32_e32 v14, 0x3fb8aa3b, v10
	v_fma_f32 v15, v10, s82, -v14
	v_rndne_f32_e32 v16, v14
	v_fmac_f32_e32 v15, 0x32a5705f, v10
	v_sub_f32_e32 v14, v14, v16
	v_add_f32_e32 v14, v14, v15
	v_exp_f32_e32 v14, v14
	v_cvt_i32_f32_e32 v15, v16
	v_cmp_ngt_f32_e32 vcc, s84, v10
	v_sub_f32_e32 v5, v5, v4
	v_ldexp_f32 v14, v14, v15
	v_cndmask_b32_e32 v14, 0, v14, vcc
	v_cmp_nlt_f32_e32 vcc, s77, v10
	v_cndmask_b32_e32 v14, v168, v14, vcc
	v_cmp_le_f32_e32 vcc, s85, v10
	v_cndmask_b32_e32 v10, 0, v14, vcc
	v_cvt_f16_f32_e32 v14, v10
	v_cmp_ngt_f32_e32 vcc, s84, v5
	v_pk_mul_f16 v6, v14, v6 op_sel_hi:[0,1]
	v_pk_mul_f16 v1, v14, v1 op_sel_hi:[0,1]
	;; [unrolled: 1-line block ×8, first 2 shown]
	v_mul_f32_e32 v14, 0x3fb8aa3b, v5
	v_fma_f32 v15, v5, s82, -v14
	v_rndne_f32_e32 v16, v14
	v_fmac_f32_e32 v15, 0x32a5705f, v5
	v_sub_f32_e32 v14, v14, v16
	v_add_f32_e32 v14, v14, v15
	v_exp_f32_e32 v14, v14
	v_cvt_i32_f32_e32 v15, v16
	v_ldexp_f32 v14, v14, v15
	v_cndmask_b32_e32 v14, 0, v14, vcc
	v_cmp_nlt_f32_e32 vcc, s77, v5
	v_cndmask_b32_e32 v5, v168, v14, vcc
	v_fmac_f32_e32 v5, v11, v10
	v_pk_mov_b32 v[10:11], v[4:5], v[4:5] op_sel:[0,1]
.LBB0_157:                              ;   in Loop: Header=BB0_14 Depth=1
	s_or_b64 exec, exec, s[30:31]
	s_mov_b64 s[8:9], exec
	v_readlane_b32 s30, v187, 56
	v_readlane_b32 s31, v187, 57
	s_and_b64 s[30:31], s[8:9], s[30:31]
	v_readlane_b32 s45, v187, 62
	s_mov_b64 exec, s[30:31]
	s_cbranch_execz .LBB0_159
; %bb.158:                              ;   in Loop: Header=BB0_14 Depth=1
	v_add_u32_e32 v4, 0, v106
	ds_write2_b32 v4, v10, v11 offset0:32 offset1:33
.LBB0_159:                              ;   in Loop: Header=BB0_14 Depth=1
	s_or_b64 exec, exec, s[8:9]
	s_waitcnt lgkmcnt(0)
	s_barrier
	s_mov_b64 s[8:9], exec
	v_readlane_b32 s30, v187, 54
	v_readlane_b32 s31, v187, 55
	s_and_b64 s[30:31], s[8:9], s[30:31]
	s_xor_b64 s[8:9], s[30:31], s[8:9]
	s_mov_b64 exec, s[30:31]
	s_cbranch_execz .LBB0_161
; %bb.160:                              ;   in Loop: Header=BB0_14 Depth=1
	s_barrier
	s_waitcnt lgkmcnt(0)
                                        ; implicit-def: $vgpr13
.LBB0_161:                              ;   in Loop: Header=BB0_14 Depth=1
	s_andn2_saveexec_b64 s[8:9], s[8:9]
	s_cbranch_execz .LBB0_165
; %bb.162:                              ;   in Loop: Header=BB0_14 Depth=1
	v_add_u32_e32 v10, 0, v107
	ds_read_b64 v[4:5], v10 offset:128
	s_waitcnt lgkmcnt(0)
	s_barrier
	ds_bpermute_b32 v11, v13, v4
	v_max_f32_e32 v14, v4, v4
	s_waitcnt lgkmcnt(0)
	v_max_f32_e32 v11, v11, v11
	v_max_f32_e32 v11, v14, v11
	v_sub_f32_e32 v4, v4, v11
	v_mul_f32_e32 v11, 0x3fb8aa3b, v4
	v_fma_f32 v14, v4, s82, -v11
	v_rndne_f32_e32 v15, v11
	v_fmac_f32_e32 v14, 0x32a5705f, v4
	v_sub_f32_e32 v11, v11, v15
	v_add_f32_e32 v11, v11, v14
	v_cvt_i32_f32_e32 v15, v15
	v_exp_f32_e32 v11, v11
	v_cmp_ngt_f32_e32 vcc, s84, v4
	v_ldexp_f32 v11, v11, v15
	v_cndmask_b32_e32 v11, 0, v11, vcc
	v_cmp_nlt_f32_e32 vcc, s77, v4
	v_cndmask_b32_e32 v4, v168, v11, vcc
	v_mul_f32_e32 v5, v5, v4
	ds_bpermute_b32 v11, v13, v5
	s_mov_b64 s[30:31], exec
	v_readlane_b32 s36, v187, 58
	v_readlane_b32 s37, v187, 59
	s_and_b64 s[36:37], s[30:31], s[36:37]
	s_mov_b64 exec, s[36:37]
	s_cbranch_execz .LBB0_164
; %bb.163:                              ;   in Loop: Header=BB0_14 Depth=1
	s_waitcnt lgkmcnt(0)
	v_add_f32_e32 v5, v5, v11
	ds_write_b64 v10, v[4:5] offset:128
.LBB0_164:                              ;   in Loop: Header=BB0_14 Depth=1
	s_or_b64 exec, exec, s[30:31]
.LBB0_165:                              ;   in Loop: Header=BB0_14 Depth=1
	s_or_b64 exec, exec, s[8:9]
	ds_write2_b32 v108, v6, v1 offset1:1
	ds_write2_b32 v108, v8, v7 offset0:8 offset1:9
	ds_write2_b32 v108, v12, v9 offset0:16 offset1:17
	;; [unrolled: 1-line block ×3, first 2 shown]
	s_waitcnt lgkmcnt(0)
	s_barrier
	s_and_saveexec_b64 s[8:9], s[40:41]
	s_cbranch_execz .LBB0_12
; %bb.166:                              ;   in Loop: Header=BB0_14 Depth=1
	v_add_u32_e32 v2, s29, v92
	v_cmp_gt_i32_e32 vcc, s76, v2
	v_mov_b32_e32 v1, 0x47
	s_and_saveexec_b64 s[30:31], vcc
	s_cbranch_execz .LBB0_168
; %bb.167:                              ;   in Loop: Header=BB0_14 Depth=1
	v_readlane_b32 s28, v187, 42
	v_add_u32_e32 v6, 0, v110
	v_mul_lo_u32 v1, s28, v2
	ds_read2_b32 v[2:3], v6 offset0:32 offset1:33
	ds_read2st64_b32 v[4:5], v111 offset1:9
	ds_read_b32 v6, v6 offset:2432
	v_or_b32_e32 v8, v1, v26
	v_ashrrev_i32_e32 v9, 31, v8
	v_lshlrev_b64 v[8:9], 3, v[8:9]
	s_waitcnt lgkmcnt(1)
	v_cvt_f32_f16_sdwa v11, v4 dst_sel:DWORD dst_unused:UNUSED_PAD src0_sel:WORD_1
	v_cvt_f32_f16_e32 v10, v4
	v_cvt_f32_f16_sdwa v13, v5 dst_sel:DWORD dst_unused:UNUSED_PAD src0_sel:WORD_1
	v_cvt_f32_f16_e32 v12, v5
	v_readlane_b32 s28, v186, 0
	v_add_co_u32_e32 v8, vcc, s28, v8
	v_readlane_b32 s28, v186, 1
	v_pk_fma_f32 v[10:11], v[2:3], v[10:11], 0 op_sel_hi:[0,1,0]
	v_mov_b32_e32 v1, s28
	s_waitcnt lgkmcnt(0)
	v_pk_fma_f32 v[4:5], v[6:7], v[12:13], v[10:11] op_sel_hi:[0,1,1]
	v_addc_co_u32_e32 v9, vcc, v1, v9, vcc
	v_div_scale_f32 v1, s[36:37], v3, v3, v5
	v_rcp_f32_e32 v2, v1
	v_fma_f32 v6, -v1, v2, 1.0
	v_fmac_f32_e32 v2, v6, v2
	v_div_scale_f32 v6, vcc, v5, v3, v5
	v_mul_f32_e32 v7, v6, v2
	v_fma_f32 v10, -v1, v7, v6
	v_fmac_f32_e32 v7, v10, v2
	v_fma_f32 v1, -v1, v7, v6
	v_div_fmas_f32 v1, v1, v2, v7
	v_div_fixup_f32 v5, v1, v3, v5
	v_div_scale_f32 v1, s[36:37], v3, v3, v4
	v_rcp_f32_e32 v2, v1
	v_fma_f32 v6, -v1, v2, 1.0
	v_fmac_f32_e32 v2, v6, v2
	v_div_scale_f32 v6, vcc, v4, v3, v4
	v_mul_f32_e32 v7, v6, v2
	v_fma_f32 v10, -v1, v7, v6
	v_fmac_f32_e32 v7, v10, v2
	v_fma_f32 v1, -v1, v7, v6
	v_div_fmas_f32 v1, v1, v2, v7
	v_div_fixup_f32 v4, v1, v3, v4
	v_mov_b32_e32 v1, 0
	global_store_dwordx2 v[8:9], v[4:5], off
.LBB0_168:                              ;   in Loop: Header=BB0_14 Depth=1
	s_or_b64 exec, exec, s[30:31]
	s_movk_i32 s28, 0x47
	v_cmp_gt_i32_e32 vcc, s28, v1
	s_mov_b64 s[30:31], -1
	s_and_saveexec_b64 s[36:37], vcc
; %bb.169:                              ;   in Loop: Header=BB0_14 Depth=1
	v_cmp_eq_u32_e32 vcc, 0, v1
	s_orn2_b64 s[30:31], vcc, exec
; %bb.170:                              ;   in Loop: Header=BB0_14 Depth=1
	s_or_b64 exec, exec, s[36:37]
	s_and_b64 exec, exec, s[30:31]
	s_cbranch_execz .LBB0_12
; %bb.171:                              ;   in Loop: Header=BB0_14 Depth=1
	v_add_u32_e32 v2, s29, v93
	v_cmp_gt_i32_e32 vcc, s76, v2
	v_mov_b32_e32 v1, 0x47
	s_and_saveexec_b64 s[30:31], vcc
	s_cbranch_execz .LBB0_173
; %bb.172:                              ;   in Loop: Header=BB0_14 Depth=1
	v_readlane_b32 s28, v187, 42
	v_add_u32_e32 v6, 0, v112
	v_mul_lo_u32 v1, s28, v2
	ds_read2_b32 v[2:3], v6 offset0:32 offset1:33
	ds_read2st64_b32 v[4:5], v113 offset1:9
	ds_read_b32 v6, v6 offset:2432
	v_or_b32_e32 v8, v1, v26
	v_ashrrev_i32_e32 v9, 31, v8
	v_lshlrev_b64 v[8:9], 3, v[8:9]
	s_waitcnt lgkmcnt(1)
	v_cvt_f32_f16_sdwa v11, v4 dst_sel:DWORD dst_unused:UNUSED_PAD src0_sel:WORD_1
	v_cvt_f32_f16_e32 v10, v4
	v_cvt_f32_f16_sdwa v13, v5 dst_sel:DWORD dst_unused:UNUSED_PAD src0_sel:WORD_1
	v_cvt_f32_f16_e32 v12, v5
	v_readlane_b32 s28, v186, 0
	v_add_co_u32_e32 v8, vcc, s28, v8
	v_readlane_b32 s28, v186, 1
	v_pk_fma_f32 v[10:11], v[2:3], v[10:11], 0 op_sel_hi:[0,1,0]
	v_mov_b32_e32 v1, s28
	s_waitcnt lgkmcnt(0)
	v_pk_fma_f32 v[4:5], v[6:7], v[12:13], v[10:11] op_sel_hi:[0,1,1]
	v_addc_co_u32_e32 v9, vcc, v1, v9, vcc
	v_div_scale_f32 v1, s[36:37], v3, v3, v5
	v_rcp_f32_e32 v2, v1
	v_fma_f32 v6, -v1, v2, 1.0
	v_fmac_f32_e32 v2, v6, v2
	v_div_scale_f32 v6, vcc, v5, v3, v5
	v_mul_f32_e32 v7, v6, v2
	v_fma_f32 v10, -v1, v7, v6
	v_fmac_f32_e32 v7, v10, v2
	v_fma_f32 v1, -v1, v7, v6
	v_div_fmas_f32 v1, v1, v2, v7
	v_div_fixup_f32 v5, v1, v3, v5
	v_div_scale_f32 v1, s[36:37], v3, v3, v4
	v_rcp_f32_e32 v2, v1
	v_fma_f32 v6, -v1, v2, 1.0
	v_fmac_f32_e32 v2, v6, v2
	v_div_scale_f32 v6, vcc, v4, v3, v4
	v_mul_f32_e32 v7, v6, v2
	v_fma_f32 v10, -v1, v7, v6
	v_fmac_f32_e32 v7, v10, v2
	v_fma_f32 v1, -v1, v7, v6
	v_div_fmas_f32 v1, v1, v2, v7
	v_div_fixup_f32 v4, v1, v3, v4
	v_mov_b32_e32 v1, 0
	global_store_dwordx2 v[8:9], v[4:5], off
.LBB0_173:                              ;   in Loop: Header=BB0_14 Depth=1
	s_or_b64 exec, exec, s[30:31]
	s_movk_i32 s28, 0x47
	v_cmp_gt_i32_e32 vcc, s28, v1
	s_mov_b64 s[30:31], -1
	s_and_saveexec_b64 s[36:37], vcc
; %bb.174:                              ;   in Loop: Header=BB0_14 Depth=1
	v_cmp_eq_u32_e32 vcc, 0, v1
	s_orn2_b64 s[30:31], vcc, exec
; %bb.175:                              ;   in Loop: Header=BB0_14 Depth=1
	s_or_b64 exec, exec, s[36:37]
	s_and_b64 exec, exec, s[30:31]
	s_cbranch_execz .LBB0_12
; %bb.176:                              ;   in Loop: Header=BB0_14 Depth=1
	v_add_u32_e32 v2, s29, v94
	v_cmp_gt_i32_e32 vcc, s76, v2
	v_mov_b32_e32 v1, 0x47
	s_and_saveexec_b64 s[30:31], vcc
	s_cbranch_execz .LBB0_178
; %bb.177:                              ;   in Loop: Header=BB0_14 Depth=1
	v_readlane_b32 s28, v187, 42
	v_add_u32_e32 v6, 0, v114
	v_mul_lo_u32 v1, s28, v2
	ds_read2_b32 v[2:3], v6 offset0:32 offset1:33
	ds_read2st64_b32 v[4:5], v115 offset1:9
	ds_read_b32 v6, v6 offset:2432
	v_or_b32_e32 v8, v1, v26
	v_ashrrev_i32_e32 v9, 31, v8
	v_lshlrev_b64 v[8:9], 3, v[8:9]
	s_waitcnt lgkmcnt(1)
	v_cvt_f32_f16_sdwa v11, v4 dst_sel:DWORD dst_unused:UNUSED_PAD src0_sel:WORD_1
	v_cvt_f32_f16_e32 v10, v4
	v_cvt_f32_f16_sdwa v13, v5 dst_sel:DWORD dst_unused:UNUSED_PAD src0_sel:WORD_1
	v_cvt_f32_f16_e32 v12, v5
	v_readlane_b32 s28, v186, 0
	v_add_co_u32_e32 v8, vcc, s28, v8
	v_readlane_b32 s28, v186, 1
	v_pk_fma_f32 v[10:11], v[2:3], v[10:11], 0 op_sel_hi:[0,1,0]
	v_mov_b32_e32 v1, s28
	s_waitcnt lgkmcnt(0)
	v_pk_fma_f32 v[4:5], v[6:7], v[12:13], v[10:11] op_sel_hi:[0,1,1]
	v_addc_co_u32_e32 v9, vcc, v1, v9, vcc
	v_div_scale_f32 v1, s[36:37], v3, v3, v5
	v_rcp_f32_e32 v2, v1
	v_fma_f32 v6, -v1, v2, 1.0
	v_fmac_f32_e32 v2, v6, v2
	v_div_scale_f32 v6, vcc, v5, v3, v5
	v_mul_f32_e32 v7, v6, v2
	v_fma_f32 v10, -v1, v7, v6
	v_fmac_f32_e32 v7, v10, v2
	v_fma_f32 v1, -v1, v7, v6
	v_div_fmas_f32 v1, v1, v2, v7
	v_div_fixup_f32 v5, v1, v3, v5
	v_div_scale_f32 v1, s[36:37], v3, v3, v4
	v_rcp_f32_e32 v2, v1
	v_fma_f32 v6, -v1, v2, 1.0
	v_fmac_f32_e32 v2, v6, v2
	v_div_scale_f32 v6, vcc, v4, v3, v4
	v_mul_f32_e32 v7, v6, v2
	v_fma_f32 v10, -v1, v7, v6
	v_fmac_f32_e32 v7, v10, v2
	v_fma_f32 v1, -v1, v7, v6
	v_div_fmas_f32 v1, v1, v2, v7
	v_div_fixup_f32 v4, v1, v3, v4
	v_mov_b32_e32 v1, 0
	global_store_dwordx2 v[8:9], v[4:5], off
.LBB0_178:                              ;   in Loop: Header=BB0_14 Depth=1
	s_or_b64 exec, exec, s[30:31]
	s_movk_i32 s28, 0x47
	v_cmp_gt_i32_e32 vcc, s28, v1
	s_mov_b64 s[30:31], -1
	s_and_saveexec_b64 s[36:37], vcc
; %bb.179:                              ;   in Loop: Header=BB0_14 Depth=1
	v_cmp_eq_u32_e32 vcc, 0, v1
	s_orn2_b64 s[30:31], vcc, exec
; %bb.180:                              ;   in Loop: Header=BB0_14 Depth=1
	s_or_b64 exec, exec, s[36:37]
	s_and_b64 exec, exec, s[30:31]
	s_cbranch_execz .LBB0_12
; %bb.181:                              ;   in Loop: Header=BB0_14 Depth=1
	v_add_u32_e32 v2, s29, v95
	v_cmp_gt_i32_e32 vcc, s76, v2
	v_mov_b32_e32 v1, 0x47
	s_and_saveexec_b64 s[30:31], vcc
	s_cbranch_execz .LBB0_183
; %bb.182:                              ;   in Loop: Header=BB0_14 Depth=1
	v_readlane_b32 s28, v187, 42
	v_add_u32_e32 v6, 0, v116
	v_mul_lo_u32 v1, s28, v2
	ds_read2_b32 v[2:3], v6 offset0:32 offset1:33
	ds_read2st64_b32 v[4:5], v117 offset1:9
	ds_read_b32 v6, v6 offset:2432
	v_or_b32_e32 v8, v1, v26
	v_ashrrev_i32_e32 v9, 31, v8
	v_lshlrev_b64 v[8:9], 3, v[8:9]
	s_waitcnt lgkmcnt(1)
	v_cvt_f32_f16_sdwa v11, v4 dst_sel:DWORD dst_unused:UNUSED_PAD src0_sel:WORD_1
	v_cvt_f32_f16_e32 v10, v4
	v_cvt_f32_f16_sdwa v13, v5 dst_sel:DWORD dst_unused:UNUSED_PAD src0_sel:WORD_1
	v_cvt_f32_f16_e32 v12, v5
	v_readlane_b32 s28, v186, 0
	v_add_co_u32_e32 v8, vcc, s28, v8
	v_readlane_b32 s28, v186, 1
	v_pk_fma_f32 v[10:11], v[2:3], v[10:11], 0 op_sel_hi:[0,1,0]
	v_mov_b32_e32 v1, s28
	s_waitcnt lgkmcnt(0)
	v_pk_fma_f32 v[4:5], v[6:7], v[12:13], v[10:11] op_sel_hi:[0,1,1]
	v_addc_co_u32_e32 v9, vcc, v1, v9, vcc
	v_div_scale_f32 v1, s[36:37], v3, v3, v5
	v_rcp_f32_e32 v2, v1
	v_fma_f32 v6, -v1, v2, 1.0
	v_fmac_f32_e32 v2, v6, v2
	v_div_scale_f32 v6, vcc, v5, v3, v5
	v_mul_f32_e32 v7, v6, v2
	v_fma_f32 v10, -v1, v7, v6
	v_fmac_f32_e32 v7, v10, v2
	v_fma_f32 v1, -v1, v7, v6
	v_div_fmas_f32 v1, v1, v2, v7
	v_div_fixup_f32 v5, v1, v3, v5
	v_div_scale_f32 v1, s[36:37], v3, v3, v4
	v_rcp_f32_e32 v2, v1
	v_fma_f32 v6, -v1, v2, 1.0
	v_fmac_f32_e32 v2, v6, v2
	v_div_scale_f32 v6, vcc, v4, v3, v4
	v_mul_f32_e32 v7, v6, v2
	v_fma_f32 v10, -v1, v7, v6
	v_fmac_f32_e32 v7, v10, v2
	v_fma_f32 v1, -v1, v7, v6
	v_div_fmas_f32 v1, v1, v2, v7
	v_div_fixup_f32 v4, v1, v3, v4
	v_mov_b32_e32 v1, 0
	global_store_dwordx2 v[8:9], v[4:5], off
.LBB0_183:                              ;   in Loop: Header=BB0_14 Depth=1
	s_or_b64 exec, exec, s[30:31]
	s_movk_i32 s28, 0x47
	v_cmp_gt_i32_e32 vcc, s28, v1
	s_mov_b64 s[30:31], -1
	s_and_saveexec_b64 s[36:37], vcc
; %bb.184:                              ;   in Loop: Header=BB0_14 Depth=1
	v_cmp_eq_u32_e32 vcc, 0, v1
	s_orn2_b64 s[30:31], vcc, exec
; %bb.185:                              ;   in Loop: Header=BB0_14 Depth=1
	s_or_b64 exec, exec, s[36:37]
	s_and_b64 exec, exec, s[30:31]
	s_cbranch_execz .LBB0_12
; %bb.186:                              ;   in Loop: Header=BB0_14 Depth=1
	v_add_u32_e32 v2, s29, v96
	v_cmp_gt_i32_e32 vcc, s76, v2
	v_mov_b32_e32 v1, 0x47
	s_and_saveexec_b64 s[30:31], vcc
	s_cbranch_execz .LBB0_188
; %bb.187:                              ;   in Loop: Header=BB0_14 Depth=1
	v_readlane_b32 s28, v187, 42
	v_add_u32_e32 v6, 0, v118
	v_mul_lo_u32 v1, s28, v2
	ds_read2_b32 v[2:3], v6 offset0:32 offset1:33
	ds_read2st64_b32 v[4:5], v119 offset1:9
	ds_read_b32 v6, v6 offset:2432
	v_or_b32_e32 v8, v1, v26
	v_ashrrev_i32_e32 v9, 31, v8
	v_lshlrev_b64 v[8:9], 3, v[8:9]
	s_waitcnt lgkmcnt(1)
	v_cvt_f32_f16_sdwa v11, v4 dst_sel:DWORD dst_unused:UNUSED_PAD src0_sel:WORD_1
	v_cvt_f32_f16_e32 v10, v4
	v_cvt_f32_f16_sdwa v13, v5 dst_sel:DWORD dst_unused:UNUSED_PAD src0_sel:WORD_1
	v_cvt_f32_f16_e32 v12, v5
	v_readlane_b32 s28, v186, 0
	v_add_co_u32_e32 v8, vcc, s28, v8
	v_readlane_b32 s28, v186, 1
	v_pk_fma_f32 v[10:11], v[2:3], v[10:11], 0 op_sel_hi:[0,1,0]
	v_mov_b32_e32 v1, s28
	s_waitcnt lgkmcnt(0)
	v_pk_fma_f32 v[4:5], v[6:7], v[12:13], v[10:11] op_sel_hi:[0,1,1]
	v_addc_co_u32_e32 v9, vcc, v1, v9, vcc
	v_div_scale_f32 v1, s[36:37], v3, v3, v5
	v_rcp_f32_e32 v2, v1
	v_fma_f32 v6, -v1, v2, 1.0
	v_fmac_f32_e32 v2, v6, v2
	v_div_scale_f32 v6, vcc, v5, v3, v5
	v_mul_f32_e32 v7, v6, v2
	v_fma_f32 v10, -v1, v7, v6
	v_fmac_f32_e32 v7, v10, v2
	v_fma_f32 v1, -v1, v7, v6
	v_div_fmas_f32 v1, v1, v2, v7
	v_div_fixup_f32 v5, v1, v3, v5
	v_div_scale_f32 v1, s[36:37], v3, v3, v4
	v_rcp_f32_e32 v2, v1
	v_fma_f32 v6, -v1, v2, 1.0
	v_fmac_f32_e32 v2, v6, v2
	v_div_scale_f32 v6, vcc, v4, v3, v4
	v_mul_f32_e32 v7, v6, v2
	v_fma_f32 v10, -v1, v7, v6
	v_fmac_f32_e32 v7, v10, v2
	v_fma_f32 v1, -v1, v7, v6
	v_div_fmas_f32 v1, v1, v2, v7
	v_div_fixup_f32 v4, v1, v3, v4
	v_mov_b32_e32 v1, 0
	global_store_dwordx2 v[8:9], v[4:5], off
.LBB0_188:                              ;   in Loop: Header=BB0_14 Depth=1
	s_or_b64 exec, exec, s[30:31]
	s_movk_i32 s28, 0x47
	v_cmp_gt_i32_e32 vcc, s28, v1
	s_mov_b64 s[30:31], -1
	s_and_saveexec_b64 s[36:37], vcc
; %bb.189:                              ;   in Loop: Header=BB0_14 Depth=1
	v_cmp_eq_u32_e32 vcc, 0, v1
	s_orn2_b64 s[30:31], vcc, exec
; %bb.190:                              ;   in Loop: Header=BB0_14 Depth=1
	s_or_b64 exec, exec, s[36:37]
	s_and_b64 exec, exec, s[30:31]
	s_cbranch_execz .LBB0_12
; %bb.191:                              ;   in Loop: Header=BB0_14 Depth=1
	v_add_u32_e32 v2, s29, v97
	v_cmp_gt_i32_e32 vcc, s76, v2
	v_mov_b32_e32 v1, 0x47
	s_and_saveexec_b64 s[30:31], vcc
	s_cbranch_execz .LBB0_193
; %bb.192:                              ;   in Loop: Header=BB0_14 Depth=1
	v_readlane_b32 s28, v187, 42
	v_add_u32_e32 v6, 0, v120
	v_mul_lo_u32 v1, s28, v2
	ds_read2_b32 v[2:3], v6 offset0:32 offset1:33
	ds_read2st64_b32 v[4:5], v121 offset1:9
	ds_read_b32 v6, v6 offset:2432
	v_or_b32_e32 v8, v1, v26
	v_ashrrev_i32_e32 v9, 31, v8
	v_lshlrev_b64 v[8:9], 3, v[8:9]
	s_waitcnt lgkmcnt(1)
	v_cvt_f32_f16_sdwa v11, v4 dst_sel:DWORD dst_unused:UNUSED_PAD src0_sel:WORD_1
	v_cvt_f32_f16_e32 v10, v4
	v_cvt_f32_f16_sdwa v13, v5 dst_sel:DWORD dst_unused:UNUSED_PAD src0_sel:WORD_1
	v_cvt_f32_f16_e32 v12, v5
	v_readlane_b32 s28, v186, 0
	v_add_co_u32_e32 v8, vcc, s28, v8
	v_readlane_b32 s28, v186, 1
	v_pk_fma_f32 v[10:11], v[2:3], v[10:11], 0 op_sel_hi:[0,1,0]
	v_mov_b32_e32 v1, s28
	s_waitcnt lgkmcnt(0)
	v_pk_fma_f32 v[4:5], v[6:7], v[12:13], v[10:11] op_sel_hi:[0,1,1]
	v_addc_co_u32_e32 v9, vcc, v1, v9, vcc
	v_div_scale_f32 v1, s[36:37], v3, v3, v5
	v_rcp_f32_e32 v2, v1
	v_fma_f32 v6, -v1, v2, 1.0
	v_fmac_f32_e32 v2, v6, v2
	v_div_scale_f32 v6, vcc, v5, v3, v5
	v_mul_f32_e32 v7, v6, v2
	v_fma_f32 v10, -v1, v7, v6
	v_fmac_f32_e32 v7, v10, v2
	v_fma_f32 v1, -v1, v7, v6
	v_div_fmas_f32 v1, v1, v2, v7
	v_div_fixup_f32 v5, v1, v3, v5
	v_div_scale_f32 v1, s[36:37], v3, v3, v4
	v_rcp_f32_e32 v2, v1
	v_fma_f32 v6, -v1, v2, 1.0
	v_fmac_f32_e32 v2, v6, v2
	v_div_scale_f32 v6, vcc, v4, v3, v4
	v_mul_f32_e32 v7, v6, v2
	v_fma_f32 v10, -v1, v7, v6
	v_fmac_f32_e32 v7, v10, v2
	v_fma_f32 v1, -v1, v7, v6
	v_div_fmas_f32 v1, v1, v2, v7
	v_div_fixup_f32 v4, v1, v3, v4
	v_mov_b32_e32 v1, 0
	global_store_dwordx2 v[8:9], v[4:5], off
.LBB0_193:                              ;   in Loop: Header=BB0_14 Depth=1
	s_or_b64 exec, exec, s[30:31]
	s_movk_i32 s28, 0x47
	v_cmp_gt_i32_e32 vcc, s28, v1
	s_mov_b64 s[30:31], -1
	s_and_saveexec_b64 s[36:37], vcc
; %bb.194:                              ;   in Loop: Header=BB0_14 Depth=1
	v_cmp_eq_u32_e32 vcc, 0, v1
	s_orn2_b64 s[30:31], vcc, exec
; %bb.195:                              ;   in Loop: Header=BB0_14 Depth=1
	s_or_b64 exec, exec, s[36:37]
	s_and_b64 exec, exec, s[30:31]
	s_cbranch_execz .LBB0_12
; %bb.196:                              ;   in Loop: Header=BB0_14 Depth=1
	v_add_u32_e32 v2, s29, v98
	v_cmp_gt_i32_e32 vcc, s76, v2
	v_mov_b32_e32 v1, 0x47
	s_and_saveexec_b64 s[30:31], vcc
	s_cbranch_execz .LBB0_198
; %bb.197:                              ;   in Loop: Header=BB0_14 Depth=1
	v_readlane_b32 s28, v187, 42
	v_add_u32_e32 v6, 0, v122
	v_mul_lo_u32 v1, s28, v2
	ds_read2_b32 v[2:3], v6 offset0:32 offset1:33
	ds_read2st64_b32 v[4:5], v123 offset1:9
	ds_read_b32 v6, v6 offset:2432
	v_or_b32_e32 v8, v1, v26
	v_ashrrev_i32_e32 v9, 31, v8
	v_lshlrev_b64 v[8:9], 3, v[8:9]
	s_waitcnt lgkmcnt(1)
	v_cvt_f32_f16_sdwa v11, v4 dst_sel:DWORD dst_unused:UNUSED_PAD src0_sel:WORD_1
	v_cvt_f32_f16_e32 v10, v4
	v_cvt_f32_f16_sdwa v13, v5 dst_sel:DWORD dst_unused:UNUSED_PAD src0_sel:WORD_1
	v_cvt_f32_f16_e32 v12, v5
	v_readlane_b32 s28, v186, 0
	v_add_co_u32_e32 v8, vcc, s28, v8
	v_readlane_b32 s28, v186, 1
	v_pk_fma_f32 v[10:11], v[2:3], v[10:11], 0 op_sel_hi:[0,1,0]
	v_mov_b32_e32 v1, s28
	s_waitcnt lgkmcnt(0)
	v_pk_fma_f32 v[4:5], v[6:7], v[12:13], v[10:11] op_sel_hi:[0,1,1]
	v_addc_co_u32_e32 v9, vcc, v1, v9, vcc
	v_div_scale_f32 v1, s[36:37], v3, v3, v5
	v_rcp_f32_e32 v2, v1
	v_fma_f32 v6, -v1, v2, 1.0
	v_fmac_f32_e32 v2, v6, v2
	v_div_scale_f32 v6, vcc, v5, v3, v5
	v_mul_f32_e32 v7, v6, v2
	v_fma_f32 v10, -v1, v7, v6
	v_fmac_f32_e32 v7, v10, v2
	v_fma_f32 v1, -v1, v7, v6
	v_div_fmas_f32 v1, v1, v2, v7
	v_div_fixup_f32 v5, v1, v3, v5
	v_div_scale_f32 v1, s[36:37], v3, v3, v4
	v_rcp_f32_e32 v2, v1
	v_fma_f32 v6, -v1, v2, 1.0
	v_fmac_f32_e32 v2, v6, v2
	v_div_scale_f32 v6, vcc, v4, v3, v4
	v_mul_f32_e32 v7, v6, v2
	v_fma_f32 v10, -v1, v7, v6
	v_fmac_f32_e32 v7, v10, v2
	v_fma_f32 v1, -v1, v7, v6
	v_div_fmas_f32 v1, v1, v2, v7
	v_div_fixup_f32 v4, v1, v3, v4
	v_mov_b32_e32 v1, 0
	global_store_dwordx2 v[8:9], v[4:5], off
.LBB0_198:                              ;   in Loop: Header=BB0_14 Depth=1
	s_or_b64 exec, exec, s[30:31]
	s_movk_i32 s28, 0x47
	v_cmp_gt_i32_e32 vcc, s28, v1
	s_mov_b64 s[30:31], -1
	s_and_saveexec_b64 s[36:37], vcc
; %bb.199:                              ;   in Loop: Header=BB0_14 Depth=1
	v_cmp_eq_u32_e32 vcc, 0, v1
	s_orn2_b64 s[30:31], vcc, exec
; %bb.200:                              ;   in Loop: Header=BB0_14 Depth=1
	s_or_b64 exec, exec, s[36:37]
	s_and_b64 exec, exec, s[30:31]
	s_cbranch_execz .LBB0_12
; %bb.201:                              ;   in Loop: Header=BB0_14 Depth=1
	v_add_u32_e32 v1, s29, v99
	v_cmp_gt_i32_e32 vcc, s76, v1
	s_and_b64 exec, exec, vcc
	s_cbranch_execz .LBB0_12
; %bb.202:                              ;   in Loop: Header=BB0_14 Depth=1
	v_add_u32_e32 v6, 0, v124
	ds_read2_b32 v[2:3], v6 offset0:32 offset1:33
	ds_read2st64_b32 v[4:5], v125 offset1:9
	ds_read_b32 v6, v6 offset:2432
	v_readlane_b32 s28, v187, 42
	v_mul_lo_u32 v1, s28, v1
	v_or_b32_e32 v8, v1, v26
	s_waitcnt lgkmcnt(1)
	v_cvt_f32_f16_sdwa v11, v4 dst_sel:DWORD dst_unused:UNUSED_PAD src0_sel:WORD_1
	v_cvt_f32_f16_e32 v10, v4
	v_cvt_f32_f16_sdwa v13, v5 dst_sel:DWORD dst_unused:UNUSED_PAD src0_sel:WORD_1
	v_cvt_f32_f16_e32 v12, v5
	v_ashrrev_i32_e32 v9, 31, v8
	v_lshlrev_b64 v[8:9], 3, v[8:9]
	v_readlane_b32 s28, v186, 0
	v_add_co_u32_e32 v8, vcc, s28, v8
	v_readlane_b32 s28, v186, 1
	v_pk_fma_f32 v[10:11], v[2:3], v[10:11], 0 op_sel_hi:[0,1,0]
	v_mov_b32_e32 v1, s28
	s_waitcnt lgkmcnt(0)
	v_pk_fma_f32 v[4:5], v[6:7], v[12:13], v[10:11] op_sel_hi:[0,1,1]
	v_addc_co_u32_e32 v9, vcc, v1, v9, vcc
	v_div_scale_f32 v1, s[28:29], v3, v3, v5
	v_rcp_f32_e32 v2, v1
	v_fma_f32 v6, -v1, v2, 1.0
	v_fmac_f32_e32 v2, v6, v2
	v_div_scale_f32 v6, vcc, v5, v3, v5
	v_mul_f32_e32 v7, v6, v2
	v_fma_f32 v10, -v1, v7, v6
	v_fmac_f32_e32 v7, v10, v2
	v_fma_f32 v1, -v1, v7, v6
	v_div_fmas_f32 v1, v1, v2, v7
	v_div_fixup_f32 v5, v1, v3, v5
	v_div_scale_f32 v1, s[28:29], v3, v3, v4
	v_rcp_f32_e32 v2, v1
	v_fma_f32 v6, -v1, v2, 1.0
	v_fmac_f32_e32 v2, v6, v2
	v_div_scale_f32 v6, vcc, v4, v3, v4
	v_mul_f32_e32 v7, v6, v2
	v_fma_f32 v10, -v1, v7, v6
	v_fmac_f32_e32 v7, v10, v2
	v_fma_f32 v1, -v1, v7, v6
	v_div_fmas_f32 v1, v1, v2, v7
	v_div_fixup_f32 v4, v1, v3, v4
	global_store_dwordx2 v[8:9], v[4:5], off
	s_branch .LBB0_12
.LBB0_203:
	v_readlane_b32 s20, v187, 30
	v_readlane_b32 s56, v187, 38
	v_readlane_b32 s54, v187, 24
	v_readlane_b32 s21, v187, 31
	v_readlane_b32 s22, v187, 32
	v_readlane_b32 s23, v187, 33
	v_readlane_b32 s24, v187, 39
	v_readlane_b32 s25, v187, 40
	s_andn2_b64 vcc, exec, s[8:9]
	s_cbranch_vccnz .LBB0_10
.LBB0_204:
	v_readlane_b32 s10, v187, 7
	s_abs_i32 s4, s10
	v_cvt_f32_u32_e32 v1, s4
	s_sub_i32 s7, 0, s4
	s_abs_i32 s6, s96
	s_xor_b32 s5, s96, s10
	v_rcp_iflag_f32_e32 v1, v1
	s_ashr_i32 s5, s5, 31
	v_readlane_b32 s14, v187, 6
	v_readlane_b32 s11, v187, 3
	v_mul_f32_e32 v1, 0x4f7ffffe, v1
	v_cvt_u32_f32_e32 v1, v1
	v_readfirstlane_b32 s8, v1
	s_mul_i32 s7, s7, s8
	s_mul_hi_u32 s7, s8, s7
	s_add_i32 s8, s8, s7
	s_mul_hi_u32 s7, s6, s8
	s_mul_i32 s8, s7, s4
	s_sub_i32 s6, s6, s8
	s_add_i32 s9, s7, 1
	s_sub_i32 s8, s6, s4
	s_cmp_ge_u32 s6, s4
	s_cselect_b32 s7, s9, s7
	s_cselect_b32 s6, s8, s6
	s_add_i32 s8, s7, 1
	s_cmp_ge_u32 s6, s4
	s_cselect_b32 s4, s8, s7
	s_abs_i32 s6, s14
	v_cvt_f32_u32_e32 v1, s6
	s_xor_b32 s4, s4, s5
	s_sub_i32 s7, 0, s6
	s_sub_i32 s12, s4, s5
	v_rcp_iflag_f32_e32 v1, v1
	s_mul_i32 s4, s12, s10
	s_sub_i32 s4, s96, s4
	s_abs_i32 s8, s4
	v_mul_f32_e32 v1, 0x4f7ffffe, v1
	v_cvt_u32_f32_e32 v1, v1
	s_xor_b32 s5, s4, s14
	s_ashr_i32 s5, s5, 31
	v_readfirstlane_b32 s9, v1
	s_mul_i32 s7, s7, s9
	s_mul_hi_u32 s7, s9, s7
	s_add_i32 s9, s9, s7
	s_mul_hi_u32 s7, s8, s9
	s_mul_i32 s9, s7, s6
	s_sub_i32 s8, s8, s9
	s_add_i32 s10, s7, 1
	s_sub_i32 s9, s8, s6
	s_cmp_ge_u32 s8, s6
	s_cselect_b32 s7, s10, s7
	s_cselect_b32 s8, s9, s8
	s_add_i32 s9, s7, 1
	s_cmp_ge_u32 s8, s6
	s_cselect_b32 s6, s9, s7
	s_abs_i32 s7, s11
	v_cvt_f32_u32_e32 v1, s7
	s_xor_b32 s6, s6, s5
	s_sub_i32 s8, 0, s7
	s_sub_i32 s13, s6, s5
	v_rcp_iflag_f32_e32 v1, v1
	s_mul_i32 s5, s13, s14
	s_sub_i32 s5, s4, s5
	s_abs_i32 s6, s5
	v_mul_f32_e32 v1, 0x4f7ffffe, v1
	v_cvt_u32_f32_e32 v1, v1
	s_xor_b32 s4, s5, s11
	s_ashr_i32 s4, s4, 31
	v_readfirstlane_b32 s9, v1
	s_mul_i32 s8, s8, s9
	s_mul_hi_u32 s8, s9, s8
	s_add_i32 s9, s9, s8
	s_mul_hi_u32 s8, s6, s9
	s_mul_i32 s9, s8, s7
	s_sub_i32 s6, s6, s9
	s_add_i32 s10, s8, 1
	s_sub_i32 s9, s6, s7
	s_cmp_ge_u32 s6, s7
	s_cselect_b32 s8, s10, s8
	s_cselect_b32 s6, s9, s6
	s_add_i32 s9, s8, 1
	s_cmp_ge_u32 s6, s7
	s_cselect_b32 s6, s9, s8
	s_xor_b32 s6, s6, s4
	s_sub_i32 s4, s6, s4
	s_mul_i32 s6, s4, s11
	s_sub_i32 s5, s5, s6
	s_abs_i32 s16, s5
	s_ashr_i32 s14, s12, 31
	s_mul_hi_u32 s15, s16, s46
	s_cmp_eq_u64 s[66:67], 0
	s_mov_b64 s[8:9], 0
	s_cbranch_scc1 .LBB0_206
; %bb.205:
	s_abs_i32 s6, s24
	v_cvt_f32_u32_e32 v1, s6
	s_sub_i32 s8, 0, s6
	s_abs_i32 s7, s12
	v_readlane_b32 s10, v187, 15
	v_rcp_iflag_f32_e32 v1, v1
	v_readlane_b32 s11, v187, 16
	v_mul_f32_e32 v1, 0x4f7ffffe, v1
	v_cvt_u32_f32_e32 v1, v1
	v_readfirstlane_b32 s9, v1
	s_mul_i32 s8, s8, s9
	s_mul_hi_u32 s8, s9, s8
	s_add_i32 s9, s9, s8
	s_mul_hi_u32 s8, s7, s9
	s_mul_i32 s8, s8, s6
	s_sub_i32 s7, s7, s8
	s_sub_i32 s8, s7, s6
	s_cmp_ge_u32 s7, s6
	s_cselect_b32 s7, s8, s7
	s_sub_i32 s8, s7, s6
	s_cmp_ge_u32 s7, s6
	s_cselect_b32 s6, s8, s7
	s_xor_b32 s6, s6, s14
	s_sub_i32 s6, s6, s14
	s_ashr_i32 s7, s6, 31
	s_mul_i32 s8, s6, s11
	s_mul_hi_u32 s9, s6, s10
	s_add_i32 s8, s9, s8
	s_mul_i32 s7, s7, s10
	s_add_i32 s7, s8, s7
	s_mul_i32 s6, s6, s10
	s_add_u32 s8, s66, s6
	s_addc_u32 s9, s67, s7
.LBB0_206:
	s_ashr_i32 s18, s5, 31
	v_readlane_b32 s5, v187, 2
	s_mul_i32 s17, s13, s5
	s_add_i32 s17, s17, s4
	v_cmp_le_f32_e64 s[4:5], s21, 0
	s_and_b64 vcc, exec, s[4:5]
	v_mov_b32_e32 v20, 1.0
	s_cbranch_vccnz .LBB0_208
; %bb.207:
	v_readlane_b32 s5, v187, 12
	s_sub_i32 s4, s17, s5
	s_lshl_b32 s4, s4, 1
	s_add_i32 s6, s17, 1
	s_or_b32 s7, s4, 1
	s_cmp_lt_u32 s17, s5
	s_cselect_b64 vcc, -1, 0
	s_and_b64 s[4:5], vcc, exec
	v_mov_b32_e32 v1, s23
	v_mov_b32_e32 v2, s22
	s_cselect_b32 s4, s6, s7
	v_cndmask_b32_e32 v18, v1, v2, vcc
	v_cvt_f32_i32_e32 v1, s4
	v_cmp_neq_f32_e32 vcc, 1.0, v18
	s_mov_b32 s4, 0x3f2aaaab
	s_movk_i32 s6, 0x204
	v_cndmask_b32_e32 v19, 1.0, v1, vcc
	v_cmp_eq_f32_e32 vcc, 0, v19
	v_cndmask_b32_e64 v20, |v18|, 1.0, vcc
	v_frexp_mant_f32_e32 v1, v20
	v_cmp_gt_f32_e64 s[4:5], s4, v1
	v_cndmask_b32_e64 v2, 1.0, 2.0, s[4:5]
	v_mul_f32_e32 v1, v1, v2
	v_add_f32_e32 v2, 1.0, v1
	v_rcp_f32_e32 v10, v2
	v_add_f32_e32 v3, -1.0, v2
	v_sub_f32_e32 v5, v1, v3
	v_add_f32_e32 v3, -1.0, v1
	v_mul_f32_e32 v1, v3, v10
	v_mul_f32_e32 v4, v2, v1
	v_fma_f32 v6, v1, v2, -v4
	v_fmac_f32_e32 v6, v1, v5
	v_add_f32_e32 v2, v4, v6
	v_sub_f32_e32 v5, v3, v2
	v_pk_add_f32 v[8:9], v[2:3], v[4:5] neg_lo:[0,1] neg_hi:[0,1]
	v_mov_b32_e32 v7, v2
	v_pk_add_f32 v[2:3], v[8:9], v[6:7] neg_lo:[0,1] neg_hi:[0,1]
	v_add_f32_e32 v2, v2, v3
	v_add_f32_e32 v2, v5, v2
	v_mul_f32_e32 v3, v10, v2
	v_add_f32_e32 v2, v1, v3
	v_sub_f32_e32 v1, v2, v1
	v_sub_f32_e32 v1, v3, v1
	v_mul_f32_e32 v3, v2, v2
	v_fma_f32 v5, v2, v2, -v3
	v_add_f32_e32 v4, v1, v1
	v_fmac_f32_e32 v5, v2, v4
	v_add_f32_e32 v4, v3, v5
	v_mov_b32_e32 v6, 0x3e91f4c4
	v_fmac_f32_e32 v6, 0x3e76c4e1, v4
	v_mov_b32_e32 v7, 0x3ecccdef
	v_fmac_f32_e32 v7, v4, v6
	v_sub_f32_e32 v3, v4, v3
	v_sub_f32_e32 v12, v5, v3
	v_mul_f32_e32 v3, v4, v7
	v_fma_f32 v5, v4, v7, -v3
	v_fmac_f32_e32 v5, v12, v7
	v_add_f32_e32 v6, v3, v5
	v_add_f32_e32 v7, 0x3f2aaaaa, v6
	v_sub_f32_e32 v3, v6, v3
	v_sub_f32_e32 v3, v5, v3
	v_add_f32_e32 v5, 0xbf2aaaaa, v7
	v_add_f32_e32 v3, 0x31739010, v3
	v_sub_f32_e32 v5, v6, v5
	v_pk_mul_f32 v[8:9], v[2:3], v[4:5]
	v_fma_f32 v6, v4, v2, -v8
	v_pk_add_f32 v[10:11], v[2:3], v[4:5]
	v_fmac_f32_e32 v6, v4, v1
	v_mov_b32_e32 v9, v11
	v_fmac_f32_e32 v6, v12, v2
	v_pk_add_f32 v[4:5], v[8:9], v[6:7]
	v_sub_f32_e32 v3, v4, v8
	v_sub_f32_e32 v3, v6, v3
	;; [unrolled: 1-line block ×3, first 2 shown]
	v_add_f32_e32 v9, v11, v6
	v_mov_b32_e32 v6, v5
	v_pk_mul_f32 v[6:7], v[4:5], v[6:7]
	v_cvt_f64_f32_e32 v[10:11], v20
	v_frexp_exp_i32_f64_e32 v7, v[10:11]
	v_subbrev_co_u32_e64 v7, s[4:5], 0, v7, s[4:5]
	v_cvt_f32_i32_e32 v7, v7
	v_fma_f32 v8, v4, v5, -v6
	v_fmac_f32_e32 v8, v4, v9
	s_mov_b32 s4, 0x3f317218
	v_mul_f32_e32 v4, 0x3f317218, v7
	v_fmac_f32_e32 v8, v3, v5
	v_fma_f32 v10, v7, s4, -v4
	v_fmac_f32_e32 v10, 0xb102e308, v7
	v_ldexp_f32 v11, v2, 1
	v_add_f32_e32 v5, v6, v8
	v_pk_add_f32 v[2:3], v[4:5], v[10:11]
	v_mov_b32_e32 v12, v5
	v_mov_b32_e32 v13, v3
	;; [unrolled: 1-line block ×3, first 2 shown]
	v_pk_add_f32 v[6:7], v[12:13], v[6:7] neg_lo:[0,1] neg_hi:[0,1]
	v_mov_b32_e32 v9, v5
	v_ldexp_f32 v1, v1, 1
	v_pk_add_f32 v[6:7], v[8:9], v[6:7] neg_lo:[0,1] neg_hi:[0,1]
	v_add_f32_e32 v1, v1, v6
	v_add_f32_e32 v5, v1, v7
	v_pk_add_f32 v[6:7], v[2:3], v[4:5] neg_lo:[0,1] neg_hi:[0,1]
	v_pk_add_f32 v[8:9], v[2:3], v[4:5]
	v_mov_b32_e32 v12, v6
	v_mov_b32_e32 v13, v9
	;; [unrolled: 1-line block ×3, first 2 shown]
	v_pk_add_f32 v[12:13], v[10:11], v[12:13]
	v_mov_b32_e32 v4, v13
	v_pk_add_f32 v[14:15], v[4:5], v[2:3] neg_lo:[0,1] neg_hi:[0,1]
	v_mov_b32_e32 v1, v14
	v_mov_b32_e32 v12, v9
	;; [unrolled: 1-line block ×4, first 2 shown]
	v_pk_add_f32 v[6:7], v[10:11], v[6:7] neg_lo:[0,1] neg_hi:[0,1]
	v_pk_add_f32 v[16:17], v[8:9], v[0:1] neg_lo:[0,1] neg_hi:[0,1]
	;; [unrolled: 1-line block ×3, first 2 shown]
	v_mov_b32_e32 v10, v5
	v_pk_add_f32 v[2:3], v[10:11], v[2:3] neg_lo:[0,1] neg_hi:[0,1]
	v_mov_b32_e32 v16, v6
	v_pk_add_f32 v[8:9], v[16:17], v[2:3]
	v_mov_b32_e32 v10, v9
	v_pk_add_f32 v[10:11], v[8:9], v[10:11]
	v_pk_add_f32 v[4:5], v[4:5], v[10:11]
	v_mov_b32_e32 v7, v13
	v_mov_b32_e32 v9, v4
	v_pk_add_f32 v[12:13], v[8:9], v[6:7] neg_lo:[0,1] neg_hi:[0,1]
	v_mov_b32_e32 v3, v10
	v_sub_f32_e32 v1, v8, v12
	v_pk_add_f32 v[2:3], v[2:3], v[12:13] neg_lo:[0,1] neg_hi:[0,1]
	v_sub_f32_e32 v1, v6, v1
	v_add_f32_e32 v1, v2, v1
	v_add_f32_e32 v1, v1, v3
	;; [unrolled: 1-line block ×3, first 2 shown]
	v_sub_f32_e32 v3, v2, v4
	v_sub_f32_e32 v1, v1, v3
	v_mul_f32_e32 v3, v19, v2
	v_fma_f32 v2, v19, v2, -v3
	v_fmac_f32_e32 v2, v19, v1
	v_add_f32_e32 v1, v3, v2
	v_cmp_class_f32_e64 s[4:5], v3, s6
	v_sub_f32_e32 v4, v1, v3
	v_cndmask_b32_e64 v1, v1, v3, s[4:5]
	s_mov_b32 s10, 0x42b17218
	v_mov_b32_e32 v3, 0x37000000
	v_cmp_eq_f32_e64 s[4:5], s10, v1
	v_cndmask_b32_e64 v3, 0, v3, s[4:5]
	v_sub_f32_e32 v2, v2, v4
	v_sub_f32_e32 v4, v1, v3
	s_mov_b32 s4, 0x3fb8aa3b
	v_mul_f32_e32 v5, 0x3fb8aa3b, v4
	v_fma_f32 v6, v4, s4, -v5
	v_rndne_f32_e32 v7, v5
	v_fmac_f32_e32 v6, 0x32a5705f, v4
	v_sub_f32_e32 v5, v5, v7
	v_add_f32_e32 v5, v5, v6
	v_exp_f32_e32 v5, v5
	v_cvt_i32_f32_e32 v6, v7
	s_mov_b32 s7, 0x7f800000
	v_cmp_neq_f32_e64 s[4:5], |v1|, s7
	v_cndmask_b32_e64 v1, 0, v2, s[4:5]
	s_mov_b32 s4, 0xc2ce8ed0
	v_ldexp_f32 v2, v5, v6
	v_cmp_ngt_f32_e64 s[4:5], s4, v4
	v_add_f32_e32 v1, v3, v1
	v_cndmask_b32_e64 v2, 0, v2, s[4:5]
	v_mov_b32_e32 v3, 0x7f800000
	v_cmp_nlt_f32_e64 s[4:5], s10, v4
	v_cndmask_b32_e64 v2, v3, v2, s[4:5]
	v_fma_f32 v1, v2, v1, v2
	v_cmp_class_f32_e64 s[4:5], v2, s6
	v_trunc_f32_e32 v4, v19
	v_cndmask_b32_e64 v1, v1, v2, s[4:5]
	v_cndmask_b32_e64 v2, v18, 1.0, vcc
	v_cmp_eq_f32_e32 vcc, v4, v19
	v_mul_f32_e32 v4, 0.5, v19
	v_trunc_f32_e32 v6, v4
	v_cmp_neq_f32_e64 s[4:5], v6, v4
	s_and_b64 s[4:5], vcc, s[4:5]
	v_cndmask_b32_e64 v4, 1.0, v2, s[4:5]
	s_brev_b32 s19, -2
	v_mov_b32_e32 v5, 0x7fc00000
	v_bfi_b32 v1, s19, v1, v4
	v_cndmask_b32_e32 v4, v5, v1, vcc
	v_cmp_gt_f32_e32 vcc, 0, v2
	v_cndmask_b32_e32 v1, v1, v4, vcc
	v_cmp_eq_f32_e32 vcc, s7, v20
	v_cmp_eq_f32_e64 s[6:7], 0, v2
	v_cmp_gt_f32_e64 s[10:11], 0, v19
	s_xor_b64 s[10:11], s[10:11], s[6:7]
	v_cndmask_b32_e64 v3, v3, 0, s[10:11]
	v_cndmask_b32_e64 v4, 0, v2, s[4:5]
	v_bfi_b32 v3, s19, v3, v4
	s_or_b64 vcc, vcc, s[6:7]
	v_cndmask_b32_e32 v1, v1, v3, vcc
	v_cmp_o_f32_e32 vcc, v2, v2
	v_cndmask_b32_e32 v20, v5, v1, vcc
.LBB0_208:
	s_mul_i32 s5, s15, s97
	v_readlane_b32 s4, v187, 23
	s_sub_i32 s5, s16, s5
	s_xor_b32 s4, s18, s4
	s_add_i32 s6, s15, 1
	s_sub_i32 s7, s5, s97
	s_cmp_ge_u32 s5, s97
	s_cselect_b32 s6, s6, s15
	s_cselect_b32 s5, s7, s5
	s_add_i32 s7, s6, 1
	s_cmp_ge_u32 s5, s97
	s_cselect_b32 s5, s7, s6
	s_xor_b32 s5, s5, s4
	s_sub_i32 s4, s5, s4
	s_cmp_eq_u64 s[70:71], 0
	v_mov_b32_e32 v8, s33
	s_cbranch_scc1 .LBB0_210
; %bb.209:
	v_readlane_b32 s5, v187, 0
	s_mul_i32 s5, s12, s5
	s_add_i32 s6, s4, s5
	s_ashr_i32 s7, s6, 31
	s_lshl_b64 s[6:7], s[6:7], 2
	s_add_u32 s6, s70, s6
	s_addc_u32 s7, s71, s7
	v_mov_b32_e32 v1, 0
	global_load_dword v1, v1, s[6:7]
	s_waitcnt vmcnt(0)
	v_ashrrev_i32_e32 v2, 31, v1
	v_lshrrev_b32_e32 v2, 26, v2
	v_add_u32_e32 v1, v1, v2
	v_ashrrev_i32_e32 v1, 6, v1
	v_min_i32_e32 v8, s33, v1
.LBB0_210:
	v_readlane_b32 s10, v187, 8
	v_readlane_b32 s11, v187, 9
	s_mul_i32 s5, s12, s11
	s_ashr_i32 s6, s5, 31
	s_add_u32 s5, s60, s5
	s_mul_i32 s17, s17, s10
	s_addc_u32 s7, s61, s6
	s_ashr_i32 s10, s17, 31
	v_and_b32_e32 v50, 0x3ff, v0
	s_add_u32 s6, s5, s17
	v_lshrrev_b32_e32 v17, 5, v50
	s_addc_u32 s7, s7, s10
	s_lshl_b32 s41, s4, 5
	v_lshl_add_u32 v0, v68, 1, v17
	v_add_u32_e32 v1, s41, v0
	v_and_b32_e32 v16, 31, v50
	v_cmp_le_i32_e32 vcc, s76, v1
	s_and_saveexec_b64 s[4:5], vcc
	s_xor_b64 s[4:5], exec, s[4:5]
	s_cbranch_execz .LBB0_212
; %bb.211:
	v_mad_u32_u24 v1, v0, 36, v16
	v_lshl_add_u32 v1, v1, 2, 0
	v_mov_b32_e32 v2, 0
	ds_write_b32 v1, v2
                                        ; implicit-def: $vgpr1
.LBB0_212:
	s_andn2_saveexec_b64 s[4:5], s[4:5]
	s_cbranch_execz .LBB0_214
; %bb.213:
	v_mad_u64_u32 v[2:3], s[10:11], v1, s45, v[16:17]
	v_ashrrev_i32_e32 v3, 31, v2
	v_lshlrev_b64 v[2:3], 3, v[2:3]
	v_mov_b32_e32 v1, s7
	v_add_co_u32_e32 v2, vcc, s6, v2
	v_addc_co_u32_e32 v3, vcc, v1, v3, vcc
	global_load_dwordx2 v[2:3], v[2:3], off
	s_waitcnt vmcnt(0)
	v_cvt_f16_f32_e32 v1, v2
	v_cvt_f16_f32_e32 v2, v3
	v_mad_u32_u24 v3, v0, 36, v16
	v_pack_b32_f16 v1, v1, v2
	v_pk_mul_f16 v1, v27, v1
	v_lshl_add_u32 v2, v3, 2, 0
	ds_write_b32 v2, v1
.LBB0_214:
	s_or_b64 exec, exec, s[4:5]
	v_add_u32_e32 v1, 8, v0
	v_add_u32_e32 v2, s41, v1
	v_cmp_le_i32_e32 vcc, s76, v2
	s_and_saveexec_b64 s[4:5], vcc
	s_xor_b64 s[4:5], exec, s[4:5]
	s_cbranch_execz .LBB0_216
; %bb.215:
	v_mad_u32_u24 v1, v1, 36, v16
	v_lshl_add_u32 v1, v1, 2, 0
	v_mov_b32_e32 v2, 0
	ds_write_b32 v1, v2
                                        ; implicit-def: $vgpr2
                                        ; implicit-def: $vgpr1
.LBB0_216:
	s_andn2_saveexec_b64 s[4:5], s[4:5]
	s_cbranch_execz .LBB0_218
; %bb.217:
	v_mad_u64_u32 v[2:3], s[10:11], v2, s45, v[16:17]
	v_ashrrev_i32_e32 v3, 31, v2
	v_lshlrev_b64 v[2:3], 3, v[2:3]
	v_mov_b32_e32 v4, s7
	v_add_co_u32_e32 v2, vcc, s6, v2
	v_addc_co_u32_e32 v3, vcc, v4, v3, vcc
	global_load_dwordx2 v[2:3], v[2:3], off
	v_mad_u32_u24 v1, v1, 36, v16
	v_lshl_add_u32 v1, v1, 2, 0
	s_waitcnt vmcnt(0)
	v_cvt_f16_f32_e32 v2, v2
	v_cvt_f16_f32_e32 v3, v3
	v_pack_b32_f16 v2, v2, v3
	v_pk_mul_f16 v2, v27, v2
	ds_write_b32 v1, v2
.LBB0_218:
	s_or_b64 exec, exec, s[4:5]
	v_add_u32_e32 v1, 16, v0
	v_add_u32_e32 v2, s41, v1
	v_cmp_le_i32_e32 vcc, s76, v2
	s_and_saveexec_b64 s[4:5], vcc
	s_xor_b64 s[4:5], exec, s[4:5]
	s_cbranch_execz .LBB0_220
; %bb.219:
	v_mad_u32_u24 v1, v1, 36, v16
	v_lshl_add_u32 v1, v1, 2, 0
	v_mov_b32_e32 v2, 0
	ds_write_b32 v1, v2
                                        ; implicit-def: $vgpr2
                                        ; implicit-def: $vgpr1
.LBB0_220:
	s_andn2_saveexec_b64 s[4:5], s[4:5]
	s_cbranch_execz .LBB0_222
; %bb.221:
	v_mad_u64_u32 v[2:3], s[10:11], v2, s45, v[16:17]
	v_ashrrev_i32_e32 v3, 31, v2
	v_lshlrev_b64 v[2:3], 3, v[2:3]
	v_mov_b32_e32 v4, s7
	v_add_co_u32_e32 v2, vcc, s6, v2
	v_addc_co_u32_e32 v3, vcc, v4, v3, vcc
	global_load_dwordx2 v[2:3], v[2:3], off
	v_mad_u32_u24 v1, v1, 36, v16
	v_lshl_add_u32 v1, v1, 2, 0
	s_waitcnt vmcnt(0)
	v_cvt_f16_f32_e32 v2, v2
	v_cvt_f16_f32_e32 v3, v3
	v_pack_b32_f16 v2, v2, v3
	v_pk_mul_f16 v2, v27, v2
	ds_write_b32 v1, v2
.LBB0_222:
	s_or_b64 exec, exec, s[4:5]
	v_add_u32_e32 v0, 24, v0
	v_add_u32_e32 v1, s41, v0
	v_cmp_le_i32_e32 vcc, s76, v1
	s_and_saveexec_b64 s[4:5], vcc
	s_xor_b64 s[4:5], exec, s[4:5]
	s_cbranch_execz .LBB0_224
; %bb.223:
	v_mad_u32_u24 v0, v0, 36, v16
	v_lshl_add_u32 v0, v0, 2, 0
	v_mov_b32_e32 v1, 0
	ds_write_b32 v0, v1
                                        ; implicit-def: $vgpr1
                                        ; implicit-def: $vgpr27
                                        ; implicit-def: $vgpr0
.LBB0_224:
	s_andn2_saveexec_b64 s[4:5], s[4:5]
	s_cbranch_execz .LBB0_226
; %bb.225:
	v_mad_u64_u32 v[2:3], s[10:11], v1, s45, v[16:17]
	v_ashrrev_i32_e32 v3, 31, v2
	v_lshlrev_b64 v[2:3], 3, v[2:3]
	v_mov_b32_e32 v1, s7
	v_add_co_u32_e32 v2, vcc, s6, v2
	v_addc_co_u32_e32 v3, vcc, v1, v3, vcc
	global_load_dwordx2 v[2:3], v[2:3], off
	v_mad_u32_u24 v0, v0, 36, v16
	v_lshl_add_u32 v0, v0, 2, 0
	s_waitcnt vmcnt(0)
	v_cvt_f16_f32_e32 v1, v2
	v_cvt_f16_f32_e32 v2, v3
	v_pack_b32_f16 v1, v1, v2
	v_pk_mul_f16 v1, v27, v1
	ds_write_b32 v0, v1
.LBB0_226:
	s_or_b64 exec, exec, s[4:5]
	v_readlane_b32 s6, v187, 13
	v_readlane_b32 s7, v187, 14
	s_mul_i32 s4, s12, s7
	s_mul_hi_u32 s5, s12, s6
	s_add_i32 s4, s5, s4
	s_mul_i32 s5, s14, s6
	v_readlane_b32 s16, v187, 19
	s_add_i32 s4, s4, s5
	s_mul_i32 s5, s12, s6
	v_readlane_b32 s19, v187, 22
	s_add_u32 s5, s64, s5
	s_mul_i32 s6, s13, s19
	s_addc_u32 s4, s65, s4
	s_ashr_i32 s7, s6, 31
	v_lshrrev_b32_e32 v10, 3, v50
	v_readlane_b32 s17, v187, 20
	s_add_u32 s33, s5, s6
	v_and_b32_e32 v9, 0x1ff0, v70
	s_movk_i32 s26, 0x90
	v_and_b32_e32 v51, 15, v50
	v_and_b32_e32 v52, 0x7e, v10
	s_addc_u32 s40, s4, s7
	s_mul_i32 s4, s12, s17
	s_mul_hi_u32 s5, s12, s16
	v_mad_u32_u24 v0, v9, s26, 0
	v_mul_u32_u24_e32 v65, 0x90, v51
	v_lshlrev_b32_e32 v66, 2, v52
	s_add_i32 s4, s5, s4
	s_mul_i32 s14, s14, s16
	v_readlane_b32 s6, v187, 17
	v_add3_u32 v0, v0, v65, v66
	s_add_i32 s4, s4, s14
	s_mul_i32 s12, s12, s16
	v_readlane_b32 s7, v187, 18
	s_waitcnt lgkmcnt(0)
	s_barrier
	ds_read2_b64 v[4:7], v0 offset1:4
	ds_read2_b64 v[0:3], v0 offset0:8 offset1:12
	s_add_u32 s5, s62, s12
	s_mul_i32 s13, s13, s7
	s_addc_u32 s4, s63, s4
	s_ashr_i32 s6, s13, 31
	v_add_u32_e32 v76, -1, v8
	s_add_u32 s43, s5, s13
	v_cmp_ge_i32_e32 vcc, s42, v76
	v_add_u32_e32 v73, v70, v10
	s_addc_u32 s44, s4, s6
	s_mov_b32 s45, 0
	s_and_b64 vcc, exec, vcc
	v_mov_b32_e32 v56, 0
	v_or_b32_e32 v64, v9, v51
	v_lshlrev_b32_e32 v75, 1, v50
	v_lshlrev_b32_e32 v74, 2, v50
	v_mul_lo_u32 v22, s78, v73
	v_lshrrev_b32_e32 v55, 2, v50
	v_mul_lo_u32 v18, s58, v73
	v_and_b32_e32 v54, 8, v70
	v_lshlrev_b32_e32 v53, 1, v51
	v_readlane_b32 s18, v187, 21
	s_waitcnt lgkmcnt(0)
	s_barrier
	s_cbranch_vccnz .LBB0_239
; %bb.227:
	v_add_u32_e32 v19, s41, v68
	v_add_u32_e32 v21, 16, v19
	v_mul_hi_u32 v23, s90, v21
	v_add_u32_e32 v23, v21, v23
	v_lshrrev_b32_e32 v23, s91, v23
	v_mul_lo_u32 v23, v23, s76
	v_sub_u32_e32 v21, v21, v23
	v_mad_i64_i32 v[34:35], s[6:7], v21, s92, 0
	v_add_u32_e32 v21, 20, v19
	v_mul_hi_u32 v23, s90, v21
	v_add_u32_e32 v23, v21, v23
	v_lshrrev_b32_e32 v23, s91, v23
	v_mul_lo_u32 v23, v23, s76
	v_sub_u32_e32 v21, v21, v23
	v_mov_b32_e32 v8, s9
	v_add_co_u32_e32 v78, vcc, s8, v75
	v_mad_i64_i32 v[36:37], s[6:7], v21, s92, 0
	v_add_u32_e32 v21, 24, v19
	v_addc_co_u32_e32 v79, vcc, 0, v8, vcc
	v_mul_hi_u32 v8, s90, v19
	v_mul_hi_u32 v23, s90, v21
	v_add_u32_e32 v8, v19, v8
	v_add_u32_e32 v23, v21, v23
	v_lshrrev_b32_e32 v8, s91, v8
	v_lshrrev_b32_e32 v23, s91, v23
	v_mul_lo_u32 v8, v8, s76
	v_mul_u32_u24_e32 v10, 0x90, v68
	v_mul_lo_u32 v23, v23, s76
	v_sub_u32_e32 v8, v19, v8
	v_add3_u32 v80, 0, v10, v75
	v_add_u32_e32 v10, 4, v19
	v_add_u32_e32 v12, 8, v19
	;; [unrolled: 1-line block ×3, first 2 shown]
	v_sub_u32_e32 v21, v21, v23
	v_add_u32_e32 v19, 28, v19
	v_mad_i64_i32 v[38:39], s[6:7], v21, s92, 0
	v_mul_hi_u32 v21, s90, v19
	v_add_u32_e32 v21, v19, v21
	v_lshrrev_b32_e32 v21, s91, v21
	v_mul_lo_u32 v21, v21, s76
	v_sub_u32_e32 v19, v19, v21
	v_mad_i64_i32 v[40:41], s[6:7], v19, s92, 0
	v_mbcnt_hi_u32_b32 v19, -1, v72
	v_and_b32_e32 v21, 64, v19
	v_add_u32_e32 v21, 64, v21
	v_xor_b32_e32 v23, 32, v19
	v_cmp_lt_i32_e32 vcc, v23, v21
	v_cndmask_b32_e32 v23, v19, v23, vcc
	v_lshlrev_b32_e32 v88, 2, v23
	v_xor_b32_e32 v23, 16, v19
	v_cmp_lt_i32_e32 vcc, v23, v21
	v_cndmask_b32_e32 v19, v19, v23, vcc
	v_and_b32_e32 v44, 28, v74
	v_lshlrev_b32_e32 v89, 2, v19
	v_mul_u32_u24_e32 v19, 0x90, v73
	v_lshlrev_b32_e32 v21, 2, v44
	v_add3_u32 v90, 0, v19, v21
	v_and_b32_e32 v19, 16, v69
	v_and_b32_e32 v24, 0xfc, v55
	v_mul_u32_u24_e32 v56, 0x90, v19
	v_add_u32_e32 v25, v19, v24
	v_add_u16_e32 v19, v19, v24
	v_mad_u32_u24 v26, v64, s26, 0
	v_lshrrev_b16_e32 v19, 1, v19
	v_lshl_add_u32 v57, v19, 2, v26
	v_lshl_add_u32 v19, v25, 1, v26
	v_cmp_gt_u32_e64 s[10:11], 64, v25
	v_cmp_gt_u32_e64 s[12:13], 63, v25
	;; [unrolled: 1-line block ×8, first 2 shown]
	v_mul_u32_u24_e32 v25, 0x48, v24
	s_movk_i32 s36, 0x120
	v_mul_hi_u32 v11, s90, v10
	v_mul_hi_u32 v13, s90, v12
	;; [unrolled: 1-line block ×3, first 2 shown]
	v_or_b32_e32 v25, v25, v51
	v_mul_u32_u24_e32 v26, 0x90, v24
	v_or_b32_e32 v27, 3, v55
	v_mul_u32_u24_e32 v28, 0x120, v54
	v_mad_u32_u24 v29, v54, s36, 0
	s_cmp_lg_u64 s[8:9], 0
	v_add_u32_e32 v11, v10, v11
	v_add_u32_e32 v13, v12, v13
	v_add_u32_e32 v15, v14, v15
	v_mul_u32_u24_e32 v27, 0x90, v27
	v_lshlrev_b32_e32 v25, 1, v25
	v_add3_u32 v95, v29, v26, v53
	v_add3_u32 v26, 0, 32, v28
	s_cselect_b64 s[30:31], -1, 0
	v_lshrrev_b32_e32 v11, s91, v11
	v_lshrrev_b32_e32 v13, s91, v13
	;; [unrolled: 1-line block ×3, first 2 shown]
	v_add_u32_e32 v94, v29, v25
	v_add3_u32 v96, v29, v27, v53
	v_add_u32_e32 v99, v26, v25
	v_mad_u32_u24 v29, v24, s26, v26
	v_add3_u32 v102, v26, v27, v53
	v_add3_u32 v26, 0, 64, v28
	s_add_i32 s37, 0, 0x60
	v_mul_lo_u32 v11, v11, s76
	v_mul_lo_u32 v13, v13, s76
	;; [unrolled: 1-line block ×3, first 2 shown]
	v_add_u32_e32 v104, v26, v25
	v_mad_u32_u24 v28, v24, s26, v26
	v_add3_u32 v107, v26, v27, v53
	v_mov_b32_e32 v26, s37
	v_sub_u32_e32 v10, v10, v11
	v_sub_u32_e32 v12, v12, v13
	;; [unrolled: 1-line block ×3, first 2 shown]
	v_lshl_add_u32 v46, s78, 5, v22
	v_lshl_add_u32 v48, s58, 5, v18
	v_mad_u32_u24 v26, v54, s36, v26
	v_mad_i64_i32 v[8:9], s[6:7], v8, s92, 0
	v_mad_i64_i32 v[10:11], s[6:7], v10, s92, 0
	;; [unrolled: 1-line block ×4, first 2 shown]
	s_mov_b64 s[34:35], src_private_base
	v_ashrrev_i32_e32 v23, 31, v22
	s_movk_i32 s27, 0x1200
	v_ashrrev_i32_e32 v47, 31, v46
	v_add3_u32 v21, 0, v65, v66
	v_add_u32_e32 v92, 64, v19
	v_add_u32_e32 v93, 0x44, v19
	v_ashrrev_i32_e32 v19, 31, v18
	v_ashrrev_i32_e32 v49, 31, v48
	v_add_u32_e32 v109, v26, v25
	v_mad_u32_u24 v24, v24, s26, v26
	v_cmp_lt_u32_e64 s[4:5], 63, v50
	v_mov_b32_e32 v77, 0
	v_add_u32_e32 v81, 0x240, v80
	v_add_u32_e32 v82, 0x480, v80
	;; [unrolled: 1-line block ×7, first 2 shown]
	s_mov_b32 s34, 0
	v_cmp_gt_u32_e64 s[6:7], 64, v73
	v_add_u32_e32 v91, 0x1200, v90
	v_cmp_gt_u32_e64 s[28:29], 32, v73
	v_add_u32_e32 v97, 0x1200, v95
	v_add_u32_e32 v98, 32, v95
	v_add3_u32 v100, v29, v53, s27
	v_add_u32_e32 v101, 0x1200, v99
	v_add_u32_e32 v103, 64, v95
	v_add3_u32 v105, v28, v53, s27
	;; [unrolled: 3-line block ×3, first 2 shown]
	v_add_u32_e32 v111, 0x1200, v109
	v_add3_u32 v112, v26, v27, v53
	v_mov_b32_e32 v24, v20
	v_mov_b32_e32 v25, v20
	s_lshl_b32 s36, s42, 6
	v_mov_b32_e32 v67, 0xfeffffff
	v_lshlrev_b64 v[26:27], 1, v[8:9]
	v_lshlrev_b64 v[28:29], 1, v[10:11]
	;; [unrolled: 1-line block ×9, first 2 shown]
	v_lshlrev_b32_e32 v23, 2, v44
	v_lshlrev_b64 v[44:45], 2, v[46:47]
	v_add_u32_e32 v113, v21, v56
	v_add_u32_e32 v114, 0x2400, v57
	s_mov_b32 s46, 0x3fb8aa3b
	s_mov_b32 s47, 0xc2ce8ed0
	;; [unrolled: 1-line block ×4, first 2 shown]
	v_lshlrev_b64 v[46:47], 2, v[18:19]
	v_lshlrev_b64 v[48:49], 2, v[48:49]
	s_mov_b32 s50, 0x5040100
	v_mov_b32_e32 v19, 0x7f800000
	v_mov_b32_e32 v115, 0
	;; [unrolled: 1-line block ×10, first 2 shown]
.LBB0_228:                              ; =>This Inner Loop Header: Depth=1
	s_nop 0
	v_cndmask_b32_e64 v8, 0, 1, s[30:31]
	v_cmp_ne_u32_e64 s[26:27], 1, v8
	s_andn2_b64 vcc, exec, s[30:31]
	s_ashr_i32 s37, s36, 31
	s_cbranch_vccnz .LBB0_234
; %bb.229:                              ;   in Loop: Header=BB0_228 Depth=1
                                        ; implicit-def: $sgpr51
	s_and_saveexec_b64 s[38:39], s[4:5]
	s_xor_b64 s[38:39], exec, s[38:39]
	s_cbranch_execz .LBB0_231
; %bb.230:                              ;   in Loop: Header=BB0_228 Depth=1
	ds_write_b16 v80, v77 offset:9216
	ds_write_b16 v81, v77 offset:9216
	;; [unrolled: 1-line block ×4, first 2 shown]
	s_mov_b32 s51, 0
.LBB0_231:                              ;   in Loop: Header=BB0_228 Depth=1
	s_or_saveexec_b64 s[38:39], s[38:39]
	v_mov_b32_e32 v8, s51
	v_mov_b32_e32 v9, s51
	;; [unrolled: 1-line block ×4, first 2 shown]
	s_xor_b64 exec, exec, s[38:39]
	s_cbranch_execz .LBB0_233
; %bb.232:                              ;   in Loop: Header=BB0_228 Depth=1
	s_lshl_b64 s[52:53], s[36:37], 1
	v_mov_b32_e32 v8, s53
	v_add_co_u32_e32 v21, vcc, s52, v78
	v_addc_co_u32_e32 v116, vcc, v79, v8, vcc
	v_add_co_u32_e32 v8, vcc, v21, v26
	v_addc_co_u32_e32 v9, vcc, v116, v27, vcc
	;; [unrolled: 2-line block ×5, first 2 shown]
	flat_load_ushort v117, v[8:9]
	flat_load_ushort v118, v[10:11]
	;; [unrolled: 1-line block ×4, first 2 shown]
	v_add_co_u32_e32 v8, vcc, v21, v34
	v_addc_co_u32_e32 v9, vcc, v116, v35, vcc
	v_add_co_u32_e32 v10, vcc, v21, v36
	v_addc_co_u32_e32 v11, vcc, v116, v37, vcc
	;; [unrolled: 2-line block ×4, first 2 shown]
	s_waitcnt vmcnt(0) lgkmcnt(0)
	ds_write_b16 v80, v117 offset:9216
	ds_write_b16 v81, v118 offset:9216
	ds_write_b16 v82, v119 offset:9216
	ds_write_b16 v83, v120 offset:9216
	flat_load_ushort v8, v[8:9]
	s_nop 0
	flat_load_ushort v9, v[10:11]
	s_nop 0
	flat_load_ushort v10, v[12:13]
	flat_load_ushort v11, v[14:15]
.LBB0_233:                              ;   in Loop: Header=BB0_228 Depth=1
	s_or_b64 exec, exec, s[38:39]
	s_waitcnt vmcnt(0) lgkmcnt(0)
	ds_write_b16 v84, v8 offset:9216
	ds_write_b16 v85, v9 offset:9216
	;; [unrolled: 1-line block ×4, first 2 shown]
.LBB0_234:                              ;   in Loop: Header=BB0_228 Depth=1
	s_mul_hi_i32 s39, s36, s78
	s_mul_i32 s38, s36, s78
	s_lshl_b64 s[38:39], s[38:39], 2
	s_add_u32 s37, s43, s38
	s_addc_u32 s38, s44, s39
	v_mov_b32_e32 v8, s38
	v_add_co_u32_e32 v9, vcc, s37, v42
	v_addc_co_u32_e32 v8, vcc, v8, v43, vcc
	v_add_co_u32_e32 v10, vcc, v9, v23
	v_addc_co_u32_e32 v8, vcc, 0, v8, vcc
	v_mov_b32_e32 v13, s35
	v_mov_b32_e32 v12, s34
	buffer_store_dword v77, off, s[0:3], 0
	buffer_store_dword v77, off, s[0:3], 0 offset:4
	buffer_store_dword v77, off, s[0:3], 0 offset:8
	;; [unrolled: 1-line block ×3, first 2 shown]
	v_cndmask_b32_e64 v9, v13, v8, s[6:7]
	v_cndmask_b32_e64 v8, v12, v10, s[6:7]
	flat_load_dwordx4 v[8:11], v[8:9]
	v_mov_b32_e32 v14, s38
	v_add_co_u32_e32 v15, vcc, s37, v44
	v_addc_co_u32_e32 v14, vcc, v14, v45, vcc
	v_add_co_u32_e32 v15, vcc, v15, v23
	v_addc_co_u32_e32 v14, vcc, 0, v14, vcc
	v_cndmask_b32_e64 v12, v12, v15, s[28:29]
	v_cndmask_b32_e64 v13, v13, v14, s[28:29]
	v_add_u32_e32 v21, 0x1000, v113
	s_and_b64 vcc, exec, s[26:27]
	s_waitcnt vmcnt(0) lgkmcnt(0)
	ds_write_b128 v90, v[8:11]
	flat_load_dwordx4 v[8:11], v[12:13]
	s_waitcnt vmcnt(0) lgkmcnt(0)
	ds_write_b128 v91, v[8:11]
	s_waitcnt lgkmcnt(0)
	s_barrier
	ds_read2_b64 v[8:11], v113 offset1:4
	ds_read2_b64 v[116:119], v21 offset0:64 offset1:68
	s_waitcnt lgkmcnt(1)
	v_mfma_f32_16x16x16f16 v[12:15], v[8:9], v[4:5], 0
	s_waitcnt lgkmcnt(0)
	v_mfma_f32_16x16x16f16 v[120:123], v[116:117], v[4:5], 0
	v_mfma_f32_16x16x16f16 v[8:11], v[10:11], v[6:7], v[12:15]
	;; [unrolled: 1-line block ×3, first 2 shown]
	ds_read2_b64 v[116:119], v113 offset0:8 offset1:12
	s_nop 7
	ds_read2_b64 v[120:123], v21 offset0:72 offset1:76
	s_waitcnt lgkmcnt(1)
	v_mfma_f32_16x16x16f16 v[8:11], v[116:117], v[0:1], v[8:11]
	s_waitcnt lgkmcnt(0)
	s_barrier
	v_mfma_f32_16x16x16f16 v[124:127], v[120:121], v[0:1], v[12:15]
	v_mfma_f32_16x16x16f16 v[12:15], v[118:119], v[2:3], v[8:11]
	;; [unrolled: 1-line block ×3, first 2 shown]
	s_cbranch_vccnz .LBB0_236
; %bb.235:                              ;   in Loop: Header=BB0_228 Depth=1
	ds_read2_b32 v[116:117], v114 offset1:1
	ds_read_b32 v120, v92 offset:9216
	ds_read_b32 v122, v93 offset:9216
	v_mov_b32_e32 v21, v20
	s_waitcnt lgkmcnt(2)
	v_cvt_f32_f16_e32 v118, v116
	v_cvt_f32_f16_sdwa v119, v116 dst_sel:DWORD dst_unused:UNUSED_PAD src0_sel:WORD_1
	v_cvt_f32_f16_e32 v116, v117
	v_cvt_f32_f16_sdwa v117, v117 dst_sel:DWORD dst_unused:UNUSED_PAD src0_sel:WORD_1
	s_waitcnt lgkmcnt(1)
	v_cvt_f32_f16_sdwa v121, v120 dst_sel:DWORD dst_unused:UNUSED_PAD src0_sel:WORD_1
	s_waitcnt lgkmcnt(0)
	v_cvt_f32_f16_sdwa v123, v122 dst_sel:DWORD dst_unused:UNUSED_PAD src0_sel:WORD_1
	v_cvt_f32_f16_e32 v122, v122
	v_cvt_f32_f16_e32 v120, v120
	v_pk_fma_f32 v[14:15], v[20:21], v[116:117], v[14:15]
	v_pk_fma_f32 v[12:13], v[24:25], v[118:119], v[12:13]
	;; [unrolled: 1-line block ×4, first 2 shown]
.LBB0_236:                              ;   in Loop: Header=BB0_228 Depth=1
	s_nop 7
	s_nop 0
	v_add_f32_e32 v21, 0x40051340, v12
	v_max_f32_e32 v116, v67, v67
	v_max_f32_e32 v21, v116, v21
	v_cndmask_b32_e64 v21, v67, v21, s[10:11]
	v_add_f32_e32 v116, 0x40051340, v13
	v_max_f32_e32 v117, v21, v21
	v_max_f32_e32 v116, v117, v116
	v_cndmask_b32_e64 v21, v21, v116, s[12:13]
	;; [unrolled: 4-line block ×8, first 2 shown]
	ds_bpermute_b32 v116, v88, v21
	v_max_f32_e32 v21, v21, v21
	s_mul_hi_i32 s27, s36, s58
	s_mul_i32 s26, s36, s58
	s_lshl_b64 s[26:27], s[26:27], 2
	s_waitcnt lgkmcnt(0)
	v_max_f32_e32 v116, v116, v116
	v_max_f32_e32 v21, v21, v116
	ds_bpermute_b32 v116, v89, v21
	s_add_u32 s26, s33, s26
	s_addc_u32 s27, s40, s27
	v_mov_b32_e32 v121, s35
	v_mov_b32_e32 v122, s34
	s_waitcnt lgkmcnt(0)
	v_max_f32_e32 v116, v116, v116
	v_max_f32_e32 v21, v21, v116
	v_sub_f32_e32 v12, v12, v21
	v_mul_f32_e32 v116, 0x3fb8aa3b, v12
	v_fma_f32 v117, v12, s46, -v116
	v_rndne_f32_e32 v118, v116
	v_fmac_f32_e32 v117, 0x32a5705f, v12
	v_sub_f32_e32 v116, v116, v118
	v_add_f32_e32 v116, v116, v117
	v_exp_f32_e32 v116, v116
	v_cvt_i32_f32_e32 v117, v118
	v_sub_f32_e32 v13, v13, v21
	v_cmp_ngt_f32_e32 vcc, s47, v12
	buffer_store_dword v77, off, s[0:3], 0
	buffer_store_dword v77, off, s[0:3], 0 offset:4
	buffer_store_dword v77, off, s[0:3], 0 offset:8
	;; [unrolled: 1-line block ×3, first 2 shown]
	v_ldexp_f32 v116, v116, v117
	v_mul_f32_e32 v117, 0x3fb8aa3b, v13
	v_fma_f32 v118, v13, s46, -v117
	v_rndne_f32_e32 v119, v117
	v_fmac_f32_e32 v118, 0x32a5705f, v13
	v_sub_f32_e32 v117, v117, v119
	v_add_f32_e32 v117, v117, v118
	v_exp_f32_e32 v117, v117
	v_cvt_i32_f32_e32 v118, v119
	v_cndmask_b32_e32 v116, 0, v116, vcc
	v_cmp_nlt_f32_e32 vcc, s48, v12
	v_cndmask_b32_e32 v12, v19, v116, vcc
	v_ldexp_f32 v116, v117, v118
	v_cmp_ngt_f32_e32 vcc, s47, v13
	v_cndmask_b32_e32 v116, 0, v116, vcc
	v_cmp_nlt_f32_e32 vcc, s48, v13
	v_cndmask_b32_e32 v120, v19, v116, vcc
	v_mov_b32_e32 v13, s27
	v_add_co_u32_e32 v116, vcc, s26, v46
	v_addc_co_u32_e32 v13, vcc, v13, v47, vcc
	v_add_co_u32_e32 v116, vcc, v116, v23
	v_addc_co_u32_e32 v13, vcc, 0, v13, vcc
	v_cndmask_b32_e64 v117, v121, v13, s[6:7]
	v_cndmask_b32_e64 v116, v122, v116, s[6:7]
	flat_load_dwordx4 v[116:119], v[116:117]
	v_cndmask_b32_e64 v14, v14, v14, s[12:13]
	v_sub_f32_e32 v14, v14, v21
	v_mul_f32_e32 v124, 0x3fb8aa3b, v14
	v_fma_f32 v125, v14, s46, -v124
	v_rndne_f32_e32 v126, v124
	v_fmac_f32_e32 v125, 0x32a5705f, v14
	v_sub_f32_e32 v124, v124, v126
	v_add_f32_e32 v124, v124, v125
	v_exp_f32_e32 v124, v124
	v_cvt_i32_f32_e32 v125, v126
	v_cndmask_b32_e64 v12, 0, v12, s[10:11]
	v_add_f32_e32 v123, v120, v12
	v_mov_b32_e32 v13, s45
	v_cndmask_b32_e64 v15, v15, v15, s[12:13]
	v_cndmask_b32_e64 v120, v13, v120, s[12:13]
	;; [unrolled: 1-line block ×3, first 2 shown]
	v_ldexp_f32 v123, v124, v125
	v_cmp_ngt_f32_e32 vcc, s47, v14
	v_sub_f32_e32 v15, v15, v21
	v_cndmask_b32_e32 v123, 0, v123, vcc
	v_cmp_nlt_f32_e32 vcc, s48, v14
	v_mul_f32_e32 v14, 0x3fb8aa3b, v15
	v_fma_f32 v125, v15, s46, -v14
	v_rndne_f32_e32 v126, v14
	v_fmac_f32_e32 v125, 0x32a5705f, v15
	v_sub_f32_e32 v14, v14, v126
	v_add_f32_e32 v14, v14, v125
	v_exp_f32_e32 v125, v14
	v_cvt_i32_f32_e32 v126, v126
	v_cndmask_b32_e32 v123, v19, v123, vcc
	v_add_f32_e32 v124, v13, v123
	v_mov_b32_e32 v14, s45
	v_cndmask_b32_e64 v123, v14, v123, s[14:15]
	v_cndmask_b32_e64 v14, v13, v124, s[14:15]
	v_ldexp_f32 v13, v125, v126
	v_cmp_ngt_f32_e32 vcc, s47, v15
	v_cndmask_b32_e32 v13, 0, v13, vcc
	v_cmp_nlt_f32_e32 vcc, s48, v15
	v_sub_f32_e32 v8, v8, v21
	v_cndmask_b32_e32 v15, v19, v13, vcc
	v_mul_f32_e32 v13, 0x3fb8aa3b, v8
	v_fma_f32 v125, v8, s46, -v13
	v_rndne_f32_e32 v126, v13
	v_fmac_f32_e32 v125, 0x32a5705f, v8
	v_sub_f32_e32 v13, v13, v126
	v_add_f32_e32 v13, v13, v125
	v_exp_f32_e32 v125, v13
	v_cvt_i32_f32_e32 v126, v126
	v_add_f32_e32 v124, v14, v15
	v_cndmask_b32_e64 v124, v14, v124, s[16:17]
	v_cmp_ngt_f32_e32 vcc, s47, v8
	v_ldexp_f32 v14, v125, v126
	v_cndmask_b32_e64 v9, v9, v9, s[18:19]
	v_cndmask_b32_e32 v14, 0, v14, vcc
	v_cmp_nlt_f32_e32 vcc, s48, v8
	v_sub_f32_e32 v9, v9, v21
	v_mov_b32_e32 v13, s45
	v_cndmask_b32_e32 v125, v19, v14, vcc
	v_mul_f32_e32 v14, 0x3fb8aa3b, v9
	v_cndmask_b32_e64 v13, v13, v15, s[16:17]
	v_fma_f32 v15, v9, s46, -v14
	v_rndne_f32_e32 v127, v14
	v_fmac_f32_e32 v15, 0x32a5705f, v9
	v_sub_f32_e32 v14, v14, v127
	v_add_f32_e32 v128, v14, v15
	v_mov_b32_e32 v14, s27
	v_add_co_u32_e32 v15, vcc, s26, v48
	v_addc_co_u32_e32 v14, vcc, v14, v49, vcc
	v_add_co_u32_e32 v129, vcc, v15, v23
	v_addc_co_u32_e32 v14, vcc, 0, v14, vcc
	v_cndmask_b32_e64 v15, v121, v14, s[28:29]
	v_cndmask_b32_e64 v14, v122, v129, s[28:29]
	;; [unrolled: 1-line block ×3, first 2 shown]
	v_cmp_ngt_f32_e32 vcc, s47, v9
	v_sub_f32_e32 v10, v10, v21
	s_waitcnt vmcnt(0) lgkmcnt(0)
	ds_write_b128 v90, v[116:119]
	flat_load_dwordx4 v[116:119], v[14:15]
	v_exp_f32_e32 v14, v128
	v_cvt_i32_f32_e32 v15, v127
	v_add_f32_e32 v126, v125, v124
	v_mov_b32_e32 v8, s45
	v_cndmask_b32_e64 v121, v8, v125, s[18:19]
	v_ldexp_f32 v14, v14, v15
	v_cndmask_b32_e32 v14, 0, v14, vcc
	v_cmp_nlt_f32_e32 vcc, s48, v9
	v_mul_f32_e32 v9, 0x3fb8aa3b, v10
	v_cndmask_b32_e64 v8, v124, v126, s[18:19]
	v_fma_f32 v122, v10, s46, -v9
	v_rndne_f32_e32 v124, v9
	v_fmac_f32_e32 v122, 0x32a5705f, v10
	v_sub_f32_e32 v9, v9, v124
	v_add_f32_e32 v9, v9, v122
	v_exp_f32_e32 v122, v9
	v_cvt_i32_f32_e32 v124, v124
	v_cndmask_b32_e32 v14, v19, v14, vcc
	v_add_f32_e32 v15, v14, v8
	v_mov_b32_e32 v9, s45
	v_cndmask_b32_e64 v11, v11, v11, s[18:19]
	v_cndmask_b32_e64 v125, v9, v14, s[20:21]
	;; [unrolled: 1-line block ×3, first 2 shown]
	v_ldexp_f32 v8, v122, v124
	v_cmp_ngt_f32_e32 vcc, s47, v10
	v_cndmask_b32_e32 v8, 0, v8, vcc
	v_cmp_nlt_f32_e32 vcc, s48, v10
	v_sub_f32_e32 v11, v11, v21
	v_cndmask_b32_e32 v10, v19, v8, vcc
	v_mul_f32_e32 v8, 0x3fb8aa3b, v11
	v_fma_f32 v15, v11, s46, -v8
	v_rndne_f32_e32 v122, v8
	v_fmac_f32_e32 v15, 0x32a5705f, v11
	v_sub_f32_e32 v8, v8, v122
	v_add_f32_e32 v8, v8, v15
	v_exp_f32_e32 v15, v8
	v_cvt_i32_f32_e32 v122, v122
	v_mov_b32_e32 v8, s45
	v_add_f32_e32 v14, v10, v9
	v_cndmask_b32_e64 v124, v8, v10, s[22:23]
	v_sub_f32_e32 v10, v67, v21
	v_cndmask_b32_e64 v8, v9, v14, s[22:23]
	v_mul_f32_e32 v14, 0x3fb8aa3b, v10
	v_ldexp_f32 v9, v15, v122
	v_fma_f32 v15, v10, s46, -v14
	v_rndne_f32_e32 v67, v14
	v_fmac_f32_e32 v15, 0x32a5705f, v10
	v_sub_f32_e32 v14, v14, v67
	v_add_f32_e32 v14, v14, v15
	v_exp_f32_e32 v14, v14
	v_cvt_i32_f32_e32 v15, v67
	v_cmp_ngt_f32_e32 vcc, s47, v11
	v_cndmask_b32_e32 v9, 0, v9, vcc
	v_cmp_nlt_f32_e32 vcc, s48, v11
	v_cndmask_b32_e32 v11, v19, v9, vcc
	v_ldexp_f32 v14, v14, v15
	v_cmp_ngt_f32_e32 vcc, s47, v10
	v_cndmask_b32_e32 v14, 0, v14, vcc
	v_cmp_nlt_f32_e32 vcc, s48, v10
	v_add_f32_e32 v67, v11, v8
	v_cndmask_b32_e32 v14, v19, v14, vcc
	v_cmp_le_f32_e32 vcc, s49, v10
	v_cndmask_b32_e32 v10, 0, v14, vcc
	v_cndmask_b32_e64 v67, v8, v67, s[24:25]
	v_cvt_f16_f32_e32 v8, v12
	v_cvt_f16_f32_e32 v12, v13
	;; [unrolled: 1-line block ×3, first 2 shown]
	v_mov_b32_e32 v9, s45
	v_cndmask_b32_e64 v126, v9, v11, s[24:25]
	v_fmac_f32_e32 v67, v115, v10
	v_cvt_f16_f32_e32 v9, v120
	v_cvt_f16_f32_e32 v10, v123
	v_pk_mul_f16 v115, v122, v60 op_sel_hi:[0,1]
	v_pk_mul_f16 v11, v122, v62 op_sel_hi:[0,1]
	;; [unrolled: 1-line block ×3, first 2 shown]
	v_pack_b32_f16 v8, v8, v9
	v_pack_b32_f16 v9, v10, v12
	v_cvt_f32_f16_e32 v10, v11
	v_cvt_f32_f16_sdwa v11, v11 dst_sel:DWORD dst_unused:UNUSED_PAD src0_sel:WORD_1
	s_waitcnt vmcnt(0) lgkmcnt(0)
	ds_write_b128 v91, v[116:119]
	s_waitcnt lgkmcnt(0)
	s_barrier
	ds_read_u16 v13, v95 offset:144
	ds_read_u16 v14, v95 offset:288
	ds_read_u16 v15, v96
	v_cvt_f32_f16_e32 v12, v61
	v_cvt_f16_f32_e32 v118, v124
	v_pk_mul_f16 v62, v122, v63 op_sel_hi:[0,1]
	v_pk_mul_f16 v63, v122, v59 op_sel_hi:[0,1]
	s_waitcnt lgkmcnt(0)
	v_perm_b32 v15, v15, v14, s50
	ds_read_u16 v14, v94
	ds_read_u16 v116, v94 offset:32
	ds_read_u16 v117, v94 offset:64
	;; [unrolled: 1-line block ×4, first 2 shown]
	s_waitcnt lgkmcnt(4)
	v_perm_b32 v14, v13, v14, s50
	v_cvt_f32_f16_sdwa v13, v61 dst_sel:DWORD dst_unused:UNUSED_PAD src0_sel:WORD_1
	v_cvt_f16_f32_e32 v59, v121
	v_cvt_f16_f32_e32 v61, v125
	v_mfma_f32_16x16x16f16 v[10:13], v[14:15], v[8:9], v[10:13]
	ds_read_u16 v14, v97 offset:288
	ds_read_u16 v123, v98 offset:144
	;; [unrolled: 1-line block ×5, first 2 shown]
	v_cvt_f16_f32_e32 v121, v126
	ds_read_u16 v125, v96 offset:32
	ds_read_u16 v126, v96 offset:64
	;; [unrolled: 1-line block ×3, first 2 shown]
	v_pk_mul_f16 v128, v122, v58 op_sel_hi:[0,1]
	v_cvt_f32_f16_e32 v58, v62
	s_waitcnt lgkmcnt(3)
	v_perm_b32 v15, v15, v14, s50
	v_perm_b32 v14, v120, v60, s50
	v_cvt_f16_f32_e32 v10, v10
	v_cvt_f16_f32_e32 v11, v11
	;; [unrolled: 1-line block ×4, first 2 shown]
	v_cvt_f32_f16_e32 v10, v10
	v_cvt_f32_f16_e32 v11, v11
	;; [unrolled: 1-line block ×4, first 2 shown]
	v_pack_b32_f16 v120, v59, v61
	v_pack_b32_f16 v121, v118, v121
	v_cvt_f32_f16_sdwa v59, v62 dst_sel:DWORD dst_unused:UNUSED_PAD src0_sel:WORD_1
	v_cvt_f32_f16_e32 v60, v63
	v_mfma_f32_16x16x16f16 v[10:13], v[14:15], v[120:121], v[10:13]
	s_waitcnt lgkmcnt(2)
	v_perm_b32 v15, v125, v124, s50
	v_perm_b32 v14, v123, v116, s50
	v_cvt_f32_f16_sdwa v61, v63 dst_sel:DWORD dst_unused:UNUSED_PAD src0_sel:WORD_1
	v_pk_mul_f16 v63, v122, v57 op_sel_hi:[0,1]
	v_pk_mul_f16 v122, v122, v56 op_sel_hi:[0,1]
	s_add_i32 s42, s42, 1
	v_cmp_lt_i32_e32 vcc, s42, v76
	v_mfma_f32_16x16x16f16 v[56:59], v[14:15], v[8:9], v[58:61]
	s_nop 1
	v_cvt_f16_f32_e32 v62, v10
	v_cvt_f16_f32_e32 v124, v12
	;; [unrolled: 1-line block ×3, first 2 shown]
	s_and_b64 vcc, exec, vcc
	s_add_i32 s36, s36, 64
	s_nop 3
	v_cvt_f16_f32_e32 v10, v56
	v_cvt_f16_f32_e32 v14, v57
	;; [unrolled: 1-line block ×4, first 2 shown]
	v_cvt_f32_f16_e32 v56, v10
	v_cvt_f32_f16_e32 v57, v14
	;; [unrolled: 1-line block ×3, first 2 shown]
	ds_read_u16 v10, v99 offset:4608
	ds_read_u16 v14, v100 offset:144
	;; [unrolled: 1-line block ×8, first 2 shown]
	s_waitcnt lgkmcnt(4)
	v_perm_b32 v15, v60, v15, s50
	v_perm_b32 v14, v14, v10, s50
	v_cvt_f32_f16_e32 v59, v59
	v_cvt_f16_f32_e32 v60, v11
	v_pack_b32_f16 v62, v62, v60
	v_mfma_f32_16x16x16f16 v[10:13], v[14:15], v[120:121], v[56:59]
	s_waitcnt lgkmcnt(2)
	v_perm_b32 v15, v126, v116, s50
	v_perm_b32 v14, v61, v117, s50
	v_pack_b32_f16 v61, v124, v125
	v_cvt_f32_f16_e32 v116, v63
	v_cvt_f32_f16_sdwa v117, v63 dst_sel:DWORD dst_unused:UNUSED_PAD src0_sel:WORD_1
	s_nop 0
	v_cvt_f32_f16_e32 v56, v115
	v_cvt_f32_f16_sdwa v57, v115 dst_sel:DWORD dst_unused:UNUSED_PAD src0_sel:WORD_1
	v_cvt_f32_f16_e32 v58, v128
	v_cvt_f32_f16_sdwa v59, v128 dst_sel:DWORD dst_unused:UNUSED_PAD src0_sel:WORD_1
	v_cvt_f16_f32_e32 v60, v10
	v_cvt_f16_f32_e32 v130, v12
	v_mfma_f32_16x16x16f16 v[56:59], v[14:15], v[8:9], v[56:59]
	v_cvt_f16_f32_e32 v131, v13
	s_nop 7
	s_nop 1
	v_cvt_f16_f32_e32 v10, v56
	v_cvt_f16_f32_e32 v14, v57
	;; [unrolled: 1-line block ×4, first 2 shown]
	v_cvt_f32_f16_e32 v56, v10
	v_cvt_f32_f16_e32 v57, v14
	ds_read_u16 v10, v106 offset:288
	ds_read_u16 v14, v107 offset:4608
	;; [unrolled: 1-line block ×8, first 2 shown]
	v_cvt_f32_f16_e32 v58, v15
	s_waitcnt lgkmcnt(6)
	v_perm_b32 v15, v14, v10, s50
	v_perm_b32 v14, v123, v118, s50
	v_cvt_f32_f16_e32 v59, v59
	v_cvt_f16_f32_e32 v123, v11
	v_cvt_f32_f16_e32 v118, v122
	v_mfma_f32_16x16x16f16 v[10:13], v[14:15], v[120:121], v[56:59]
	s_waitcnt lgkmcnt(4)
	v_perm_b32 v15, v127, v124, s50
	v_perm_b32 v14, v115, v119, s50
	v_cvt_f32_f16_sdwa v119, v122 dst_sel:DWORD dst_unused:UNUSED_PAD src0_sel:WORD_1
	v_pack_b32_f16 v63, v60, v123
	s_nop 1
	v_pack_b32_f16 v59, v130, v131
	s_waitcnt lgkmcnt(0)
	s_barrier
	v_mfma_f32_16x16x16f16 v[116:119], v[14:15], v[8:9], v[116:119]
	v_cvt_f16_f32_e32 v56, v10
	v_cvt_f16_f32_e32 v12, v12
	;; [unrolled: 1-line block ×3, first 2 shown]
	v_pack_b32_f16 v58, v12, v13
	s_nop 6
	v_cvt_f16_f32_e32 v8, v116
	v_cvt_f16_f32_e32 v9, v117
	;; [unrolled: 1-line block ×4, first 2 shown]
	v_cvt_f32_f16_e32 v116, v8
	v_cvt_f32_f16_e32 v117, v9
	v_perm_b32 v9, v129, v128, s50
	v_perm_b32 v8, v126, v125, s50
	v_cvt_f32_f16_e32 v118, v10
	v_cvt_f32_f16_e32 v119, v14
	v_cvt_f16_f32_e32 v14, v11
	v_pack_b32_f16 v60, v56, v14
	v_mfma_f32_16x16x16f16 v[8:11], v[8:9], v[120:121], v[116:119]
	s_nop 7
	s_nop 2
	v_cvt_f16_f32_e32 v8, v8
	v_cvt_f16_f32_e32 v9, v9
	;; [unrolled: 1-line block ×4, first 2 shown]
	v_pack_b32_f16 v57, v8, v9
	v_pack_b32_f16 v56, v10, v11
	s_cbranch_vccz .LBB0_240
; %bb.237:                              ;   in Loop: Header=BB0_228 Depth=1
	v_mov_b32_e32 v115, v67
	v_mov_b32_e32 v67, v21
	s_branch .LBB0_228
.LBB0_238:
                                        ; implicit-def: $sgpr10_sgpr11
                                        ; kill: killed $sgpr10_sgpr11
	s_load_dwordx2 s[90:91], s[4:5], 0x5c
	s_branch .LBB0_7
.LBB0_239:
	v_mov_b32_e32 v67, 0
	v_mov_b32_e32 v21, 0xfeffffff
	v_mov_b32_e32 v57, 0
	v_mov_b32_e32 v58, 0
	v_mov_b32_e32 v60, 0
	v_mov_b32_e32 v59, 0
	v_mov_b32_e32 v63, 0
	v_mov_b32_e32 v61, 0
	v_mov_b32_e32 v62, 0
.LBB0_240:
	s_lshl_b32 s26, s42, 6
	v_readlane_b32 s4, v187, 4
	s_sub_i32 s24, s4, s26
	s_cmp_lg_u64 s[8:9], 0
	s_cselect_b64 s[6:7], -1, 0
	s_ashr_i32 s27, s26, 31
	s_cmp_eq_u64 s[8:9], 0
	v_readlane_b32 s5, v187, 5
	s_cbranch_scc1 .LBB0_258
; %bb.241:
	s_lshl_b64 s[4:5], s[26:27], 1
	s_add_u32 s4, s8, s4
	s_addc_u32 s5, s9, s5
	v_mov_b32_e32 v9, s5
	v_add_co_u32_e64 v8, s[4:5], s4, v75
	v_cmp_gt_i32_e32 vcc, s24, v50
	v_mov_b32_e32 v10, 0
	v_addc_co_u32_e64 v9, s[4:5], 0, v9, s[4:5]
	v_mov_b32_e32 v12, 0
	s_and_saveexec_b64 s[8:9], vcc
	s_cbranch_execz .LBB0_243
; %bb.242:
	v_add_u32_e32 v11, s41, v68
	v_mul_hi_u32 v12, s90, v11
	v_add_u32_e32 v12, v11, v12
	v_lshrrev_b32_e32 v12, s91, v12
	v_mul_lo_u32 v12, v12, s76
	v_sub_u32_e32 v11, v11, v12
	v_mad_i64_i32 v[12:13], s[4:5], v11, s92, 0
	v_lshlrev_b64 v[12:13], 1, v[12:13]
	v_add_co_u32_e64 v12, s[4:5], v8, v12
	v_addc_co_u32_e64 v13, s[4:5], v9, v13, s[4:5]
	flat_load_ushort v12, v[12:13]
.LBB0_243:
	s_or_b64 exec, exec, s[8:9]
	s_movk_i32 s4, 0x90
	v_mad_u32_u24 v11, v68, s4, 0
	v_lshl_add_u32 v13, v50, 1, v11
	s_waitcnt vmcnt(0) lgkmcnt(0)
	ds_write_b16 v13, v12 offset:9216
	s_and_saveexec_b64 s[8:9], vcc
	s_cbranch_execz .LBB0_245
; %bb.244:
	v_add3_u32 v10, v68, s41, 4
	v_mul_hi_u32 v12, s90, v10
	v_add_u32_e32 v12, v10, v12
	v_lshrrev_b32_e32 v12, s91, v12
	v_mul_lo_u32 v12, v12, s76
	v_sub_u32_e32 v10, v10, v12
	v_mad_i64_i32 v[12:13], s[4:5], v10, s92, 0
	v_lshlrev_b64 v[12:13], 1, v[12:13]
	v_add_co_u32_e64 v12, s[4:5], v8, v12
	v_addc_co_u32_e64 v13, s[4:5], v9, v13, s[4:5]
	flat_load_ushort v10, v[12:13]
.LBB0_245:
	s_or_b64 exec, exec, s[8:9]
	v_add_u32_e32 v11, 0x240, v11
	v_lshl_add_u32 v12, v50, 1, v11
	s_waitcnt vmcnt(0) lgkmcnt(0)
	ds_write_b16 v12, v10 offset:9216
	v_mov_b32_e32 v10, 0
	v_mov_b32_e32 v12, 0
	s_and_saveexec_b64 s[8:9], vcc
	s_cbranch_execz .LBB0_247
; %bb.246:
	v_add3_u32 v12, v68, s41, 8
	v_mul_hi_u32 v13, s90, v12
	v_add_u32_e32 v13, v12, v13
	v_lshrrev_b32_e32 v13, s91, v13
	v_mul_lo_u32 v13, v13, s76
	v_sub_u32_e32 v12, v12, v13
	v_mad_i64_i32 v[12:13], s[4:5], v12, s92, 0
	v_lshlrev_b64 v[12:13], 1, v[12:13]
	v_add_co_u32_e64 v12, s[4:5], v8, v12
	v_addc_co_u32_e64 v13, s[4:5], v9, v13, s[4:5]
	flat_load_ushort v12, v[12:13]
.LBB0_247:
	s_or_b64 exec, exec, s[8:9]
	v_add_u32_e32 v11, 0x240, v11
	v_lshl_add_u32 v13, v50, 1, v11
	s_waitcnt vmcnt(0) lgkmcnt(0)
	ds_write_b16 v13, v12 offset:9216
	s_and_saveexec_b64 s[8:9], vcc
	s_cbranch_execz .LBB0_249
; %bb.248:
	v_add3_u32 v10, v68, s41, 12
	v_mul_hi_u32 v12, s90, v10
	v_add_u32_e32 v12, v10, v12
	v_lshrrev_b32_e32 v12, s91, v12
	v_mul_lo_u32 v12, v12, s76
	v_sub_u32_e32 v10, v10, v12
	v_mad_i64_i32 v[12:13], s[4:5], v10, s92, 0
	v_lshlrev_b64 v[12:13], 1, v[12:13]
	v_add_co_u32_e64 v12, s[4:5], v8, v12
	v_addc_co_u32_e64 v13, s[4:5], v9, v13, s[4:5]
	flat_load_ushort v10, v[12:13]
.LBB0_249:
	s_or_b64 exec, exec, s[8:9]
	v_add_u32_e32 v11, 0x240, v11
	v_lshl_add_u32 v12, v50, 1, v11
	s_waitcnt vmcnt(0) lgkmcnt(0)
	ds_write_b16 v12, v10 offset:9216
	v_mov_b32_e32 v10, 0
	v_mov_b32_e32 v12, 0
	s_and_saveexec_b64 s[8:9], vcc
	s_cbranch_execz .LBB0_251
; %bb.250:
	v_add3_u32 v12, v68, s41, 16
	v_mul_hi_u32 v13, s90, v12
	v_add_u32_e32 v13, v12, v13
	v_lshrrev_b32_e32 v13, s91, v13
	v_mul_lo_u32 v13, v13, s76
	v_sub_u32_e32 v12, v12, v13
	v_mad_i64_i32 v[12:13], s[4:5], v12, s92, 0
	v_lshlrev_b64 v[12:13], 1, v[12:13]
	v_add_co_u32_e64 v12, s[4:5], v8, v12
	v_addc_co_u32_e64 v13, s[4:5], v9, v13, s[4:5]
	flat_load_ushort v12, v[12:13]
.LBB0_251:
	s_or_b64 exec, exec, s[8:9]
	v_add_u32_e32 v11, 0x240, v11
	;; [unrolled: 42-line block ×3, first 2 shown]
	v_lshl_add_u32 v11, v50, 1, v11
	s_waitcnt vmcnt(0) lgkmcnt(0)
	ds_write_b16 v11, v12 offset:9216
	s_and_saveexec_b64 s[4:5], vcc
	s_cbranch_execz .LBB0_257
; %bb.256:
	v_add3_u32 v10, v68, s41, 28
	v_mul_hi_u32 v12, s90, v10
	v_add_u32_e32 v12, v10, v12
	v_lshrrev_b32_e32 v12, s91, v12
	v_mul_lo_u32 v12, v12, s76
	v_sub_u32_e32 v10, v10, v12
	v_mad_i64_i32 v[12:13], s[8:9], v10, s92, 0
	v_lshlrev_b64 v[12:13], 1, v[12:13]
	v_add_co_u32_e32 v8, vcc, v8, v12
	v_addc_co_u32_e32 v9, vcc, v9, v13, vcc
	flat_load_ushort v10, v[8:9]
.LBB0_257:
	s_or_b64 exec, exec, s[4:5]
	s_waitcnt vmcnt(0) lgkmcnt(0)
	ds_write_b16 v11, v10 offset:9792
.LBB0_258:
	s_mul_hi_i32 s5, s26, s78
	s_mul_i32 s4, s26, s78
	s_lshl_b64 s[4:5], s[4:5], 2
	v_mov_b32_e32 v8, 0
	s_add_u32 s8, s43, s4
	buffer_store_dword v8, off, s[0:3], 0
	buffer_store_dword v8, off, s[0:3], 0 offset:4
	buffer_store_dword v8, off, s[0:3], 0 offset:8
	;; [unrolled: 1-line block ×3, first 2 shown]
	v_and_b32_e32 v8, 28, v74
	v_ashrrev_i32_e32 v23, 31, v22
	s_addc_u32 s9, s44, s5
	v_lshlrev_b32_e32 v24, 2, v8
	v_lshlrev_b64 v[8:9], 2, v[22:23]
	v_mov_b32_e32 v10, s9
	v_add_co_u32_e32 v8, vcc, s8, v8
	v_addc_co_u32_e32 v9, vcc, v10, v9, vcc
	s_mov_b64 s[4:5], src_private_base
	v_add_co_u32_e32 v8, vcc, v8, v24
	v_addc_co_u32_e32 v9, vcc, 0, v9, vcc
	v_mov_b32_e32 v14, s5
	v_cmp_gt_i32_e64 s[14:15], s24, v73
	v_mov_b32_e32 v15, 0
	v_cndmask_b32_e64 v9, v14, v9, s[14:15]
	v_cndmask_b32_e64 v8, v15, v8, s[14:15]
	flat_load_dwordx4 v[8:11], v[8:9]
	v_lshl_add_u32 v12, s78, 5, v22
	v_ashrrev_i32_e32 v13, 31, v12
	v_mul_u32_u24_e32 v19, 0x90, v73
	v_lshlrev_b64 v[12:13], 2, v[12:13]
	v_add3_u32 v25, 0, v19, v24
	v_mov_b32_e32 v19, s9
	v_add_co_u32_e32 v12, vcc, s8, v12
	v_addc_co_u32_e32 v13, vcc, v19, v13, vcc
	v_add_u32_e32 v23, 32, v73
	v_add_co_u32_e32 v12, vcc, v12, v24
	v_addc_co_u32_e32 v13, vcc, 0, v13, vcc
	v_cmp_gt_i32_e64 s[12:13], s24, v23
	v_cndmask_b32_e64 v13, v14, v13, s[12:13]
	v_cndmask_b32_e64 v12, v15, v12, s[12:13]
	v_and_b32_e32 v19, 16, v69
	s_movk_i32 s4, 0x90
	s_and_b64 vcc, exec, s[6:7]
	s_waitcnt vmcnt(0) lgkmcnt(0)
	ds_write_b128 v25, v[8:11]
	flat_load_dwordx4 v[8:11], v[12:13]
	v_add_u32_e32 v12, 0, v65
	v_mul_u32_u24_e32 v13, 0x90, v19
	v_add3_u32 v22, v12, v66, v13
	v_add_u32_e32 v23, 0x1000, v22
	s_waitcnt vmcnt(0) lgkmcnt(0)
	ds_write_b128 v25, v[8:11] offset:4608
	s_waitcnt lgkmcnt(0)
	s_barrier
	ds_read2_b64 v[8:11], v22 offset1:4
	ds_read2_b64 v[26:29], v23 offset0:64 offset1:68
	s_waitcnt lgkmcnt(1)
	v_mfma_f32_16x16x16f16 v[12:15], v[8:9], v[4:5], 0
	s_waitcnt lgkmcnt(0)
	v_mfma_f32_16x16x16f16 v[30:33], v[26:27], v[4:5], 0
	v_mfma_f32_16x16x16f16 v[8:11], v[10:11], v[6:7], v[12:15]
	;; [unrolled: 1-line block ×3, first 2 shown]
	s_nop 6
	ds_read2_b64 v[12:15], v22 offset0:8 offset1:12
	ds_read2_b64 v[26:29], v23 offset0:72 offset1:76
	v_and_b32_e32 v23, 0xfc, v55
	v_add_u32_e32 v19, v19, v23
	s_waitcnt lgkmcnt(0)
	s_barrier
	v_mfma_f32_16x16x16f16 v[8:11], v[12:13], v[0:1], v[8:11]
	v_mfma_f32_16x16x16f16 v[4:7], v[26:27], v[0:1], v[4:7]
	v_add_u32_e32 v27, 32, v19
	v_mfma_f32_16x16x16f16 v[8:11], v[14:15], v[2:3], v[8:11]
	v_mfma_f32_16x16x16f16 v[12:15], v[28:29], v[2:3], v[4:7]
	v_add_u32_e32 v29, 34, v19
	s_cbranch_vccz .LBB0_274
; %bb.259:
	v_mad_u32_u24 v2, v64, s4, 0
	v_lshlrev_b32_e32 v0, 1, v19
	s_movk_i32 s4, 0x2400
	v_add_u32_e32 v28, 32, v19
	v_add3_u32 v0, v2, v0, s4
	v_lshl_add_u32 v3, v28, 1, v2
	v_add_u32_e32 v22, 34, v19
	ds_read2_b32 v[0:1], v0 offset1:1
	v_lshl_add_u32 v2, v22, 1, v2
	ds_read_b32 v4, v3 offset:9216
	ds_read_b32 v5, v2 offset:9216
	s_waitcnt lgkmcnt(2)
	v_cvt_f32_f16_e32 v2, v0
	v_cvt_f32_f16_sdwa v3, v0 dst_sel:DWORD dst_unused:UNUSED_PAD src0_sel:WORD_1
	v_cvt_f32_f16_e32 v0, v1
	v_cvt_f32_f16_sdwa v1, v1 dst_sel:DWORD dst_unused:UNUSED_PAD src0_sel:WORD_1
	s_waitcnt lgkmcnt(1)
	v_cvt_f32_f16_e32 v30, v4
	s_waitcnt lgkmcnt(0)
	v_cvt_f32_f16_e32 v32, v5
	v_cvt_f32_f16_sdwa v33, v5 dst_sel:DWORD dst_unused:UNUSED_PAD src0_sel:WORD_1
	v_cvt_f32_f16_sdwa v31, v4 dst_sel:DWORD dst_unused:UNUSED_PAD src0_sel:WORD_1
	v_pk_fma_f32 v[6:7], v[20:21], v[0:1], v[10:11] op_sel_hi:[0,1,1]
	v_pk_fma_f32 v[4:5], v[20:21], v[2:3], v[8:9] op_sel_hi:[0,1,1]
	v_pk_fma_f32 v[2:3], v[20:21], v[32:33], v[14:15] op_sel_hi:[0,1,1]
	v_pk_fma_f32 v[0:1], v[20:21], v[30:31], v[12:13] op_sel_hi:[0,1,1]
	v_add_u32_e32 v26, 0x1200, v25
	s_cbranch_execnz .LBB0_261
.LBB0_260:
	s_nop 6
	v_pk_mov_b32 v[0:1], v[12:13], v[12:13] op_sel:[0,1]
	v_pk_mov_b32 v[4:5], v[8:9], v[8:9] op_sel:[0,1]
	v_mov_b32_e32 v22, v29
	v_mov_b32_e32 v28, v27
	v_pk_mov_b32 v[2:3], v[14:15], v[14:15] op_sel:[0,1]
	v_pk_mov_b32 v[6:7], v[10:11], v[10:11] op_sel:[0,1]
.LBB0_261:
	v_add_f32_e32 v8, 0x40051340, v4
	v_max_f32_e32 v9, v21, v21
	v_max_f32_e32 v8, v9, v8
	v_cmp_gt_u32_e64 s[20:21], s24, v19
	v_cndmask_b32_e64 v8, v21, v8, s[20:21]
	v_or_b32_e32 v9, 1, v19
	v_add_f32_e32 v10, 0x40051340, v5
	v_max_f32_e32 v11, v8, v8
	v_max_f32_e32 v10, v11, v10
	v_cmp_gt_u32_e64 s[18:19], s24, v9
	v_cndmask_b32_e64 v8, v8, v10, s[18:19]
	v_or_b32_e32 v9, 2, v19
	;; [unrolled: 6-line block ×3, first 2 shown]
	v_add_f32_e32 v10, 0x40051340, v7
	v_max_f32_e32 v11, v8, v8
	v_max_f32_e32 v10, v11, v10
	v_cmp_gt_u32_e64 s[10:11], s24, v9
	v_cndmask_b32_e64 v8, v8, v10, s[10:11]
	v_add_f32_e32 v9, 0x40051340, v0
	v_max_f32_e32 v10, v8, v8
	v_max_f32_e32 v9, v10, v9
	v_cmp_gt_u32_e64 s[22:23], s24, v28
	v_cndmask_b32_e64 v8, v8, v9, s[22:23]
	v_add_u32_e32 v9, 33, v19
	v_add_f32_e32 v10, 0x40051340, v1
	v_max_f32_e32 v11, v8, v8
	v_max_f32_e32 v10, v11, v10
	v_cmp_gt_u32_e64 s[6:7], s24, v9
	v_cndmask_b32_e64 v8, v8, v10, s[6:7]
	v_add_f32_e32 v9, 0x40051340, v2
	v_max_f32_e32 v10, v8, v8
	v_max_f32_e32 v9, v10, v9
	v_cmp_gt_u32_e64 s[4:5], s24, v22
	v_cndmask_b32_e64 v8, v8, v9, s[4:5]
	v_add_u32_e32 v9, 35, v19
	v_add_f32_e32 v10, 0x40051340, v3
	v_max_f32_e32 v11, v8, v8
	v_max_f32_e32 v10, v11, v10
	v_cmp_gt_u32_e32 vcc, s24, v9
	v_mbcnt_hi_u32_b32 v9, -1, v72
	v_cndmask_b32_e32 v8, v8, v10, vcc
	v_and_b32_e32 v10, 64, v9
	v_add_u32_e32 v10, 64, v10
	v_xor_b32_e32 v11, 32, v9
	v_cmp_lt_i32_e64 s[24:25], v11, v10
	v_cndmask_b32_e64 v11, v9, v11, s[24:25]
	v_lshlrev_b32_e32 v14, 2, v11
	ds_bpermute_b32 v11, v14, v8
	v_max_f32_e32 v8, v8, v8
	s_mov_b32 s27, 0x3fb8aa3b
	s_mov_b32 s28, 0xc2ce8ed0
	;; [unrolled: 1-line block ×3, first 2 shown]
	s_waitcnt lgkmcnt(0)
	v_max_f32_e32 v11, v11, v11
	v_max_f32_e32 v8, v8, v11
	v_xor_b32_e32 v11, 16, v9
	v_cmp_lt_i32_e64 s[24:25], v11, v10
	v_cndmask_b32_e64 v9, v9, v11, s[24:25]
	v_lshlrev_b32_e32 v22, 2, v9
	ds_bpermute_b32 v9, v22, v8
	v_mov_b32_e32 v12, 0x7f800000
	v_ashrrev_i32_e32 v19, 31, v18
	v_cndmask_b32_e64 v6, v6, v6, s[18:19]
	s_mov_b32 s8, 0
	s_waitcnt lgkmcnt(0)
	v_max_f32_e32 v9, v9, v9
	v_max_f32_e32 v20, v8, v9
	v_sub_f32_e32 v4, v4, v20
	v_mul_f32_e32 v8, 0x3fb8aa3b, v4
	v_fma_f32 v9, v4, s27, -v8
	v_rndne_f32_e32 v10, v8
	v_fmac_f32_e32 v9, 0x32a5705f, v4
	v_sub_f32_e32 v8, v8, v10
	v_add_f32_e32 v8, v8, v9
	v_exp_f32_e32 v8, v8
	v_cvt_i32_f32_e32 v9, v10
	v_sub_f32_e32 v5, v5, v20
	v_cmp_ngt_f32_e64 s[24:25], s28, v4
	v_sub_f32_e32 v6, v6, v20
	v_ldexp_f32 v8, v8, v9
	v_mul_f32_e32 v9, 0x3fb8aa3b, v5
	v_fma_f32 v10, v5, s27, -v9
	v_rndne_f32_e32 v11, v9
	v_fmac_f32_e32 v10, 0x32a5705f, v5
	v_sub_f32_e32 v9, v9, v11
	v_add_f32_e32 v9, v9, v10
	v_exp_f32_e32 v9, v9
	v_cvt_i32_f32_e32 v10, v11
	v_cndmask_b32_e64 v8, 0, v8, s[24:25]
	v_cmp_nlt_f32_e64 s[24:25], s9, v4
	v_cndmask_b32_e64 v4, v12, v8, s[24:25]
	v_cndmask_b32_e64 v4, 0, v4, s[20:21]
	v_ldexp_f32 v8, v9, v10
	v_cmp_ngt_f32_e64 s[20:21], s28, v5
	v_cndmask_b32_e64 v13, 0, v8, s[20:21]
	s_mul_hi_i32 s21, s26, s58
	s_mul_i32 s20, s26, s58
	s_lshl_b64 s[20:21], s[20:21], 2
	s_add_u32 s26, s33, s20
	s_addc_u32 s29, s40, s21
	v_lshlrev_b64 v[8:9], 2, v[18:19]
	v_mov_b32_e32 v10, s29
	v_add_co_u32_e64 v8, s[20:21], s26, v8
	v_addc_co_u32_e64 v9, s[20:21], v10, v9, s[20:21]
	s_mov_b64 s[24:25], src_private_base
	v_add_co_u32_e64 v8, s[20:21], v8, v24
	v_addc_co_u32_e64 v9, s[20:21], 0, v9, s[20:21]
	v_mov_b32_e32 v15, s25
	v_mov_b32_e32 v19, 0
	;; [unrolled: 1-line block ×3, first 2 shown]
	v_cndmask_b32_e64 v9, v15, v9, s[14:15]
	v_cndmask_b32_e64 v8, v19, v8, s[14:15]
	buffer_store_dword v10, off, s[0:3], 0
	buffer_store_dword v10, off, s[0:3], 0 offset:4
	buffer_store_dword v10, off, s[0:3], 0 offset:8
	buffer_store_dword v10, off, s[0:3], 0 offset:12
	flat_load_dwordx4 v[8:11], v[8:9]
	v_mul_f32_e32 v28, 0x3fb8aa3b, v6
	v_fma_f32 v29, v6, s27, -v28
	v_rndne_f32_e32 v30, v28
	v_fmac_f32_e32 v29, 0x32a5705f, v6
	v_sub_f32_e32 v28, v28, v30
	v_add_f32_e32 v28, v28, v29
	v_exp_f32_e32 v28, v28
	v_cvt_i32_f32_e32 v29, v30
	v_cmp_nlt_f32_e64 s[14:15], s9, v5
	v_cndmask_b32_e64 v13, v12, v13, s[14:15]
	v_add_f32_e32 v27, v13, v4
	v_mov_b32_e32 v5, s8
	v_cndmask_b32_e64 v7, v7, v7, s[18:19]
	v_cndmask_b32_e64 v13, v5, v13, s[18:19]
	v_cndmask_b32_e64 v5, v4, v27, s[18:19]
	v_ldexp_f32 v27, v28, v29
	v_cmp_ngt_f32_e64 s[14:15], s28, v6
	v_sub_f32_e32 v7, v7, v20
	v_cndmask_b32_e64 v27, 0, v27, s[14:15]
	v_cmp_nlt_f32_e64 s[14:15], s9, v6
	v_mul_f32_e32 v6, 0x3fb8aa3b, v7
	v_fma_f32 v29, v7, s27, -v6
	v_rndne_f32_e32 v30, v6
	v_fmac_f32_e32 v29, 0x32a5705f, v7
	v_sub_f32_e32 v6, v6, v30
	v_add_f32_e32 v6, v6, v29
	v_exp_f32_e32 v29, v6
	v_cvt_i32_f32_e32 v30, v30
	v_cndmask_b32_e64 v27, v12, v27, s[14:15]
	v_mov_b32_e32 v6, s8
	v_sub_f32_e32 v0, v0, v20
	v_add_f32_e32 v28, v5, v27
	v_cndmask_b32_e64 v27, v6, v27, s[16:17]
	v_mul_f32_e32 v6, 0x3fb8aa3b, v0
	v_cndmask_b32_e64 v28, v5, v28, s[16:17]
	v_ldexp_f32 v5, v29, v30
	v_fma_f32 v29, v0, s27, -v6
	v_rndne_f32_e32 v30, v6
	v_fmac_f32_e32 v29, 0x32a5705f, v0
	v_sub_f32_e32 v6, v6, v30
	v_add_f32_e32 v6, v6, v29
	v_exp_f32_e32 v6, v6
	v_cvt_i32_f32_e32 v29, v30
	v_cmp_ngt_f32_e64 s[14:15], s28, v7
	v_cndmask_b32_e64 v5, 0, v5, s[14:15]
	v_cmp_nlt_f32_e64 s[14:15], s9, v7
	v_cndmask_b32_e64 v30, v12, v5, s[14:15]
	v_ldexp_f32 v6, v6, v29
	v_cmp_ngt_f32_e64 s[14:15], s28, v0
	v_cndmask_b32_e64 v1, v1, v1, s[22:23]
	v_cndmask_b32_e64 v6, 0, v6, s[14:15]
	v_cmp_nlt_f32_e64 s[14:15], s9, v0
	v_sub_f32_e32 v1, v1, v20
	v_cndmask_b32_e64 v29, v12, v6, s[14:15]
	v_mul_f32_e32 v6, 0x3fb8aa3b, v1
	v_rndne_f32_e32 v32, v6
	v_fma_f32 v31, v1, s27, -v6
	v_sub_f32_e32 v33, v6, v32
	v_lshl_add_u32 v6, s58, 5, v18
	v_ashrrev_i32_e32 v7, 31, v6
	v_lshlrev_b64 v[6:7], 2, v[6:7]
	v_mov_b32_e32 v18, s29
	v_add_co_u32_e64 v6, s[14:15], s26, v6
	v_addc_co_u32_e64 v7, s[14:15], v18, v7, s[14:15]
	v_add_co_u32_e64 v6, s[14:15], v6, v24
	v_addc_co_u32_e64 v7, s[14:15], 0, v7, s[14:15]
	v_cndmask_b32_e64 v7, v15, v7, s[12:13]
	v_cndmask_b32_e64 v6, v19, v6, s[12:13]
	v_fmac_f32_e32 v31, 0x32a5705f, v1
	v_cndmask_b32_e64 v2, v2, v2, s[22:23]
	v_sub_f32_e32 v2, v2, v20
	v_cmp_ngt_f32_e64 s[12:13], s28, v1
	v_cndmask_b32_e64 v3, v3, v3, s[22:23]
	v_mov_b32_e32 v5, s8
	v_cndmask_b32_e64 v5, v5, v30, s[10:11]
	s_waitcnt vmcnt(0) lgkmcnt(0)
	ds_write_b128 v25, v[8:11]
	flat_load_dwordx4 v[6:9], v[6:7]
	v_add_f32_e32 v10, v33, v31
	v_exp_f32_e32 v10, v10
	v_cvt_i32_f32_e32 v11, v32
	v_mov_b32_e32 v0, s8
	v_cndmask_b32_e64 v0, v0, v29, s[22:23]
	v_cvt_f16_f32_e32 v5, v5
	v_ldexp_f32 v10, v10, v11
	v_mul_f32_e32 v11, 0x3fb8aa3b, v2
	v_fma_f32 v15, v2, s27, -v11
	v_rndne_f32_e32 v18, v11
	v_fmac_f32_e32 v15, 0x32a5705f, v2
	v_sub_f32_e32 v11, v11, v18
	v_add_f32_e32 v11, v11, v15
	v_exp_f32_e32 v11, v11
	v_cvt_i32_f32_e32 v15, v18
	v_cndmask_b32_e64 v10, 0, v10, s[12:13]
	v_cmp_nlt_f32_e64 s[12:13], s9, v1
	v_cndmask_b32_e64 v31, v12, v10, s[12:13]
	v_ldexp_f32 v10, v11, v15
	v_cmp_ngt_f32_e64 s[12:13], s28, v2
	v_cndmask_b32_e64 v10, 0, v10, s[12:13]
	v_cmp_nlt_f32_e64 s[12:13], s9, v2
	v_cndmask_b32_e64 v15, v12, v10, s[12:13]
	v_mov_b32_e32 v2, s8
	v_cndmask_b32_e64 v10, v2, v15, s[4:5]
	v_sub_f32_e32 v2, v3, v20
	v_mul_f32_e32 v3, 0x3fb8aa3b, v2
	v_fma_f32 v11, v2, s27, -v3
	v_rndne_f32_e32 v18, v3
	v_fmac_f32_e32 v11, 0x32a5705f, v2
	v_sub_f32_e32 v3, v3, v18
	v_add_f32_e32 v3, v3, v11
	v_cvt_i32_f32_e32 v11, v18
	v_sub_f32_e32 v18, v21, v20
	v_mul_f32_e32 v19, 0x3fb8aa3b, v18
	v_fma_f32 v21, v18, s27, -v19
	v_rndne_f32_e32 v24, v19
	v_fmac_f32_e32 v21, 0x32a5705f, v18
	v_sub_f32_e32 v19, v19, v24
	v_exp_f32_e32 v3, v3
	v_add_f32_e32 v19, v19, v21
	v_exp_f32_e32 v19, v19
	v_cvt_i32_f32_e32 v21, v24
	v_ldexp_f32 v3, v3, v11
	v_cmp_ngt_f32_e64 s[12:13], s28, v2
	v_cndmask_b32_e64 v3, 0, v3, s[12:13]
	v_ldexp_f32 v11, v19, v21
	v_cmp_ngt_f32_e64 s[12:13], s28, v18
	v_cndmask_b32_e64 v11, 0, v11, s[12:13]
	v_cmp_nlt_f32_e64 s[12:13], s9, v18
	v_cndmask_b32_e64 v11, v12, v11, s[12:13]
	s_mov_b32 s12, 0xc1a00000
	v_cmp_le_f32_e64 s[12:13], s12, v18
	v_cndmask_b32_e64 v21, 0, v11, s[12:13]
	v_cmp_nlt_f32_e64 s[12:13], s9, v2
	v_mov_b32_e32 v1, s8
	v_cndmask_b32_e64 v33, v12, v3, s[12:13]
	v_mov_b32_e32 v3, s8
	v_cndmask_b32_e64 v1, v1, v31, s[6:7]
	v_cndmask_b32_e32 v11, v3, v33, vcc
	v_cvt_f16_f32_e32 v3, v4
	v_cvt_f16_f32_e32 v4, v13
	;; [unrolled: 1-line block ×5, first 2 shown]
	v_mul_u32_u24_e32 v0, 0x48, v23
	v_or_b32_e32 v1, 3, v55
	s_movk_i32 s9, 0x120
	v_cvt_f16_f32_e32 v32, v21
	v_or_b32_e32 v0, v0, v51
	v_mul_u32_u24_e32 v27, 0x90, v1
	v_mad_u32_u24 v1, v54, s9, 0
	v_mul_u32_u24_e32 v23, 0x90, v23
	v_pack_b32_f16 v12, v3, v4
	v_pack_b32_f16 v13, v13, v5
	v_add3_u32 v4, v1, v23, v53
	s_mov_b32 s8, 0x5040100
	v_pk_mul_f16 v2, v32, v62 op_sel_hi:[0,1]
	v_pk_mul_f16 v18, v32, v61 op_sel_hi:[0,1]
	s_waitcnt vmcnt(0) lgkmcnt(0)
	ds_write_b128 v26, v[6:9]
	v_lshlrev_b32_e32 v26, 1, v0
	v_add3_u32 v6, v1, v27, v53
	s_waitcnt lgkmcnt(0)
	s_barrier
	v_add_u32_e32 v3, v1, v26
	ds_read_u16 v5, v6
	ds_read_u16 v7, v4 offset:4896
	ds_read_u16 v8, v4 offset:288
	;; [unrolled: 1-line block ×7, first 2 shown]
	s_waitcnt lgkmcnt(5)
	v_perm_b32 v5, v5, v8, s8
	ds_read_u16 v8, v3
	ds_read_u16 v38, v3 offset:32
	ds_read_u16 v39, v3 offset:64
	;; [unrolled: 1-line block ×7, first 2 shown]
	s_waitcnt lgkmcnt(4)
	v_perm_b32 v4, v40, v8, s8
	v_cvt_f32_f16_e32 v0, v2
	v_cvt_f32_f16_sdwa v1, v2 dst_sel:DWORD dst_unused:UNUSED_PAD src0_sel:WORD_1
	v_cvt_f32_f16_e32 v2, v18
	v_cvt_f32_f16_sdwa v3, v18 dst_sel:DWORD dst_unused:UNUSED_PAD src0_sel:WORD_1
	v_mul_u32_u24_e32 v40, 0x120, v54
	v_cvt_f16_f32_e32 v8, v10
	v_mfma_f32_16x16x16f16 v[0:3], v[4:5], v[12:13], v[0:3]
	v_add3_u32 v4, 0, 32, v40
	v_cvt_f16_f32_e32 v10, v11
	v_add_u32_e32 v5, v4, v26
	v_add3_u32 v11, v4, v23, v53
	v_add3_u32 v4, v4, v27, v53
	ds_read_u16 v18, v6 offset:4608
	ds_read_u16 v45, v5 offset:4608
	;; [unrolled: 1-line block ×8, first 2 shown]
	s_waitcnt lgkmcnt(7)
	v_perm_b32 v5, v18, v7, s8
	v_cvt_f16_f32_e32 v0, v0
	v_cvt_f16_f32_e32 v1, v1
	v_cvt_f16_f32_e32 v2, v2
	v_cvt_f16_f32_e32 v3, v3
	v_perm_b32 v4, v35, v43, s8
	v_cvt_f32_f16_e32 v0, v0
	v_cvt_f32_f16_e32 v1, v1
	v_cvt_f32_f16_e32 v2, v2
	v_cvt_f32_f16_e32 v3, v3
	v_pk_mul_f16 v24, v32, v63 op_sel_hi:[0,1]
	v_pk_mul_f16 v7, v32, v59 op_sel_hi:[0,1]
	v_pack_b32_f16 v18, v19, v25
	v_pack_b32_f16 v19, v8, v10
	s_waitcnt lgkmcnt(2)
	v_perm_b32 v9, v48, v9, s8
	v_perm_b32 v8, v41, v38, s8
	v_mfma_f32_16x16x16f16 v[0:3], v[4:5], v[18:19], v[0:3]
	v_cvt_f32_f16_e32 v4, v24
	v_cvt_f32_f16_sdwa v5, v24 dst_sel:DWORD dst_unused:UNUSED_PAD src0_sel:WORD_1
	v_cvt_f32_f16_e32 v6, v7
	v_cvt_f32_f16_sdwa v7, v7 dst_sel:DWORD dst_unused:UNUSED_PAD src0_sel:WORD_1
	v_add_f32_e32 v10, v28, v30
	v_cndmask_b32_e64 v10, v28, v10, s[10:11]
	v_add_f32_e32 v24, v29, v10
	v_mfma_f32_16x16x16f16 v[4:7], v[8:9], v[12:13], v[4:7]
	v_perm_b32 v9, v47, v11, s8
	v_perm_b32 v8, v46, v45, s8
	v_cndmask_b32_e64 v28, v10, v24, s[22:23]
	v_pk_mul_f16 v10, v32, v60 op_sel_hi:[0,1]
	v_pk_mul_f16 v11, v32, v58 op_sel_hi:[0,1]
	s_waitcnt lgkmcnt(1)
	v_perm_b32 v25, v49, v34, s8
	v_perm_b32 v24, v42, v39, s8
	s_nop 2
	v_cvt_f16_f32_e32 v4, v4
	v_cvt_f16_f32_e32 v5, v5
	;; [unrolled: 1-line block ×4, first 2 shown]
	v_cvt_f32_f16_e32 v4, v4
	v_cvt_f32_f16_e32 v5, v5
	;; [unrolled: 1-line block ×4, first 2 shown]
	v_add_f32_e32 v29, v31, v28
	v_cndmask_b32_e64 v28, v28, v29, s[6:7]
	v_mfma_f32_16x16x16f16 v[4:7], v[8:9], v[18:19], v[4:7]
	v_cvt_f32_f16_e32 v8, v10
	v_cvt_f32_f16_sdwa v9, v10 dst_sel:DWORD dst_unused:UNUSED_PAD src0_sel:WORD_1
	v_cvt_f32_f16_e32 v10, v11
	v_cvt_f32_f16_sdwa v11, v11 dst_sel:DWORD dst_unused:UNUSED_PAD src0_sel:WORD_1
	s_add_i32 s6, 0, 0x60
	v_mov_b32_e32 v30, s6
	v_mad_u32_u24 v30, v54, s9, v30
	v_mfma_f32_16x16x16f16 v[8:11], v[24:25], v[12:13], v[8:11]
	v_add3_u32 v24, 0, 64, v40
	v_add_u32_e32 v25, v24, v26
	v_add3_u32 v29, v24, v23, v53
	v_add3_u32 v24, v24, v27, v53
	;; [unrolled: 1-line block ×3, first 2 shown]
	v_add_u32_e32 v26, v30, v26
	v_add3_u32 v27, v30, v27, v53
	s_nop 3
	v_cvt_f16_f32_e32 v8, v8
	v_cvt_f16_f32_e32 v9, v9
	;; [unrolled: 1-line block ×4, first 2 shown]
	ds_read_u16 v30, v25 offset:4608
	ds_read_u16 v31, v29 offset:4752
	;; [unrolled: 1-line block ×8, first 2 shown]
	s_waitcnt lgkmcnt(4)
	v_perm_b32 v25, v24, v25, s8
	v_perm_b32 v24, v31, v30, s8
	v_cvt_f32_f16_e32 v8, v8
	v_cvt_f32_f16_e32 v9, v9
	;; [unrolled: 1-line block ×4, first 2 shown]
	v_add_f32_e32 v15, v15, v28
	v_cndmask_b32_e64 v15, v28, v15, s[4:5]
	v_pk_mul_f16 v26, v32, v57 op_sel_hi:[0,1]
	v_pk_mul_f16 v27, v32, v56 op_sel_hi:[0,1]
	v_perm_b32 v29, v55, v36, s8
	v_perm_b32 v28, v37, v44, s8
	v_mfma_f32_16x16x16f16 v[8:11], v[24:25], v[18:19], v[8:11]
	v_cvt_f32_f16_e32 v24, v26
	v_cvt_f32_f16_sdwa v25, v26 dst_sel:DWORD dst_unused:UNUSED_PAD src0_sel:WORD_1
	v_cvt_f32_f16_e32 v26, v27
	v_cvt_f32_f16_sdwa v27, v27 dst_sel:DWORD dst_unused:UNUSED_PAD src0_sel:WORD_1
	v_add_f32_e32 v30, v33, v15
	v_cndmask_b32_e32 v30, v15, v30, vcc
	v_fmac_f32_e32 v30, v67, v21
	v_mfma_f32_16x16x16f16 v[24:27], v[28:29], v[12:13], v[24:27]
	s_waitcnt lgkmcnt(0)
	v_perm_b32 v29, v38, v23, s8
	v_perm_b32 v28, v35, v34, s8
	s_movk_i32 s8, 0x90
	v_cmp_gt_u32_e64 s[4:5], 16, v50
	s_barrier
	s_nop 4
	v_cvt_f16_f32_e32 v12, v24
	v_cvt_f16_f32_e32 v13, v25
	;; [unrolled: 1-line block ×4, first 2 shown]
	v_cvt_f32_f16_e32 v24, v12
	v_cvt_f32_f16_e32 v25, v13
	;; [unrolled: 1-line block ×4, first 2 shown]
	ds_bpermute_b32 v21, v14, v30
	s_nop 0
	v_mfma_f32_16x16x16f16 v[12:15], v[28:29], v[18:19], v[24:27]
	s_waitcnt lgkmcnt(0)
	v_add_f32_e32 v18, v30, v21
	ds_bpermute_b32 v19, v22, v18
	s_and_saveexec_b64 s[6:7], s[4:5]
	s_cbranch_execz .LBB0_263
; %bb.262:
	s_waitcnt lgkmcnt(0)
	v_add_f32_e32 v18, v18, v19
	v_or_b32_e32 v19, v69, v50
	v_mad_u32_u24 v19, v19, s8, 0
	ds_write2_b32 v19, v20, v18 offset0:32 offset1:33
.LBB0_263:
	s_or_b64 exec, exec, s[6:7]
	v_cmp_eq_u32_e32 vcc, 0, v71
	v_cmp_eq_u32_e64 s[6:7], 1, v71
	s_waitcnt lgkmcnt(0)
	s_barrier
	s_and_saveexec_b64 s[8:9], s[6:7]
	s_xor_b64 s[6:7], exec, s[8:9]
	s_cbranch_execz .LBB0_265
; %bb.264:
	s_barrier
	s_waitcnt lgkmcnt(0)
                                        ; implicit-def: $vgpr70
                                        ; implicit-def: $vgpr50
                                        ; implicit-def: $vgpr22
.LBB0_265:
	s_andn2_saveexec_b64 s[8:9], s[6:7]
	s_cbranch_execz .LBB0_271
; %bb.266:
	v_or_b32_e32 v19, v69, v16
	s_movk_i32 s6, 0x90
	v_mad_u32_u24 v18, v19, s6, 0
	ds_read_b64 v[24:25], v18 offset:128
	s_mov_b32 s6, 0x3fb8aa3b
	s_mov_b32 s10, 0x42b17218
	s_waitcnt lgkmcnt(0)
	s_barrier
	ds_bpermute_b32 v18, v22, v24
	v_max_f32_e32 v20, v24, v24
	s_waitcnt lgkmcnt(0)
	v_max_f32_e32 v18, v18, v18
	v_max_f32_e32 v18, v20, v18
	v_sub_f32_e32 v20, v24, v18
	v_mul_f32_e32 v21, 0x3fb8aa3b, v20
	v_fma_f32 v23, v20, s6, -v21
	v_rndne_f32_e32 v24, v21
	v_fmac_f32_e32 v23, 0x32a5705f, v20
	v_sub_f32_e32 v21, v21, v24
	v_add_f32_e32 v21, v21, v23
	v_cvt_i32_f32_e32 v24, v24
	v_exp_f32_e32 v21, v21
	s_mov_b32 s6, 0xc2ce8ed0
	v_cmp_ngt_f32_e64 s[6:7], s6, v20
	v_mov_b32_e32 v23, 0x7f800000
	v_ldexp_f32 v21, v21, v24
	v_cndmask_b32_e64 v21, 0, v21, s[6:7]
	v_cmp_nlt_f32_e64 s[6:7], s10, v20
	v_cndmask_b32_e64 v20, v23, v21, s[6:7]
	v_mul_f32_e32 v21, v25, v20
	ds_bpermute_b32 v21, v22, v21
	v_cmp_gt_u32_e64 s[6:7], 32, v50
	s_waitcnt lgkmcnt(0)
	v_fmac_f32_e32 v21, v25, v20
	s_and_saveexec_b64 s[10:11], s[6:7]
	s_cbranch_execz .LBB0_268
; %bb.267:
	v_mul_u32_u24_e32 v19, 0x90, v19
	v_add_u32_e32 v19, 0, v19
	ds_write_b64 v19, v[20:21] offset:128
.LBB0_268:
	s_or_b64 exec, exec, s[10:11]
	s_and_saveexec_b64 s[6:7], s[4:5]
	s_cbranch_execz .LBB0_270
; %bb.269:
	s_add_i32 s4, s54, s56
	s_lshl_b32 s4, s4, 5
	s_mov_b32 s5, 0
	s_lshl_b64 s[4:5], s[4:5], 3
	s_add_u32 s4, s74, s4
	v_or_b32_e32 v19, v70, v50
	s_addc_u32 s5, s75, s5
	v_lshlrev_b32_e32 v20, 3, v19
	v_mov_b32_e32 v19, v21
	global_store_dwordx2 v20, v[18:19], s[4:5]
.LBB0_270:
	s_or_b64 exec, exec, s[6:7]
.LBB0_271:
	s_or_b64 exec, exec, s[8:9]
	v_cvt_f16_f32_e32 v0, v0
	v_cvt_f16_f32_e32 v1, v1
	;; [unrolled: 1-line block ×8, first 2 shown]
	v_pack_b32_f16 v2, v2, v3
	v_pack_b32_f16 v0, v0, v1
	;; [unrolled: 1-line block ×4, first 2 shown]
	v_cvt_f16_f32_e32 v4, v8
	v_cvt_f16_f32_e32 v6, v10
	v_cvt_f16_f32_e32 v7, v11
	v_cvt_f16_f32_e32 v8, v12
	v_cvt_f16_f32_e32 v11, v13
	v_cvt_f16_f32_e32 v5, v9
	v_cvt_f16_f32_e32 v9, v14
	v_cvt_f16_f32_e32 v10, v15
	v_pack_b32_f16 v6, v6, v7
	v_pack_b32_f16 v7, v8, v11
	v_or_b32_e32 v8, v69, v51
	v_mad_u32_u24 v8, v8, 36, v52
	s_mov_b32 s7, 0
	v_lshl_add_u32 v8, v8, 2, 0
	v_pack_b32_f16 v4, v4, v5
	v_pack_b32_f16 v5, v9, v10
	ds_write2_b32 v8, v0, v2 offset1:1
	ds_write2_b32 v8, v3, v1 offset0:8 offset1:9
	ds_write2_b32 v8, v4, v6 offset0:16 offset1:17
	;; [unrolled: 1-line block ×3, first 2 shown]
	s_waitcnt lgkmcnt(0)
	s_barrier
	s_and_saveexec_b64 s[4:5], vcc
	s_cbranch_execz .LBB0_273
; %bb.272:
	s_lshl_b32 s6, s54, 6
	s_lshl_b64 s[8:9], s[6:7], 3
	v_add_u32_e32 v12, v17, v68
	s_add_u32 s10, s74, s8
	v_lshlrev_b32_e32 v0, 1, v12
	v_and_b32_e32 v13, 15, v12
	s_movk_i32 s8, 0xfe0
	v_and_or_b32 v0, v0, s8, v13
	s_movk_i32 s8, 0x90
	v_mad_u32_u24 v2, v0, s8, 0
	v_lshlrev_b32_e32 v14, 2, v16
	v_add_u32_e32 v0, v2, v14
	ds_read2st64_b32 v[0:1], v0 offset1:9
	v_add_u32_e32 v2, 0x80, v2
	ds_read2st64_b32 v[2:3], v2 offset1:9
	s_addc_u32 s9, s75, s9
	s_lshl_b32 s6, s56, 10
	s_waitcnt lgkmcnt(1)
	v_cvt_f32_f16_e32 v4, v0
	v_cvt_f32_f16_sdwa v5, v0 dst_sel:DWORD dst_unused:UNUSED_PAD src0_sel:WORD_1
	s_lshl_b64 s[6:7], s[6:7], 3
	s_add_u32 s6, s10, s6
	v_add_u32_e32 v17, 4, v12
	s_addc_u32 s7, s9, s7
	s_waitcnt lgkmcnt(0)
	v_pk_fma_f32 v[4:5], v[2:3], v[4:5], 0 op_sel_hi:[0,1,0]
	v_lshlrev_b32_e32 v2, 1, v17
	v_and_b32_e32 v6, 15, v17
	s_movk_i32 s9, 0x1fe0
	v_and_or_b32 v2, v2, s9, v6
	v_mad_u32_u24 v8, v2, s8, 0
	v_add_u32_e32 v2, v8, v14
	ds_read2st64_b32 v[6:7], v2 offset1:9
	v_cvt_f32_f16_e32 v0, v1
	v_cvt_f32_f16_sdwa v1, v1 dst_sel:DWORD dst_unused:UNUSED_PAD src0_sel:WORD_1
	v_mov_b32_e32 v2, v3
	v_add_u32_e32 v3, 0x80, v8
	v_lshlrev_b32_e32 v15, 3, v16
	ds_read2st64_b32 v[8:9], v3 offset1:9
	v_lshl_or_b32 v16, v12, 8, v15
	s_waitcnt lgkmcnt(1)
	v_cvt_f32_f16_e32 v10, v6
	v_cvt_f32_f16_sdwa v11, v6 dst_sel:DWORD dst_unused:UNUSED_PAD src0_sel:WORD_1
	v_pk_fma_f32 v[0:1], v[2:3], v[0:1], v[4:5] op_sel_hi:[0,1,1]
	global_store_dwordx2 v16, v[0:1], s[6:7]
	v_lshl_or_b32 v16, v17, 8, v15
	v_add_u32_e32 v17, 8, v12
	v_lshlrev_b32_e32 v3, 1, v17
	v_and_b32_e32 v4, 15, v17
	v_and_or_b32 v3, v3, s9, v4
	s_waitcnt lgkmcnt(0)
	v_pk_fma_f32 v[0:1], v[8:9], v[10:11], 0 op_sel_hi:[0,1,0]
	v_mad_u32_u24 v8, v3, s8, 0
	v_add_u32_e32 v3, v8, v14
	ds_read2st64_b32 v[4:5], v3 offset1:9
	v_cvt_f32_f16_e32 v2, v7
	v_cvt_f32_f16_sdwa v3, v7 dst_sel:DWORD dst_unused:UNUSED_PAD src0_sel:WORD_1
	v_add_u32_e32 v7, 0x80, v8
	v_mov_b32_e32 v6, v9
	ds_read2st64_b32 v[8:9], v7 offset1:9
	s_waitcnt lgkmcnt(1)
	v_cvt_f32_f16_e32 v10, v4
	v_cvt_f32_f16_sdwa v11, v4 dst_sel:DWORD dst_unused:UNUSED_PAD src0_sel:WORD_1
	v_pk_fma_f32 v[0:1], v[6:7], v[2:3], v[0:1] op_sel_hi:[0,1,1]
	global_store_dwordx2 v16, v[0:1], s[6:7]
	v_lshl_or_b32 v16, v17, 8, v15
	v_add_u32_e32 v17, 12, v12
	v_lshlrev_b32_e32 v3, 1, v17
	v_and_b32_e32 v4, 15, v17
	v_and_or_b32 v3, v3, s9, v4
	s_waitcnt lgkmcnt(0)
	v_pk_fma_f32 v[0:1], v[8:9], v[10:11], 0 op_sel_hi:[0,1,0]
	v_mad_u32_u24 v8, v3, s8, 0
	v_add_u32_e32 v3, v8, v14
	ds_read2st64_b32 v[6:7], v3 offset1:9
	v_cvt_f32_f16_e32 v2, v5
	v_cvt_f32_f16_sdwa v3, v5 dst_sel:DWORD dst_unused:UNUSED_PAD src0_sel:WORD_1
	v_add_u32_e32 v5, 0x80, v8
	v_mov_b32_e32 v4, v9
	ds_read2st64_b32 v[8:9], v5 offset1:9
	s_waitcnt lgkmcnt(1)
	v_cvt_f32_f16_e32 v10, v6
	v_cvt_f32_f16_sdwa v11, v6 dst_sel:DWORD dst_unused:UNUSED_PAD src0_sel:WORD_1
	v_pk_fma_f32 v[0:1], v[4:5], v[2:3], v[0:1] op_sel_hi:[0,1,1]
	global_store_dwordx2 v16, v[0:1], s[6:7]
	v_lshl_or_b32 v16, v17, 8, v15
	v_add_u32_e32 v17, 16, v12
	v_lshlrev_b32_e32 v3, 1, v17
	v_and_or_b32 v3, v3, s9, v13
	s_waitcnt lgkmcnt(0)
	v_pk_fma_f32 v[0:1], v[8:9], v[10:11], 0 op_sel_hi:[0,1,0]
	v_mad_u32_u24 v8, v3, s8, 0
	v_add_u32_e32 v3, v8, v14
	ds_read2st64_b32 v[4:5], v3 offset1:9
	v_cvt_f32_f16_e32 v2, v7
	v_cvt_f32_f16_sdwa v3, v7 dst_sel:DWORD dst_unused:UNUSED_PAD src0_sel:WORD_1
	v_add_u32_e32 v7, 0x80, v8
	v_mov_b32_e32 v6, v9
	ds_read2st64_b32 v[8:9], v7 offset1:9
	s_waitcnt lgkmcnt(1)
	v_cvt_f32_f16_e32 v10, v4
	v_cvt_f32_f16_sdwa v11, v4 dst_sel:DWORD dst_unused:UNUSED_PAD src0_sel:WORD_1
	v_pk_fma_f32 v[0:1], v[6:7], v[2:3], v[0:1] op_sel_hi:[0,1,1]
	global_store_dwordx2 v16, v[0:1], s[6:7]
	v_add_u32_e32 v16, 20, v12
	v_lshlrev_b32_e32 v3, 1, v16
	v_and_b32_e32 v4, 15, v16
	v_and_or_b32 v3, v3, s9, v4
	s_waitcnt lgkmcnt(0)
	v_pk_fma_f32 v[0:1], v[8:9], v[10:11], 0 op_sel_hi:[0,1,0]
	v_mad_u32_u24 v8, v3, s8, 0
	v_add_u32_e32 v3, v8, v14
	ds_read2st64_b32 v[6:7], v3 offset1:9
	v_cvt_f32_f16_e32 v2, v5
	v_cvt_f32_f16_sdwa v3, v5 dst_sel:DWORD dst_unused:UNUSED_PAD src0_sel:WORD_1
	v_add_u32_e32 v5, 0x80, v8
	v_mov_b32_e32 v4, v9
	ds_read2st64_b32 v[8:9], v5 offset1:9
	v_lshl_or_b32 v13, v17, 8, v15
	s_waitcnt lgkmcnt(1)
	v_cvt_f32_f16_e32 v10, v6
	v_cvt_f32_f16_sdwa v11, v6 dst_sel:DWORD dst_unused:UNUSED_PAD src0_sel:WORD_1
	v_pk_fma_f32 v[0:1], v[4:5], v[2:3], v[0:1] op_sel_hi:[0,1,1]
	global_store_dwordx2 v13, v[0:1], s[6:7]
	v_lshl_or_b32 v13, v16, 8, v15
	v_add_u32_e32 v16, 24, v12
	v_lshlrev_b32_e32 v3, 1, v16
	v_and_b32_e32 v4, 15, v16
	v_and_or_b32 v3, v3, s9, v4
	s_waitcnt lgkmcnt(0)
	v_pk_fma_f32 v[0:1], v[8:9], v[10:11], 0 op_sel_hi:[0,1,0]
	v_mad_u32_u24 v8, v3, s8, 0
	v_add_u32_e32 v3, v8, v14
	ds_read2st64_b32 v[4:5], v3 offset1:9
	v_cvt_f32_f16_e32 v2, v7
	v_cvt_f32_f16_sdwa v3, v7 dst_sel:DWORD dst_unused:UNUSED_PAD src0_sel:WORD_1
	v_add_u32_e32 v7, 0x80, v8
	v_mov_b32_e32 v6, v9
	ds_read2st64_b32 v[8:9], v7 offset1:9
	s_waitcnt lgkmcnt(1)
	v_cvt_f32_f16_e32 v10, v4
	v_cvt_f32_f16_sdwa v11, v4 dst_sel:DWORD dst_unused:UNUSED_PAD src0_sel:WORD_1
	v_pk_fma_f32 v[0:1], v[6:7], v[2:3], v[0:1] op_sel_hi:[0,1,1]
	global_store_dwordx2 v13, v[0:1], s[6:7]
	v_cvt_f32_f16_e32 v2, v5
	s_waitcnt lgkmcnt(0)
	v_pk_fma_f32 v[0:1], v[8:9], v[10:11], 0 op_sel_hi:[0,1,0]
	v_add_u32_e32 v8, 28, v12
	v_cvt_f32_f16_sdwa v3, v5 dst_sel:DWORD dst_unused:UNUSED_PAD src0_sel:WORD_1
	v_lshlrev_b32_e32 v5, 1, v8
	v_and_b32_e32 v6, 15, v8
	v_and_or_b32 v5, v5, s9, v6
	v_mad_u32_u24 v5, v5, s8, 0
	v_add_u32_e32 v6, v5, v14
	ds_read2st64_b32 v[6:7], v6 offset1:9
	v_mov_b32_e32 v4, v9
	v_lshl_or_b32 v13, v16, 8, v15
	v_pk_fma_f32 v[0:1], v[4:5], v[2:3], v[0:1] op_sel_hi:[0,1,1]
	global_store_dwordx2 v13, v[0:1], s[6:7]
	v_add_u32_e32 v0, 0x80, v5
	ds_read2st64_b32 v[0:1], v0 offset1:9
	s_waitcnt lgkmcnt(1)
	v_cvt_f32_f16_e32 v2, v6
	v_cvt_f32_f16_sdwa v3, v6 dst_sel:DWORD dst_unused:UNUSED_PAD src0_sel:WORD_1
	v_cvt_f32_f16_e32 v4, v7
	v_cvt_f32_f16_sdwa v5, v7 dst_sel:DWORD dst_unused:UNUSED_PAD src0_sel:WORD_1
	v_lshl_or_b32 v6, v8, 8, v15
	s_waitcnt lgkmcnt(0)
	v_pk_fma_f32 v[2:3], v[0:1], v[2:3], 0 op_sel_hi:[0,1,0]
	v_mov_b32_e32 v0, v1
	v_pk_fma_f32 v[0:1], v[0:1], v[4:5], v[2:3] op_sel_hi:[0,1,1]
	global_store_dwordx2 v6, v[0:1], s[6:7]
.LBB0_273:
	s_or_b64 exec, exec, s[4:5]
	s_barrier
	s_endpgm
.LBB0_274:
                                        ; implicit-def: $vgpr4_vgpr5_vgpr6_vgpr7
                                        ; implicit-def: $vgpr0_vgpr1_vgpr2_vgpr3
                                        ; implicit-def: $vgpr28
                                        ; implicit-def: $vgpr22
	v_add_u32_e32 v26, 0x1200, v25
	s_branch .LBB0_260
	.section	.rodata,"a",@progbits
	.p2align	6, 0x0
	.amdhsa_kernel _ZL18flash_attn_ext_f16ILi64ELi64ELi32ELi1ELb0ELb0EEvPKcS1_S1_S1_S1_PKiPfP15HIP_vector_typeIfLj2EEffffjfiS5_IjLj3EEiiiiiiiiiiiliiliiiiil
		.amdhsa_group_segment_fixed_size 0
		.amdhsa_private_segment_fixed_size 32
		.amdhsa_kernarg_size 464
		.amdhsa_user_sgpr_count 8
		.amdhsa_user_sgpr_private_segment_buffer 1
		.amdhsa_user_sgpr_dispatch_ptr 0
		.amdhsa_user_sgpr_queue_ptr 0
		.amdhsa_user_sgpr_kernarg_segment_ptr 1
		.amdhsa_user_sgpr_dispatch_id 0
		.amdhsa_user_sgpr_flat_scratch_init 1
		.amdhsa_user_sgpr_kernarg_preload_length 0
		.amdhsa_user_sgpr_kernarg_preload_offset 0
		.amdhsa_user_sgpr_private_segment_size 0
		.amdhsa_uses_dynamic_stack 0
		.amdhsa_system_sgpr_private_segment_wavefront_offset 1
		.amdhsa_system_sgpr_workgroup_id_x 1
		.amdhsa_system_sgpr_workgroup_id_y 0
		.amdhsa_system_sgpr_workgroup_id_z 0
		.amdhsa_system_sgpr_workgroup_info 0
		.amdhsa_system_vgpr_workitem_id 1
		.amdhsa_next_free_vgpr 188
		.amdhsa_next_free_sgpr 100
		.amdhsa_accum_offset 188
		.amdhsa_reserve_vcc 1
		.amdhsa_reserve_flat_scratch 1
		.amdhsa_float_round_mode_32 0
		.amdhsa_float_round_mode_16_64 0
		.amdhsa_float_denorm_mode_32 3
		.amdhsa_float_denorm_mode_16_64 3
		.amdhsa_dx10_clamp 1
		.amdhsa_ieee_mode 1
		.amdhsa_fp16_overflow 0
		.amdhsa_tg_split 0
		.amdhsa_exception_fp_ieee_invalid_op 0
		.amdhsa_exception_fp_denorm_src 0
		.amdhsa_exception_fp_ieee_div_zero 0
		.amdhsa_exception_fp_ieee_overflow 0
		.amdhsa_exception_fp_ieee_underflow 0
		.amdhsa_exception_fp_ieee_inexact 0
		.amdhsa_exception_int_div_zero 0
	.end_amdhsa_kernel
	.section	.text._ZL18flash_attn_ext_f16ILi64ELi64ELi32ELi1ELb0ELb0EEvPKcS1_S1_S1_S1_PKiPfP15HIP_vector_typeIfLj2EEffffjfiS5_IjLj3EEiiiiiiiiiiiliiliiiiil,"axG",@progbits,_ZL18flash_attn_ext_f16ILi64ELi64ELi32ELi1ELb0ELb0EEvPKcS1_S1_S1_S1_PKiPfP15HIP_vector_typeIfLj2EEffffjfiS5_IjLj3EEiiiiiiiiiiiliiliiiiil,comdat
.Lfunc_end0:
	.size	_ZL18flash_attn_ext_f16ILi64ELi64ELi32ELi1ELb0ELb0EEvPKcS1_S1_S1_S1_PKiPfP15HIP_vector_typeIfLj2EEffffjfiS5_IjLj3EEiiiiiiiiiiiliiliiiiil, .Lfunc_end0-_ZL18flash_attn_ext_f16ILi64ELi64ELi32ELi1ELb0ELb0EEvPKcS1_S1_S1_S1_PKiPfP15HIP_vector_typeIfLj2EEffffjfiS5_IjLj3EEiiiiiiiiiiiliiliiiiil
                                        ; -- End function
	.section	.AMDGPU.csdata,"",@progbits
; Kernel info:
; codeLenInByte = 41832
; NumSgprs: 106
; NumVgprs: 188
; NumAgprs: 0
; TotalNumVgprs: 188
; ScratchSize: 32
; MemoryBound: 0
; FloatMode: 240
; IeeeMode: 1
; LDSByteSize: 0 bytes/workgroup (compile time only)
; SGPRBlocks: 13
; VGPRBlocks: 23
; NumSGPRsForWavesPerEU: 106
; NumVGPRsForWavesPerEU: 188
; AccumOffset: 188
; Occupancy: 2
; WaveLimiterHint : 0
; COMPUTE_PGM_RSRC2:SCRATCH_EN: 1
; COMPUTE_PGM_RSRC2:USER_SGPR: 8
; COMPUTE_PGM_RSRC2:TRAP_HANDLER: 0
; COMPUTE_PGM_RSRC2:TGID_X_EN: 1
; COMPUTE_PGM_RSRC2:TGID_Y_EN: 0
; COMPUTE_PGM_RSRC2:TGID_Z_EN: 0
; COMPUTE_PGM_RSRC2:TIDIG_COMP_CNT: 1
; COMPUTE_PGM_RSRC3_GFX90A:ACCUM_OFFSET: 46
; COMPUTE_PGM_RSRC3_GFX90A:TG_SPLIT: 0
	.text
	.p2align	2                               ; -- Begin function __ockl_printf_append_string_n
	.type	__ockl_printf_append_string_n,@function
__ockl_printf_append_string_n:          ; @__ockl_printf_append_string_n
; %bb.0:
	s_waitcnt vmcnt(0) expcnt(0) lgkmcnt(0)
	v_mov_b32_e32 v7, v3
	v_mov_b32_e32 v6, v2
	;; [unrolled: 1-line block ×3, first 2 shown]
	s_mov_b64 s[6:7], 0
	v_cmp_ne_u64_e32 vcc, 0, v[6:7]
	v_mbcnt_lo_u32_b32 v2, -1, 0
	s_and_saveexec_b64 s[4:5], vcc
	s_xor_b64 s[10:11], exec, s[4:5]
	s_cbranch_execz .LBB1_86
; %bb.1:
	s_load_dwordx2 s[12:13], s[8:9], 0x50
	v_and_b32_e32 v28, 2, v3
	s_mov_b32 s22, 0
	v_mov_b32_e32 v31, 0
	v_and_b32_e32 v0, -3, v3
	v_mbcnt_hi_u32_b32 v32, -1, v2
	s_movk_i32 s23, 0xff1f
	v_mov_b32_e32 v10, 2
	v_mov_b32_e32 v11, 1
	s_branch .LBB1_3
.LBB1_2:                                ;   in Loop: Header=BB1_3 Depth=1
	s_or_b64 exec, exec, s[16:17]
	v_sub_co_u32_e32 v4, vcc, v4, v34
	v_subb_co_u32_e32 v5, vcc, v5, v35, vcc
	v_cmp_eq_u64_e32 vcc, 0, v[4:5]
	s_or_b64 s[6:7], vcc, s[6:7]
	v_add_co_u32_e32 v6, vcc, v6, v34
	v_addc_co_u32_e32 v7, vcc, v7, v35, vcc
	s_andn2_b64 exec, exec, s[6:7]
	s_cbranch_execz .LBB1_85
.LBB1_3:                                ; =>This Loop Header: Depth=1
                                        ;     Child Loop BB1_6 Depth 2
                                        ;     Child Loop BB1_14 Depth 2
	;; [unrolled: 1-line block ×11, first 2 shown]
	v_cmp_gt_u64_e32 vcc, 56, v[4:5]
	v_cndmask_b32_e32 v35, 0, v5, vcc
	v_cndmask_b32_e32 v34, 56, v4, vcc
	v_cmp_gt_u64_e32 vcc, 8, v[4:5]
                                        ; implicit-def: $vgpr2_vgpr3
                                        ; implicit-def: $sgpr14
	s_and_saveexec_b64 s[4:5], vcc
	s_xor_b64 s[4:5], exec, s[4:5]
	s_cbranch_execz .LBB1_9
; %bb.4:                                ;   in Loop: Header=BB1_3 Depth=1
	s_mov_b64 s[16:17], 0
	v_cmp_ne_u64_e32 vcc, 0, v[4:5]
	s_waitcnt vmcnt(0)
	v_pk_mov_b32 v[2:3], 0, 0
	s_and_saveexec_b64 s[14:15], vcc
	s_cbranch_execz .LBB1_8
; %bb.5:                                ;   in Loop: Header=BB1_3 Depth=1
	v_lshlrev_b64 v[8:9], 3, v[34:35]
	v_pk_mov_b32 v[2:3], 0, 0
	v_pk_mov_b32 v[12:13], v[6:7], v[6:7] op_sel:[0,1]
	s_mov_b64 s[18:19], 0
.LBB1_6:                                ;   Parent Loop BB1_3 Depth=1
                                        ; =>  This Inner Loop Header: Depth=2
	flat_load_ubyte v9, v[12:13]
	v_mov_b32_e32 v15, s22
	v_add_co_u32_e32 v12, vcc, 1, v12
	v_addc_co_u32_e32 v13, vcc, 0, v13, vcc
	s_waitcnt vmcnt(0) lgkmcnt(0)
	v_and_b32_e32 v14, 0xffff, v9
	v_lshlrev_b64 v[14:15], s18, v[14:15]
	s_add_u32 s18, s18, 8
	s_addc_u32 s19, s19, 0
	v_cmp_eq_u32_e32 vcc, s18, v8
	v_or_b32_e32 v3, v15, v3
	s_or_b64 s[16:17], vcc, s[16:17]
	v_or_b32_e32 v2, v14, v2
	s_andn2_b64 exec, exec, s[16:17]
	s_cbranch_execnz .LBB1_6
; %bb.7:                                ;   in Loop: Header=BB1_3 Depth=1
	s_or_b64 exec, exec, s[16:17]
.LBB1_8:                                ;   in Loop: Header=BB1_3 Depth=1
	s_or_b64 exec, exec, s[14:15]
	s_mov_b32 s14, 0
.LBB1_9:                                ;   in Loop: Header=BB1_3 Depth=1
	s_or_saveexec_b64 s[4:5], s[4:5]
	v_mov_b32_e32 v14, s14
	v_pk_mov_b32 v[8:9], v[6:7], v[6:7] op_sel:[0,1]
	s_xor_b64 exec, exec, s[4:5]
	s_cbranch_execz .LBB1_11
; %bb.10:                               ;   in Loop: Header=BB1_3 Depth=1
	s_waitcnt vmcnt(0)
	flat_load_dwordx2 v[2:3], v[6:7]
	v_add_u32_e32 v14, -8, v34
	s_waitcnt vmcnt(0) lgkmcnt(0)
	v_and_b32_e32 v8, 0xff, v3
	v_and_b32_e32 v9, 0xff00, v3
	;; [unrolled: 1-line block ×4, first 2 shown]
	v_or_b32_e32 v8, v8, v9
	v_or3_b32 v3, v8, v12, v3
	v_add_co_u32_e32 v8, vcc, 8, v6
	v_or3_b32 v2, v2, 0, 0
	v_addc_co_u32_e32 v9, vcc, 0, v7, vcc
.LBB1_11:                               ;   in Loop: Header=BB1_3 Depth=1
	s_or_b64 exec, exec, s[4:5]
	v_cmp_gt_u32_e32 vcc, 8, v14
                                        ; implicit-def: $vgpr12_vgpr13
                                        ; implicit-def: $sgpr14
	s_and_saveexec_b64 s[4:5], vcc
	s_xor_b64 s[4:5], exec, s[4:5]
	s_cbranch_execz .LBB1_17
; %bb.12:                               ;   in Loop: Header=BB1_3 Depth=1
	v_cmp_ne_u32_e32 vcc, 0, v14
	v_pk_mov_b32 v[12:13], 0, 0
	s_and_saveexec_b64 s[14:15], vcc
	s_cbranch_execz .LBB1_16
; %bb.13:                               ;   in Loop: Header=BB1_3 Depth=1
	s_mov_b64 s[16:17], 0
	v_pk_mov_b32 v[12:13], 0, 0
	s_mov_b64 s[18:19], 0
	s_mov_b64 s[20:21], 0
.LBB1_14:                               ;   Parent Loop BB1_3 Depth=1
                                        ; =>  This Inner Loop Header: Depth=2
	v_mov_b32_e32 v15, s21
	v_add_co_u32_e32 v16, vcc, s20, v8
	v_addc_co_u32_e32 v17, vcc, v9, v15, vcc
	flat_load_ubyte v15, v[16:17]
	s_add_u32 s20, s20, 1
	v_mov_b32_e32 v17, s22
	s_addc_u32 s21, s21, 0
	v_cmp_eq_u32_e32 vcc, s20, v14
	s_waitcnt vmcnt(0) lgkmcnt(0)
	v_and_b32_e32 v16, 0xffff, v15
	v_lshlrev_b64 v[16:17], s18, v[16:17]
	s_add_u32 s18, s18, 8
	s_addc_u32 s19, s19, 0
	v_or_b32_e32 v13, v17, v13
	s_or_b64 s[16:17], vcc, s[16:17]
	v_or_b32_e32 v12, v16, v12
	s_andn2_b64 exec, exec, s[16:17]
	s_cbranch_execnz .LBB1_14
; %bb.15:                               ;   in Loop: Header=BB1_3 Depth=1
	s_or_b64 exec, exec, s[16:17]
.LBB1_16:                               ;   in Loop: Header=BB1_3 Depth=1
	s_or_b64 exec, exec, s[14:15]
	s_mov_b32 s14, 0
                                        ; implicit-def: $vgpr14
.LBB1_17:                               ;   in Loop: Header=BB1_3 Depth=1
	s_or_saveexec_b64 s[4:5], s[4:5]
	v_mov_b32_e32 v16, s14
	s_xor_b64 exec, exec, s[4:5]
	s_cbranch_execz .LBB1_19
; %bb.18:                               ;   in Loop: Header=BB1_3 Depth=1
	flat_load_dwordx2 v[12:13], v[8:9]
	v_add_u32_e32 v16, -8, v14
	v_add_co_u32_e32 v8, vcc, 8, v8
	v_addc_co_u32_e32 v9, vcc, 0, v9, vcc
	s_waitcnt vmcnt(0) lgkmcnt(0)
	v_and_b32_e32 v14, 0xff, v13
	v_and_b32_e32 v15, 0xff00, v13
	;; [unrolled: 1-line block ×4, first 2 shown]
	v_or_b32_e32 v14, v14, v15
	v_or3_b32 v12, v12, 0, 0
	v_or3_b32 v13, v14, v17, v13
.LBB1_19:                               ;   in Loop: Header=BB1_3 Depth=1
	s_or_b64 exec, exec, s[4:5]
	v_cmp_gt_u32_e32 vcc, 8, v16
                                        ; implicit-def: $sgpr14
	s_and_saveexec_b64 s[4:5], vcc
	s_xor_b64 s[4:5], exec, s[4:5]
	s_cbranch_execz .LBB1_25
; %bb.20:                               ;   in Loop: Header=BB1_3 Depth=1
	v_cmp_ne_u32_e32 vcc, 0, v16
	v_pk_mov_b32 v[14:15], 0, 0
	s_and_saveexec_b64 s[14:15], vcc
	s_cbranch_execz .LBB1_24
; %bb.21:                               ;   in Loop: Header=BB1_3 Depth=1
	s_mov_b64 s[16:17], 0
	v_pk_mov_b32 v[14:15], 0, 0
	s_mov_b64 s[18:19], 0
	s_mov_b64 s[20:21], 0
.LBB1_22:                               ;   Parent Loop BB1_3 Depth=1
                                        ; =>  This Inner Loop Header: Depth=2
	v_mov_b32_e32 v17, s21
	v_add_co_u32_e32 v18, vcc, s20, v8
	v_addc_co_u32_e32 v19, vcc, v9, v17, vcc
	flat_load_ubyte v17, v[18:19]
	s_add_u32 s20, s20, 1
	v_mov_b32_e32 v19, s22
	s_addc_u32 s21, s21, 0
	v_cmp_eq_u32_e32 vcc, s20, v16
	s_waitcnt vmcnt(0) lgkmcnt(0)
	v_and_b32_e32 v18, 0xffff, v17
	v_lshlrev_b64 v[18:19], s18, v[18:19]
	s_add_u32 s18, s18, 8
	s_addc_u32 s19, s19, 0
	v_or_b32_e32 v15, v19, v15
	s_or_b64 s[16:17], vcc, s[16:17]
	v_or_b32_e32 v14, v18, v14
	s_andn2_b64 exec, exec, s[16:17]
	s_cbranch_execnz .LBB1_22
; %bb.23:                               ;   in Loop: Header=BB1_3 Depth=1
	s_or_b64 exec, exec, s[16:17]
.LBB1_24:                               ;   in Loop: Header=BB1_3 Depth=1
	s_or_b64 exec, exec, s[14:15]
	s_mov_b32 s14, 0
                                        ; implicit-def: $vgpr16
.LBB1_25:                               ;   in Loop: Header=BB1_3 Depth=1
	s_or_saveexec_b64 s[4:5], s[4:5]
	v_mov_b32_e32 v18, s14
	s_xor_b64 exec, exec, s[4:5]
	s_cbranch_execz .LBB1_27
; %bb.26:                               ;   in Loop: Header=BB1_3 Depth=1
	flat_load_dwordx2 v[14:15], v[8:9]
	v_add_u32_e32 v18, -8, v16
	v_add_co_u32_e32 v8, vcc, 8, v8
	v_addc_co_u32_e32 v9, vcc, 0, v9, vcc
	s_waitcnt vmcnt(0) lgkmcnt(0)
	v_and_b32_e32 v16, 0xff, v15
	v_and_b32_e32 v17, 0xff00, v15
	;; [unrolled: 1-line block ×4, first 2 shown]
	v_or_b32_e32 v16, v16, v17
	v_or3_b32 v14, v14, 0, 0
	v_or3_b32 v15, v16, v19, v15
.LBB1_27:                               ;   in Loop: Header=BB1_3 Depth=1
	s_or_b64 exec, exec, s[4:5]
	v_cmp_gt_u32_e32 vcc, 8, v18
                                        ; implicit-def: $vgpr16_vgpr17
                                        ; implicit-def: $sgpr14
	s_and_saveexec_b64 s[4:5], vcc
	s_xor_b64 s[4:5], exec, s[4:5]
	s_cbranch_execz .LBB1_33
; %bb.28:                               ;   in Loop: Header=BB1_3 Depth=1
	v_cmp_ne_u32_e32 vcc, 0, v18
	v_pk_mov_b32 v[16:17], 0, 0
	s_and_saveexec_b64 s[14:15], vcc
	s_cbranch_execz .LBB1_32
; %bb.29:                               ;   in Loop: Header=BB1_3 Depth=1
	s_mov_b64 s[16:17], 0
	v_pk_mov_b32 v[16:17], 0, 0
	s_mov_b64 s[18:19], 0
	s_mov_b64 s[20:21], 0
.LBB1_30:                               ;   Parent Loop BB1_3 Depth=1
                                        ; =>  This Inner Loop Header: Depth=2
	v_mov_b32_e32 v19, s21
	v_add_co_u32_e32 v20, vcc, s20, v8
	v_addc_co_u32_e32 v21, vcc, v9, v19, vcc
	flat_load_ubyte v19, v[20:21]
	s_add_u32 s20, s20, 1
	v_mov_b32_e32 v21, s22
	s_addc_u32 s21, s21, 0
	v_cmp_eq_u32_e32 vcc, s20, v18
	s_waitcnt vmcnt(0) lgkmcnt(0)
	v_and_b32_e32 v20, 0xffff, v19
	v_lshlrev_b64 v[20:21], s18, v[20:21]
	s_add_u32 s18, s18, 8
	s_addc_u32 s19, s19, 0
	v_or_b32_e32 v17, v21, v17
	s_or_b64 s[16:17], vcc, s[16:17]
	v_or_b32_e32 v16, v20, v16
	s_andn2_b64 exec, exec, s[16:17]
	s_cbranch_execnz .LBB1_30
; %bb.31:                               ;   in Loop: Header=BB1_3 Depth=1
	s_or_b64 exec, exec, s[16:17]
.LBB1_32:                               ;   in Loop: Header=BB1_3 Depth=1
	s_or_b64 exec, exec, s[14:15]
	s_mov_b32 s14, 0
                                        ; implicit-def: $vgpr18
.LBB1_33:                               ;   in Loop: Header=BB1_3 Depth=1
	s_or_saveexec_b64 s[4:5], s[4:5]
	v_mov_b32_e32 v20, s14
	s_xor_b64 exec, exec, s[4:5]
	s_cbranch_execz .LBB1_35
; %bb.34:                               ;   in Loop: Header=BB1_3 Depth=1
	flat_load_dwordx2 v[16:17], v[8:9]
	v_add_u32_e32 v20, -8, v18
	v_add_co_u32_e32 v8, vcc, 8, v8
	v_addc_co_u32_e32 v9, vcc, 0, v9, vcc
	s_waitcnt vmcnt(0) lgkmcnt(0)
	v_and_b32_e32 v18, 0xff, v17
	v_and_b32_e32 v19, 0xff00, v17
	;; [unrolled: 1-line block ×4, first 2 shown]
	v_or_b32_e32 v18, v18, v19
	v_or3_b32 v16, v16, 0, 0
	v_or3_b32 v17, v18, v21, v17
.LBB1_35:                               ;   in Loop: Header=BB1_3 Depth=1
	s_or_b64 exec, exec, s[4:5]
	v_cmp_gt_u32_e32 vcc, 8, v20
                                        ; implicit-def: $sgpr14
	s_and_saveexec_b64 s[4:5], vcc
	s_xor_b64 s[4:5], exec, s[4:5]
	s_cbranch_execz .LBB1_41
; %bb.36:                               ;   in Loop: Header=BB1_3 Depth=1
	v_cmp_ne_u32_e32 vcc, 0, v20
	v_pk_mov_b32 v[18:19], 0, 0
	s_and_saveexec_b64 s[14:15], vcc
	s_cbranch_execz .LBB1_40
; %bb.37:                               ;   in Loop: Header=BB1_3 Depth=1
	s_mov_b64 s[16:17], 0
	v_pk_mov_b32 v[18:19], 0, 0
	s_mov_b64 s[18:19], 0
	s_mov_b64 s[20:21], 0
.LBB1_38:                               ;   Parent Loop BB1_3 Depth=1
                                        ; =>  This Inner Loop Header: Depth=2
	v_mov_b32_e32 v21, s21
	v_add_co_u32_e32 v22, vcc, s20, v8
	v_addc_co_u32_e32 v23, vcc, v9, v21, vcc
	flat_load_ubyte v21, v[22:23]
	s_add_u32 s20, s20, 1
	v_mov_b32_e32 v23, s22
	s_addc_u32 s21, s21, 0
	v_cmp_eq_u32_e32 vcc, s20, v20
	s_waitcnt vmcnt(0) lgkmcnt(0)
	v_and_b32_e32 v22, 0xffff, v21
	v_lshlrev_b64 v[22:23], s18, v[22:23]
	s_add_u32 s18, s18, 8
	s_addc_u32 s19, s19, 0
	v_or_b32_e32 v19, v23, v19
	s_or_b64 s[16:17], vcc, s[16:17]
	v_or_b32_e32 v18, v22, v18
	s_andn2_b64 exec, exec, s[16:17]
	s_cbranch_execnz .LBB1_38
; %bb.39:                               ;   in Loop: Header=BB1_3 Depth=1
	s_or_b64 exec, exec, s[16:17]
.LBB1_40:                               ;   in Loop: Header=BB1_3 Depth=1
	s_or_b64 exec, exec, s[14:15]
	s_mov_b32 s14, 0
                                        ; implicit-def: $vgpr20
.LBB1_41:                               ;   in Loop: Header=BB1_3 Depth=1
	s_or_saveexec_b64 s[4:5], s[4:5]
	v_mov_b32_e32 v22, s14
	s_xor_b64 exec, exec, s[4:5]
	s_cbranch_execz .LBB1_43
; %bb.42:                               ;   in Loop: Header=BB1_3 Depth=1
	flat_load_dwordx2 v[18:19], v[8:9]
	v_add_u32_e32 v22, -8, v20
	v_add_co_u32_e32 v8, vcc, 8, v8
	v_addc_co_u32_e32 v9, vcc, 0, v9, vcc
	s_waitcnt vmcnt(0) lgkmcnt(0)
	v_and_b32_e32 v20, 0xff, v19
	v_and_b32_e32 v21, 0xff00, v19
	;; [unrolled: 1-line block ×4, first 2 shown]
	v_or_b32_e32 v20, v20, v21
	v_or3_b32 v18, v18, 0, 0
	v_or3_b32 v19, v20, v23, v19
.LBB1_43:                               ;   in Loop: Header=BB1_3 Depth=1
	s_or_b64 exec, exec, s[4:5]
	v_cmp_gt_u32_e32 vcc, 8, v22
                                        ; implicit-def: $vgpr20_vgpr21
                                        ; implicit-def: $sgpr14
	s_and_saveexec_b64 s[4:5], vcc
	s_xor_b64 s[4:5], exec, s[4:5]
	s_cbranch_execz .LBB1_49
; %bb.44:                               ;   in Loop: Header=BB1_3 Depth=1
	v_cmp_ne_u32_e32 vcc, 0, v22
	v_pk_mov_b32 v[20:21], 0, 0
	s_and_saveexec_b64 s[14:15], vcc
	s_cbranch_execz .LBB1_48
; %bb.45:                               ;   in Loop: Header=BB1_3 Depth=1
	s_mov_b64 s[16:17], 0
	v_pk_mov_b32 v[20:21], 0, 0
	s_mov_b64 s[18:19], 0
	s_mov_b64 s[20:21], 0
.LBB1_46:                               ;   Parent Loop BB1_3 Depth=1
                                        ; =>  This Inner Loop Header: Depth=2
	v_mov_b32_e32 v23, s21
	v_add_co_u32_e32 v24, vcc, s20, v8
	v_addc_co_u32_e32 v25, vcc, v9, v23, vcc
	flat_load_ubyte v23, v[24:25]
	s_add_u32 s20, s20, 1
	v_mov_b32_e32 v25, s22
	s_addc_u32 s21, s21, 0
	v_cmp_eq_u32_e32 vcc, s20, v22
	s_waitcnt vmcnt(0) lgkmcnt(0)
	v_and_b32_e32 v24, 0xffff, v23
	v_lshlrev_b64 v[24:25], s18, v[24:25]
	s_add_u32 s18, s18, 8
	s_addc_u32 s19, s19, 0
	v_or_b32_e32 v21, v25, v21
	s_or_b64 s[16:17], vcc, s[16:17]
	v_or_b32_e32 v20, v24, v20
	s_andn2_b64 exec, exec, s[16:17]
	s_cbranch_execnz .LBB1_46
; %bb.47:                               ;   in Loop: Header=BB1_3 Depth=1
	s_or_b64 exec, exec, s[16:17]
.LBB1_48:                               ;   in Loop: Header=BB1_3 Depth=1
	s_or_b64 exec, exec, s[14:15]
	s_mov_b32 s14, 0
                                        ; implicit-def: $vgpr22
.LBB1_49:                               ;   in Loop: Header=BB1_3 Depth=1
	s_or_saveexec_b64 s[4:5], s[4:5]
	v_mov_b32_e32 v24, s14
	s_xor_b64 exec, exec, s[4:5]
	s_cbranch_execz .LBB1_51
; %bb.50:                               ;   in Loop: Header=BB1_3 Depth=1
	flat_load_dwordx2 v[20:21], v[8:9]
	v_add_u32_e32 v24, -8, v22
	v_add_co_u32_e32 v8, vcc, 8, v8
	v_addc_co_u32_e32 v9, vcc, 0, v9, vcc
	s_waitcnt vmcnt(0) lgkmcnt(0)
	v_and_b32_e32 v22, 0xff, v21
	v_and_b32_e32 v23, 0xff00, v21
	;; [unrolled: 1-line block ×4, first 2 shown]
	v_or_b32_e32 v22, v22, v23
	v_or3_b32 v20, v20, 0, 0
	v_or3_b32 v21, v22, v25, v21
.LBB1_51:                               ;   in Loop: Header=BB1_3 Depth=1
	s_or_b64 exec, exec, s[4:5]
	v_cmp_gt_u32_e32 vcc, 8, v24
	s_and_saveexec_b64 s[4:5], vcc
	s_xor_b64 s[4:5], exec, s[4:5]
	s_cbranch_execz .LBB1_57
; %bb.52:                               ;   in Loop: Header=BB1_3 Depth=1
	v_cmp_ne_u32_e32 vcc, 0, v24
	v_pk_mov_b32 v[22:23], 0, 0
	s_and_saveexec_b64 s[14:15], vcc
	s_cbranch_execz .LBB1_56
; %bb.53:                               ;   in Loop: Header=BB1_3 Depth=1
	s_mov_b64 s[16:17], 0
	v_pk_mov_b32 v[22:23], 0, 0
	s_mov_b64 s[18:19], 0
.LBB1_54:                               ;   Parent Loop BB1_3 Depth=1
                                        ; =>  This Inner Loop Header: Depth=2
	flat_load_ubyte v25, v[8:9]
	v_mov_b32_e32 v27, s22
	v_add_co_u32_e32 v8, vcc, 1, v8
	v_add_u32_e32 v24, -1, v24
	v_addc_co_u32_e32 v9, vcc, 0, v9, vcc
	v_cmp_eq_u32_e32 vcc, 0, v24
	s_waitcnt vmcnt(0) lgkmcnt(0)
	v_and_b32_e32 v26, 0xffff, v25
	v_lshlrev_b64 v[26:27], s18, v[26:27]
	s_add_u32 s18, s18, 8
	s_addc_u32 s19, s19, 0
	v_or_b32_e32 v23, v27, v23
	s_or_b64 s[16:17], vcc, s[16:17]
	v_or_b32_e32 v22, v26, v22
	s_andn2_b64 exec, exec, s[16:17]
	s_cbranch_execnz .LBB1_54
; %bb.55:                               ;   in Loop: Header=BB1_3 Depth=1
	s_or_b64 exec, exec, s[16:17]
.LBB1_56:                               ;   in Loop: Header=BB1_3 Depth=1
	s_or_b64 exec, exec, s[14:15]
                                        ; implicit-def: $vgpr8_vgpr9
.LBB1_57:                               ;   in Loop: Header=BB1_3 Depth=1
	s_andn2_saveexec_b64 s[4:5], s[4:5]
	s_cbranch_execz .LBB1_59
; %bb.58:                               ;   in Loop: Header=BB1_3 Depth=1
	flat_load_dwordx2 v[8:9], v[8:9]
	s_waitcnt vmcnt(0) lgkmcnt(0)
	v_and_b32_e32 v22, 0xff, v9
	v_and_b32_e32 v23, 0xff00, v9
	;; [unrolled: 1-line block ×4, first 2 shown]
	v_or_b32_e32 v22, v22, v23
	v_or3_b32 v23, v22, v24, v9
	v_or3_b32 v22, v8, 0, 0
.LBB1_59:                               ;   in Loop: Header=BB1_3 Depth=1
	s_or_b64 exec, exec, s[4:5]
	v_readfirstlane_b32 s4, v32
	v_cmp_eq_u32_e64 s[4:5], s4, v32
	v_pk_mov_b32 v[8:9], 0, 0
	s_and_saveexec_b64 s[14:15], s[4:5]
	s_cbranch_execz .LBB1_65
; %bb.60:                               ;   in Loop: Header=BB1_3 Depth=1
	s_waitcnt lgkmcnt(0)
	global_load_dwordx2 v[26:27], v31, s[12:13] offset:24 glc
	s_waitcnt vmcnt(0)
	buffer_invl2
	buffer_wbinvl1_vol
	global_load_dwordx2 v[8:9], v31, s[12:13] offset:40
	global_load_dwordx2 v[24:25], v31, s[12:13]
	s_waitcnt vmcnt(1)
	v_and_b32_e32 v8, v8, v26
	v_and_b32_e32 v9, v9, v27
	v_mul_lo_u32 v9, v9, 24
	v_mul_hi_u32 v29, v8, 24
	v_mul_lo_u32 v8, v8, 24
	v_add_u32_e32 v9, v29, v9
	s_waitcnt vmcnt(0)
	v_add_co_u32_e32 v8, vcc, v24, v8
	v_addc_co_u32_e32 v9, vcc, v25, v9, vcc
	global_load_dwordx2 v[24:25], v[8:9], off glc
	s_waitcnt vmcnt(0)
	global_atomic_cmpswap_x2 v[8:9], v31, v[24:27], s[12:13] offset:24 glc
	s_waitcnt vmcnt(0)
	buffer_invl2
	buffer_wbinvl1_vol
	v_cmp_ne_u64_e32 vcc, v[8:9], v[26:27]
	s_and_saveexec_b64 s[16:17], vcc
	s_cbranch_execz .LBB1_64
; %bb.61:                               ;   in Loop: Header=BB1_3 Depth=1
	s_mov_b64 s[18:19], 0
.LBB1_62:                               ;   Parent Loop BB1_3 Depth=1
                                        ; =>  This Inner Loop Header: Depth=2
	s_sleep 1
	global_load_dwordx2 v[24:25], v31, s[12:13] offset:40
	global_load_dwordx2 v[36:37], v31, s[12:13]
	v_pk_mov_b32 v[26:27], v[8:9], v[8:9] op_sel:[0,1]
	s_waitcnt vmcnt(1)
	v_and_b32_e32 v8, v24, v26
	s_waitcnt vmcnt(0)
	v_mad_u64_u32 v[8:9], s[20:21], v8, 24, v[36:37]
	v_and_b32_e32 v25, v25, v27
	v_mov_b32_e32 v24, v9
	v_mad_u64_u32 v[24:25], s[20:21], v25, 24, v[24:25]
	v_mov_b32_e32 v9, v24
	global_load_dwordx2 v[24:25], v[8:9], off glc
	s_waitcnt vmcnt(0)
	global_atomic_cmpswap_x2 v[8:9], v31, v[24:27], s[12:13] offset:24 glc
	s_waitcnt vmcnt(0)
	buffer_invl2
	buffer_wbinvl1_vol
	v_cmp_eq_u64_e32 vcc, v[8:9], v[26:27]
	s_or_b64 s[18:19], vcc, s[18:19]
	s_andn2_b64 exec, exec, s[18:19]
	s_cbranch_execnz .LBB1_62
; %bb.63:                               ;   in Loop: Header=BB1_3 Depth=1
	s_or_b64 exec, exec, s[18:19]
.LBB1_64:                               ;   in Loop: Header=BB1_3 Depth=1
	s_or_b64 exec, exec, s[16:17]
.LBB1_65:                               ;   in Loop: Header=BB1_3 Depth=1
	s_or_b64 exec, exec, s[14:15]
	s_waitcnt lgkmcnt(0)
	global_load_dwordx2 v[36:37], v31, s[12:13] offset:40
	global_load_dwordx4 v[24:27], v31, s[12:13]
	v_readfirstlane_b32 s14, v8
	v_readfirstlane_b32 s15, v9
	s_mov_b64 s[16:17], exec
	s_waitcnt vmcnt(1)
	v_readfirstlane_b32 s18, v36
	v_readfirstlane_b32 s19, v37
	s_and_b64 s[18:19], s[14:15], s[18:19]
	s_mul_i32 s20, s19, 24
	s_mul_hi_u32 s21, s18, 24
	s_mul_i32 s24, s18, 24
	s_add_i32 s20, s21, s20
	v_mov_b32_e32 v8, s20
	s_waitcnt vmcnt(0)
	v_add_co_u32_e32 v36, vcc, s24, v24
	v_addc_co_u32_e32 v37, vcc, v25, v8, vcc
	s_and_saveexec_b64 s[20:21], s[4:5]
	s_cbranch_execz .LBB1_67
; %bb.66:                               ;   in Loop: Header=BB1_3 Depth=1
	v_pk_mov_b32 v[8:9], s[16:17], s[16:17] op_sel:[0,1]
	global_store_dwordx4 v[36:37], v[8:11], off offset:8
.LBB1_67:                               ;   in Loop: Header=BB1_3 Depth=1
	s_or_b64 exec, exec, s[20:21]
	s_lshl_b64 s[16:17], s[18:19], 12
	v_mov_b32_e32 v9, s17
	v_add_co_u32_e32 v8, vcc, s16, v26
	v_addc_co_u32_e32 v9, vcc, v27, v9, vcc
	v_or_b32_e32 v26, 0, v1
	v_cmp_lt_u64_e32 vcc, 56, v[4:5]
	v_or_b32_e32 v27, v0, v28
	v_cndmask_b32_e32 v1, v26, v1, vcc
	v_lshl_add_u32 v26, v34, 2, 28
	v_cndmask_b32_e32 v0, v27, v0, vcc
	v_and_b32_e32 v26, 0x1e0, v26
	v_and_or_b32 v0, v0, s23, v26
	v_lshlrev_b32_e32 v26, 6, v32
	v_readfirstlane_b32 s16, v8
	v_readfirstlane_b32 s17, v9
	s_nop 4
	global_store_dwordx4 v26, v[0:3], s[16:17]
	global_store_dwordx4 v26, v[12:15], s[16:17] offset:16
	global_store_dwordx4 v26, v[16:19], s[16:17] offset:32
	;; [unrolled: 1-line block ×3, first 2 shown]
	s_and_saveexec_b64 s[16:17], s[4:5]
	s_cbranch_execz .LBB1_75
; %bb.68:                               ;   in Loop: Header=BB1_3 Depth=1
	global_load_dwordx2 v[16:17], v31, s[12:13] offset:32 glc
	global_load_dwordx2 v[0:1], v31, s[12:13] offset:40
	v_mov_b32_e32 v14, s14
	v_mov_b32_e32 v15, s15
	s_waitcnt vmcnt(0)
	v_readfirstlane_b32 s18, v0
	v_readfirstlane_b32 s19, v1
	s_and_b64 s[18:19], s[18:19], s[14:15]
	s_mul_i32 s19, s19, 24
	s_mul_hi_u32 s20, s18, 24
	s_mul_i32 s18, s18, 24
	s_add_i32 s19, s20, s19
	v_mov_b32_e32 v0, s19
	v_add_co_u32_e32 v12, vcc, s18, v24
	v_addc_co_u32_e32 v13, vcc, v25, v0, vcc
	global_store_dwordx2 v[12:13], v[16:17], off
	buffer_wbl2
	s_waitcnt vmcnt(0)
	global_atomic_cmpswap_x2 v[2:3], v31, v[14:17], s[12:13] offset:32 glc
	s_waitcnt vmcnt(0)
	v_cmp_ne_u64_e32 vcc, v[2:3], v[16:17]
	s_and_saveexec_b64 s[18:19], vcc
	s_cbranch_execz .LBB1_71
; %bb.69:                               ;   in Loop: Header=BB1_3 Depth=1
	s_mov_b64 s[20:21], 0
.LBB1_70:                               ;   Parent Loop BB1_3 Depth=1
                                        ; =>  This Inner Loop Header: Depth=2
	s_sleep 1
	global_store_dwordx2 v[12:13], v[2:3], off
	v_mov_b32_e32 v0, s14
	v_mov_b32_e32 v1, s15
	buffer_wbl2
	s_waitcnt vmcnt(0)
	global_atomic_cmpswap_x2 v[0:1], v31, v[0:3], s[12:13] offset:32 glc
	s_waitcnt vmcnt(0)
	v_cmp_eq_u64_e32 vcc, v[0:1], v[2:3]
	s_or_b64 s[20:21], vcc, s[20:21]
	v_pk_mov_b32 v[2:3], v[0:1], v[0:1] op_sel:[0,1]
	s_andn2_b64 exec, exec, s[20:21]
	s_cbranch_execnz .LBB1_70
.LBB1_71:                               ;   in Loop: Header=BB1_3 Depth=1
	s_or_b64 exec, exec, s[18:19]
	global_load_dwordx2 v[0:1], v31, s[12:13] offset:16
	s_mov_b64 s[20:21], exec
	v_mbcnt_lo_u32_b32 v2, s20, 0
	v_mbcnt_hi_u32_b32 v2, s21, v2
	v_cmp_eq_u32_e32 vcc, 0, v2
	s_and_saveexec_b64 s[18:19], vcc
	s_cbranch_execz .LBB1_73
; %bb.72:                               ;   in Loop: Header=BB1_3 Depth=1
	s_bcnt1_i32_b64 s20, s[20:21]
	v_mov_b32_e32 v30, s20
	buffer_wbl2
	s_waitcnt vmcnt(0)
	global_atomic_add_x2 v[0:1], v[30:31], off offset:8
.LBB1_73:                               ;   in Loop: Header=BB1_3 Depth=1
	s_or_b64 exec, exec, s[18:19]
	s_waitcnt vmcnt(0)
	global_load_dwordx2 v[2:3], v[0:1], off offset:16
	s_waitcnt vmcnt(0)
	v_cmp_eq_u64_e32 vcc, 0, v[2:3]
	s_cbranch_vccnz .LBB1_75
; %bb.74:                               ;   in Loop: Header=BB1_3 Depth=1
	global_load_dword v30, v[0:1], off offset:24
	s_waitcnt vmcnt(0)
	v_and_b32_e32 v0, 0xffffff, v30
	v_readfirstlane_b32 m0, v0
	buffer_wbl2
	global_store_dwordx2 v[2:3], v[30:31], off
	s_sendmsg sendmsg(MSG_INTERRUPT)
.LBB1_75:                               ;   in Loop: Header=BB1_3 Depth=1
	s_or_b64 exec, exec, s[16:17]
	v_add_co_u32_e32 v0, vcc, v8, v26
	v_addc_co_u32_e32 v1, vcc, 0, v9, vcc
	s_branch .LBB1_79
.LBB1_76:                               ;   in Loop: Header=BB1_79 Depth=2
	s_or_b64 exec, exec, s[16:17]
	v_readfirstlane_b32 s16, v2
	s_cmp_eq_u32 s16, 0
	s_cbranch_scc1 .LBB1_78
; %bb.77:                               ;   in Loop: Header=BB1_79 Depth=2
	s_sleep 1
	s_cbranch_execnz .LBB1_79
	s_branch .LBB1_81
.LBB1_78:                               ;   in Loop: Header=BB1_3 Depth=1
	s_branch .LBB1_81
.LBB1_79:                               ;   Parent Loop BB1_3 Depth=1
                                        ; =>  This Inner Loop Header: Depth=2
	v_mov_b32_e32 v2, 1
	s_and_saveexec_b64 s[16:17], s[4:5]
	s_cbranch_execz .LBB1_76
; %bb.80:                               ;   in Loop: Header=BB1_79 Depth=2
	global_load_dword v2, v[36:37], off offset:20 glc
	s_waitcnt vmcnt(0)
	buffer_invl2
	buffer_wbinvl1_vol
	v_and_b32_e32 v2, 1, v2
	s_branch .LBB1_76
.LBB1_81:                               ;   in Loop: Header=BB1_3 Depth=1
	global_load_dwordx4 v[0:3], v[0:1], off
	s_and_saveexec_b64 s[16:17], s[4:5]
	s_cbranch_execz .LBB1_2
; %bb.82:                               ;   in Loop: Header=BB1_3 Depth=1
	global_load_dwordx2 v[2:3], v31, s[12:13] offset:40
	global_load_dwordx2 v[8:9], v31, s[12:13] offset:24 glc
	global_load_dwordx2 v[16:17], v31, s[12:13]
	v_mov_b32_e32 v13, s15
	s_waitcnt vmcnt(2)
	v_add_co_u32_e32 v15, vcc, 1, v2
	v_addc_co_u32_e32 v18, vcc, 0, v3, vcc
	v_add_co_u32_e32 v12, vcc, s14, v15
	v_addc_co_u32_e32 v13, vcc, v18, v13, vcc
	v_cmp_eq_u64_e32 vcc, 0, v[12:13]
	v_cndmask_b32_e32 v13, v13, v18, vcc
	v_cndmask_b32_e32 v12, v12, v15, vcc
	v_and_b32_e32 v3, v13, v3
	v_and_b32_e32 v2, v12, v2
	v_mul_lo_u32 v3, v3, 24
	v_mul_hi_u32 v15, v2, 24
	v_mul_lo_u32 v2, v2, 24
	v_add_u32_e32 v3, v15, v3
	s_waitcnt vmcnt(0)
	v_add_co_u32_e32 v2, vcc, v16, v2
	v_addc_co_u32_e32 v3, vcc, v17, v3, vcc
	v_mov_b32_e32 v14, v8
	global_store_dwordx2 v[2:3], v[8:9], off
	v_mov_b32_e32 v15, v9
	buffer_wbl2
	s_waitcnt vmcnt(0)
	global_atomic_cmpswap_x2 v[14:15], v31, v[12:15], s[12:13] offset:24 glc
	s_waitcnt vmcnt(0)
	v_cmp_ne_u64_e32 vcc, v[14:15], v[8:9]
	s_and_b64 exec, exec, vcc
	s_cbranch_execz .LBB1_2
; %bb.83:                               ;   in Loop: Header=BB1_3 Depth=1
	s_mov_b64 s[4:5], 0
.LBB1_84:                               ;   Parent Loop BB1_3 Depth=1
                                        ; =>  This Inner Loop Header: Depth=2
	s_sleep 1
	global_store_dwordx2 v[2:3], v[14:15], off
	buffer_wbl2
	s_waitcnt vmcnt(0)
	global_atomic_cmpswap_x2 v[8:9], v31, v[12:15], s[12:13] offset:24 glc
	s_waitcnt vmcnt(0)
	v_cmp_eq_u64_e32 vcc, v[8:9], v[14:15]
	s_or_b64 s[4:5], vcc, s[4:5]
	v_pk_mov_b32 v[14:15], v[8:9], v[8:9] op_sel:[0,1]
	s_andn2_b64 exec, exec, s[4:5]
	s_cbranch_execnz .LBB1_84
	s_branch .LBB1_2
.LBB1_85:
	s_or_b64 exec, exec, s[6:7]
                                        ; implicit-def: $vgpr3
                                        ; implicit-def: $vgpr2
.LBB1_86:
	s_andn2_saveexec_b64 s[6:7], s[10:11]
	s_cbranch_execz .LBB1_109
; %bb.87:
	s_load_dwordx2 s[8:9], s[8:9], 0x50
	s_waitcnt vmcnt(0)
	v_mbcnt_hi_u32_b32 v10, -1, v2
	v_readfirstlane_b32 s4, v10
	v_cmp_eq_u32_e64 s[4:5], s4, v10
	v_pk_mov_b32 v[8:9], 0, 0
	s_and_saveexec_b64 s[10:11], s[4:5]
	s_cbranch_execz .LBB1_93
; %bb.88:
	v_mov_b32_e32 v0, 0
	s_waitcnt lgkmcnt(0)
	global_load_dwordx2 v[6:7], v0, s[8:9] offset:24 glc
	s_waitcnt vmcnt(0)
	buffer_invl2
	buffer_wbinvl1_vol
	global_load_dwordx2 v[4:5], v0, s[8:9] offset:40
	global_load_dwordx2 v[8:9], v0, s[8:9]
	s_waitcnt vmcnt(1)
	v_and_b32_e32 v2, v4, v6
	v_and_b32_e32 v4, v5, v7
	v_mul_lo_u32 v4, v4, 24
	v_mul_hi_u32 v5, v2, 24
	v_mul_lo_u32 v2, v2, 24
	v_add_u32_e32 v5, v5, v4
	s_waitcnt vmcnt(0)
	v_add_co_u32_e32 v4, vcc, v8, v2
	v_addc_co_u32_e32 v5, vcc, v9, v5, vcc
	global_load_dwordx2 v[4:5], v[4:5], off glc
	s_waitcnt vmcnt(0)
	global_atomic_cmpswap_x2 v[8:9], v0, v[4:7], s[8:9] offset:24 glc
	s_waitcnt vmcnt(0)
	buffer_invl2
	buffer_wbinvl1_vol
	v_cmp_ne_u64_e32 vcc, v[8:9], v[6:7]
	s_and_saveexec_b64 s[12:13], vcc
	s_cbranch_execz .LBB1_92
; %bb.89:
	s_mov_b64 s[14:15], 0
.LBB1_90:                               ; =>This Inner Loop Header: Depth=1
	s_sleep 1
	global_load_dwordx2 v[4:5], v0, s[8:9] offset:40
	global_load_dwordx2 v[12:13], v0, s[8:9]
	v_pk_mov_b32 v[6:7], v[8:9], v[8:9] op_sel:[0,1]
	s_waitcnt vmcnt(1)
	v_and_b32_e32 v2, v4, v6
	v_and_b32_e32 v8, v5, v7
	s_waitcnt vmcnt(0)
	v_mad_u64_u32 v[4:5], s[16:17], v2, 24, v[12:13]
	v_mov_b32_e32 v2, v5
	v_mad_u64_u32 v[8:9], s[16:17], v8, 24, v[2:3]
	v_mov_b32_e32 v5, v8
	global_load_dwordx2 v[4:5], v[4:5], off glc
	s_waitcnt vmcnt(0)
	global_atomic_cmpswap_x2 v[8:9], v0, v[4:7], s[8:9] offset:24 glc
	s_waitcnt vmcnt(0)
	buffer_invl2
	buffer_wbinvl1_vol
	v_cmp_eq_u64_e32 vcc, v[8:9], v[6:7]
	s_or_b64 s[14:15], vcc, s[14:15]
	s_andn2_b64 exec, exec, s[14:15]
	s_cbranch_execnz .LBB1_90
; %bb.91:
	s_or_b64 exec, exec, s[14:15]
.LBB1_92:
	s_or_b64 exec, exec, s[12:13]
.LBB1_93:
	s_or_b64 exec, exec, s[10:11]
	v_mov_b32_e32 v2, 0
	s_waitcnt lgkmcnt(0)
	global_load_dwordx2 v[12:13], v2, s[8:9] offset:40
	global_load_dwordx4 v[4:7], v2, s[8:9]
	v_readfirstlane_b32 s10, v8
	v_readfirstlane_b32 s11, v9
	s_mov_b64 s[12:13], exec
	s_waitcnt vmcnt(1)
	v_readfirstlane_b32 s14, v12
	v_readfirstlane_b32 s15, v13
	s_and_b64 s[14:15], s[10:11], s[14:15]
	s_mul_i32 s16, s15, 24
	s_mul_hi_u32 s17, s14, 24
	s_mul_i32 s18, s14, 24
	s_add_i32 s16, s17, s16
	v_mov_b32_e32 v0, s16
	s_waitcnt vmcnt(0)
	v_add_co_u32_e32 v8, vcc, s18, v4
	v_addc_co_u32_e32 v9, vcc, v5, v0, vcc
	s_and_saveexec_b64 s[16:17], s[4:5]
	s_cbranch_execz .LBB1_95
; %bb.94:
	v_pk_mov_b32 v[12:13], s[12:13], s[12:13] op_sel:[0,1]
	v_mov_b32_e32 v14, 2
	v_mov_b32_e32 v15, 1
	global_store_dwordx4 v[8:9], v[12:15], off offset:8
.LBB1_95:
	s_or_b64 exec, exec, s[16:17]
	s_lshl_b64 s[12:13], s[14:15], 12
	v_mov_b32_e32 v0, s13
	v_add_co_u32_e32 v12, vcc, s12, v6
	s_movk_i32 s12, 0xff1f
	v_addc_co_u32_e32 v11, vcc, v7, v0, vcc
	v_and_or_b32 v0, v3, s12, 32
	s_mov_b32 s12, 0
	v_lshlrev_b32_e32 v10, 6, v10
	v_mov_b32_e32 v3, v2
	v_readfirstlane_b32 s16, v12
	v_readfirstlane_b32 s17, v11
	s_mov_b32 s13, s12
	v_add_co_u32_e32 v6, vcc, v12, v10
	s_mov_b32 s14, s12
	s_mov_b32 s15, s12
	s_nop 0
	global_store_dwordx4 v10, v[0:3], s[16:17]
	v_addc_co_u32_e32 v7, vcc, 0, v11, vcc
	v_pk_mov_b32 v[0:1], s[12:13], s[12:13] op_sel:[0,1]
	v_pk_mov_b32 v[2:3], s[14:15], s[14:15] op_sel:[0,1]
	global_store_dwordx4 v10, v[0:3], s[16:17] offset:16
	global_store_dwordx4 v10, v[0:3], s[16:17] offset:32
	;; [unrolled: 1-line block ×3, first 2 shown]
	s_and_saveexec_b64 s[12:13], s[4:5]
	s_cbranch_execz .LBB1_103
; %bb.96:
	v_mov_b32_e32 v10, 0
	global_load_dwordx2 v[14:15], v10, s[8:9] offset:32 glc
	global_load_dwordx2 v[0:1], v10, s[8:9] offset:40
	v_mov_b32_e32 v12, s10
	v_mov_b32_e32 v13, s11
	s_waitcnt vmcnt(0)
	v_and_b32_e32 v0, s10, v0
	v_and_b32_e32 v1, s11, v1
	v_mul_lo_u32 v1, v1, 24
	v_mul_hi_u32 v2, v0, 24
	v_mul_lo_u32 v0, v0, 24
	v_add_u32_e32 v1, v2, v1
	v_add_co_u32_e32 v4, vcc, v4, v0
	v_addc_co_u32_e32 v5, vcc, v5, v1, vcc
	global_store_dwordx2 v[4:5], v[14:15], off
	buffer_wbl2
	s_waitcnt vmcnt(0)
	global_atomic_cmpswap_x2 v[2:3], v10, v[12:15], s[8:9] offset:32 glc
	s_waitcnt vmcnt(0)
	v_cmp_ne_u64_e32 vcc, v[2:3], v[14:15]
	s_and_saveexec_b64 s[14:15], vcc
	s_cbranch_execz .LBB1_99
; %bb.97:
	s_mov_b64 s[16:17], 0
.LBB1_98:                               ; =>This Inner Loop Header: Depth=1
	s_sleep 1
	global_store_dwordx2 v[4:5], v[2:3], off
	v_mov_b32_e32 v0, s10
	v_mov_b32_e32 v1, s11
	buffer_wbl2
	s_waitcnt vmcnt(0)
	global_atomic_cmpswap_x2 v[0:1], v10, v[0:3], s[8:9] offset:32 glc
	s_waitcnt vmcnt(0)
	v_cmp_eq_u64_e32 vcc, v[0:1], v[2:3]
	s_or_b64 s[16:17], vcc, s[16:17]
	v_pk_mov_b32 v[2:3], v[0:1], v[0:1] op_sel:[0,1]
	s_andn2_b64 exec, exec, s[16:17]
	s_cbranch_execnz .LBB1_98
.LBB1_99:
	s_or_b64 exec, exec, s[14:15]
	v_mov_b32_e32 v3, 0
	global_load_dwordx2 v[0:1], v3, s[8:9] offset:16
	s_mov_b64 s[14:15], exec
	v_mbcnt_lo_u32_b32 v2, s14, 0
	v_mbcnt_hi_u32_b32 v2, s15, v2
	v_cmp_eq_u32_e32 vcc, 0, v2
	s_and_saveexec_b64 s[16:17], vcc
	s_cbranch_execz .LBB1_101
; %bb.100:
	s_bcnt1_i32_b64 s14, s[14:15]
	v_mov_b32_e32 v2, s14
	buffer_wbl2
	s_waitcnt vmcnt(0)
	global_atomic_add_x2 v[0:1], v[2:3], off offset:8
.LBB1_101:
	s_or_b64 exec, exec, s[16:17]
	s_waitcnt vmcnt(0)
	global_load_dwordx2 v[2:3], v[0:1], off offset:16
	s_waitcnt vmcnt(0)
	v_cmp_eq_u64_e32 vcc, 0, v[2:3]
	s_cbranch_vccnz .LBB1_103
; %bb.102:
	global_load_dword v0, v[0:1], off offset:24
	v_mov_b32_e32 v1, 0
	buffer_wbl2
	s_waitcnt vmcnt(0)
	global_store_dwordx2 v[2:3], v[0:1], off
	v_and_b32_e32 v0, 0xffffff, v0
	v_readfirstlane_b32 m0, v0
	s_sendmsg sendmsg(MSG_INTERRUPT)
.LBB1_103:
	s_or_b64 exec, exec, s[12:13]
	s_branch .LBB1_107
.LBB1_104:                              ;   in Loop: Header=BB1_107 Depth=1
	s_or_b64 exec, exec, s[12:13]
	v_readfirstlane_b32 s12, v0
	s_cmp_eq_u32 s12, 0
	s_cbranch_scc1 .LBB1_106
; %bb.105:                              ;   in Loop: Header=BB1_107 Depth=1
	s_sleep 1
	s_cbranch_execnz .LBB1_107
	s_branch .LBB1_110
.LBB1_106:
	s_branch .LBB1_110
.LBB1_107:                              ; =>This Inner Loop Header: Depth=1
	v_mov_b32_e32 v0, 1
	s_and_saveexec_b64 s[12:13], s[4:5]
	s_cbranch_execz .LBB1_104
; %bb.108:                              ;   in Loop: Header=BB1_107 Depth=1
	global_load_dword v0, v[8:9], off offset:20 glc
	s_waitcnt vmcnt(0)
	buffer_invl2
	buffer_wbinvl1_vol
	v_and_b32_e32 v0, 1, v0
	s_branch .LBB1_104
.LBB1_109:
	s_or_b64 exec, exec, s[6:7]
	s_waitcnt vmcnt(0) lgkmcnt(0)
	s_setpc_b64 s[30:31]
.LBB1_110:
	global_load_dwordx2 v[0:1], v[6:7], off
	s_and_saveexec_b64 s[12:13], s[4:5]
	s_cbranch_execz .LBB1_113
; %bb.111:
	v_mov_b32_e32 v8, 0
	global_load_dwordx2 v[6:7], v8, s[8:9] offset:40
	global_load_dwordx2 v[10:11], v8, s[8:9] offset:24 glc
	global_load_dwordx2 v[12:13], v8, s[8:9]
	v_mov_b32_e32 v3, s11
	s_mov_b64 s[4:5], 0
	s_waitcnt vmcnt(2)
	v_add_co_u32_e32 v5, vcc, 1, v6
	v_addc_co_u32_e32 v9, vcc, 0, v7, vcc
	v_add_co_u32_e32 v2, vcc, s10, v5
	v_addc_co_u32_e32 v3, vcc, v9, v3, vcc
	v_cmp_eq_u64_e32 vcc, 0, v[2:3]
	v_cndmask_b32_e32 v3, v3, v9, vcc
	v_cndmask_b32_e32 v2, v2, v5, vcc
	v_and_b32_e32 v5, v3, v7
	v_and_b32_e32 v6, v2, v6
	v_mul_lo_u32 v5, v5, 24
	v_mul_hi_u32 v7, v6, 24
	v_mul_lo_u32 v6, v6, 24
	v_add_u32_e32 v5, v7, v5
	s_waitcnt vmcnt(0)
	v_add_co_u32_e32 v6, vcc, v12, v6
	v_addc_co_u32_e32 v7, vcc, v13, v5, vcc
	v_mov_b32_e32 v4, v10
	global_store_dwordx2 v[6:7], v[10:11], off
	v_mov_b32_e32 v5, v11
	buffer_wbl2
	s_waitcnt vmcnt(0)
	global_atomic_cmpswap_x2 v[4:5], v8, v[2:5], s[8:9] offset:24 glc
	s_waitcnt vmcnt(0)
	v_cmp_ne_u64_e32 vcc, v[4:5], v[10:11]
	s_and_b64 exec, exec, vcc
	s_cbranch_execz .LBB1_113
.LBB1_112:                              ; =>This Inner Loop Header: Depth=1
	s_sleep 1
	global_store_dwordx2 v[6:7], v[4:5], off
	buffer_wbl2
	s_waitcnt vmcnt(0)
	global_atomic_cmpswap_x2 v[10:11], v8, v[2:5], s[8:9] offset:24 glc
	s_waitcnt vmcnt(0)
	v_cmp_eq_u64_e32 vcc, v[10:11], v[4:5]
	s_or_b64 s[4:5], vcc, s[4:5]
	v_pk_mov_b32 v[4:5], v[10:11], v[10:11] op_sel:[0,1]
	s_andn2_b64 exec, exec, s[4:5]
	s_cbranch_execnz .LBB1_112
.LBB1_113:
	s_or_b64 exec, exec, s[12:13]
	s_or_b64 exec, exec, s[6:7]
	s_waitcnt vmcnt(0) lgkmcnt(0)
	s_setpc_b64 s[30:31]
.Lfunc_end1:
	.size	__ockl_printf_append_string_n, .Lfunc_end1-__ockl_printf_append_string_n
                                        ; -- End function
	.section	.AMDGPU.csdata,"",@progbits
; Function info:
; codeLenInByte = 4376
; NumSgprs: 36
; NumVgprs: 38
; NumAgprs: 0
; TotalNumVgprs: 38
; ScratchSize: 0
; MemoryBound: 0
	.text
	.p2align	2                               ; -- Begin function __ockl_printf_append_args
	.type	__ockl_printf_append_args,@function
__ockl_printf_append_args:              ; @__ockl_printf_append_args
; %bb.0:
	s_waitcnt vmcnt(0) expcnt(0) lgkmcnt(0)
	s_load_dwordx2 s[6:7], s[8:9], 0x50
	v_mbcnt_lo_u32_b32 v5, -1, 0
	v_mbcnt_hi_u32_b32 v5, -1, v5
	v_readfirstlane_b32 s4, v5
	v_cmp_eq_u32_e64 s[4:5], s4, v5
	v_pk_mov_b32 v[10:11], 0, 0
	s_and_saveexec_b64 s[8:9], s[4:5]
	s_cbranch_execz .LBB2_6
; %bb.1:
	v_mov_b32_e32 v6, 0
	s_waitcnt lgkmcnt(0)
	global_load_dwordx2 v[12:13], v6, s[6:7] offset:24 glc
	s_waitcnt vmcnt(0)
	buffer_invl2
	buffer_wbinvl1_vol
	global_load_dwordx2 v[8:9], v6, s[6:7] offset:40
	global_load_dwordx2 v[10:11], v6, s[6:7]
	s_waitcnt vmcnt(1)
	v_and_b32_e32 v7, v8, v12
	v_and_b32_e32 v8, v9, v13
	v_mul_lo_u32 v8, v8, 24
	v_mul_hi_u32 v9, v7, 24
	v_mul_lo_u32 v7, v7, 24
	v_add_u32_e32 v9, v9, v8
	s_waitcnt vmcnt(0)
	v_add_co_u32_e32 v8, vcc, v10, v7
	v_addc_co_u32_e32 v9, vcc, v11, v9, vcc
	global_load_dwordx2 v[10:11], v[8:9], off glc
	s_waitcnt vmcnt(0)
	global_atomic_cmpswap_x2 v[10:11], v6, v[10:13], s[6:7] offset:24 glc
	s_waitcnt vmcnt(0)
	buffer_invl2
	buffer_wbinvl1_vol
	v_cmp_ne_u64_e32 vcc, v[10:11], v[12:13]
	s_and_saveexec_b64 s[10:11], vcc
	s_cbranch_execz .LBB2_5
; %bb.2:
	s_mov_b64 s[12:13], 0
.LBB2_3:                                ; =>This Inner Loop Header: Depth=1
	s_sleep 1
	global_load_dwordx2 v[8:9], v6, s[6:7] offset:40
	global_load_dwordx2 v[14:15], v6, s[6:7]
	v_pk_mov_b32 v[12:13], v[10:11], v[10:11] op_sel:[0,1]
	s_waitcnt vmcnt(1)
	v_and_b32_e32 v8, v8, v12
	v_and_b32_e32 v7, v9, v13
	s_waitcnt vmcnt(0)
	v_mad_u64_u32 v[8:9], s[14:15], v8, 24, v[14:15]
	v_mov_b32_e32 v10, v9
	v_mad_u64_u32 v[10:11], s[14:15], v7, 24, v[10:11]
	v_mov_b32_e32 v9, v10
	global_load_dwordx2 v[10:11], v[8:9], off glc
	s_waitcnt vmcnt(0)
	global_atomic_cmpswap_x2 v[10:11], v6, v[10:13], s[6:7] offset:24 glc
	s_waitcnt vmcnt(0)
	buffer_invl2
	buffer_wbinvl1_vol
	v_cmp_eq_u64_e32 vcc, v[10:11], v[12:13]
	s_or_b64 s[12:13], vcc, s[12:13]
	s_andn2_b64 exec, exec, s[12:13]
	s_cbranch_execnz .LBB2_3
; %bb.4:
	s_or_b64 exec, exec, s[12:13]
.LBB2_5:
	s_or_b64 exec, exec, s[10:11]
.LBB2_6:
	s_or_b64 exec, exec, s[8:9]
	v_mov_b32_e32 v14, 0
	s_waitcnt lgkmcnt(0)
	global_load_dwordx2 v[12:13], v14, s[6:7] offset:40
	global_load_dwordx4 v[6:9], v14, s[6:7]
	v_readfirstlane_b32 s8, v10
	v_readfirstlane_b32 s9, v11
	s_mov_b64 s[10:11], exec
	s_waitcnt vmcnt(1)
	v_readfirstlane_b32 s12, v12
	v_readfirstlane_b32 s13, v13
	s_and_b64 s[12:13], s[8:9], s[12:13]
	s_mul_i32 s14, s13, 24
	s_mul_hi_u32 s15, s12, 24
	s_mul_i32 s16, s12, 24
	s_add_i32 s14, s15, s14
	v_mov_b32_e32 v11, s14
	s_waitcnt vmcnt(0)
	v_add_co_u32_e32 v10, vcc, s16, v6
	v_addc_co_u32_e32 v11, vcc, v7, v11, vcc
	s_and_saveexec_b64 s[14:15], s[4:5]
	s_cbranch_execz .LBB2_8
; %bb.7:
	v_pk_mov_b32 v[12:13], s[10:11], s[10:11] op_sel:[0,1]
	v_mov_b32_e32 v14, 2
	v_mov_b32_e32 v15, 1
	global_store_dwordx4 v[10:11], v[12:15], off offset:8
.LBB2_8:
	s_or_b64 exec, exec, s[14:15]
	s_lshl_b64 s[10:11], s[12:13], 12
	v_mov_b32_e32 v12, s11
	v_add_co_u32_e32 v8, vcc, s10, v8
	v_addc_co_u32_e32 v9, vcc, v9, v12, vcc
	v_or_b32_e32 v12, 2, v0
	v_cmp_eq_u32_e32 vcc, 0, v4
	s_mov_b32 s12, 0
	v_cndmask_b32_e32 v0, v12, v0, vcc
	s_movk_i32 s10, 0xff1f
	v_and_or_b32 v0, v0, s10, 32
	v_lshlrev_b32_e32 v4, 6, v5
	v_readfirstlane_b32 s10, v8
	v_readfirstlane_b32 s11, v9
	s_mov_b32 s13, s12
	s_mov_b32 s14, s12
	;; [unrolled: 1-line block ×3, first 2 shown]
	s_nop 1
	global_store_dwordx4 v4, v[0:3], s[10:11]
	s_nop 0
	v_pk_mov_b32 v[0:1], s[12:13], s[12:13] op_sel:[0,1]
	v_pk_mov_b32 v[2:3], s[14:15], s[14:15] op_sel:[0,1]
	global_store_dwordx4 v4, v[0:3], s[10:11] offset:16
	global_store_dwordx4 v4, v[0:3], s[10:11] offset:32
	;; [unrolled: 1-line block ×3, first 2 shown]
	s_and_saveexec_b64 s[10:11], s[4:5]
	s_cbranch_execz .LBB2_16
; %bb.9:
	v_mov_b32_e32 v8, 0
	global_load_dwordx2 v[14:15], v8, s[6:7] offset:32 glc
	global_load_dwordx2 v[0:1], v8, s[6:7] offset:40
	v_mov_b32_e32 v12, s8
	v_mov_b32_e32 v13, s9
	s_waitcnt vmcnt(0)
	v_and_b32_e32 v0, s8, v0
	v_and_b32_e32 v1, s9, v1
	v_mul_lo_u32 v1, v1, 24
	v_mul_hi_u32 v2, v0, 24
	v_mul_lo_u32 v0, v0, 24
	v_add_u32_e32 v1, v2, v1
	v_add_co_u32_e32 v4, vcc, v6, v0
	v_addc_co_u32_e32 v5, vcc, v7, v1, vcc
	global_store_dwordx2 v[4:5], v[14:15], off
	buffer_wbl2
	s_waitcnt vmcnt(0)
	global_atomic_cmpswap_x2 v[2:3], v8, v[12:15], s[6:7] offset:32 glc
	s_waitcnt vmcnt(0)
	v_cmp_ne_u64_e32 vcc, v[2:3], v[14:15]
	s_and_saveexec_b64 s[12:13], vcc
	s_cbranch_execz .LBB2_12
; %bb.10:
	s_mov_b64 s[14:15], 0
.LBB2_11:                               ; =>This Inner Loop Header: Depth=1
	s_sleep 1
	global_store_dwordx2 v[4:5], v[2:3], off
	v_mov_b32_e32 v0, s8
	v_mov_b32_e32 v1, s9
	buffer_wbl2
	s_waitcnt vmcnt(0)
	global_atomic_cmpswap_x2 v[0:1], v8, v[0:3], s[6:7] offset:32 glc
	s_waitcnt vmcnt(0)
	v_cmp_eq_u64_e32 vcc, v[0:1], v[2:3]
	s_or_b64 s[14:15], vcc, s[14:15]
	v_pk_mov_b32 v[2:3], v[0:1], v[0:1] op_sel:[0,1]
	s_andn2_b64 exec, exec, s[14:15]
	s_cbranch_execnz .LBB2_11
.LBB2_12:
	s_or_b64 exec, exec, s[12:13]
	v_mov_b32_e32 v3, 0
	global_load_dwordx2 v[0:1], v3, s[6:7] offset:16
	s_mov_b64 s[12:13], exec
	v_mbcnt_lo_u32_b32 v2, s12, 0
	v_mbcnt_hi_u32_b32 v2, s13, v2
	v_cmp_eq_u32_e32 vcc, 0, v2
	s_and_saveexec_b64 s[14:15], vcc
	s_cbranch_execz .LBB2_14
; %bb.13:
	s_bcnt1_i32_b64 s12, s[12:13]
	v_mov_b32_e32 v2, s12
	buffer_wbl2
	s_waitcnt vmcnt(0)
	global_atomic_add_x2 v[0:1], v[2:3], off offset:8
.LBB2_14:
	s_or_b64 exec, exec, s[14:15]
	s_waitcnt vmcnt(0)
	global_load_dwordx2 v[2:3], v[0:1], off offset:16
	s_waitcnt vmcnt(0)
	v_cmp_eq_u64_e32 vcc, 0, v[2:3]
	s_cbranch_vccnz .LBB2_16
; %bb.15:
	global_load_dword v0, v[0:1], off offset:24
	v_mov_b32_e32 v1, 0
	buffer_wbl2
	s_waitcnt vmcnt(0)
	global_store_dwordx2 v[2:3], v[0:1], off
	v_and_b32_e32 v0, 0xffffff, v0
	v_readfirstlane_b32 m0, v0
	s_sendmsg sendmsg(MSG_INTERRUPT)
.LBB2_16:
	s_or_b64 exec, exec, s[10:11]
	s_branch .LBB2_20
.LBB2_17:                               ;   in Loop: Header=BB2_20 Depth=1
	s_or_b64 exec, exec, s[10:11]
	v_readfirstlane_b32 s10, v0
	s_cmp_eq_u32 s10, 0
	s_cbranch_scc1 .LBB2_19
; %bb.18:                               ;   in Loop: Header=BB2_20 Depth=1
	s_sleep 1
	s_cbranch_execnz .LBB2_20
	s_branch .LBB2_22
.LBB2_19:
	s_branch .LBB2_22
.LBB2_20:                               ; =>This Inner Loop Header: Depth=1
	v_mov_b32_e32 v0, 1
	s_and_saveexec_b64 s[10:11], s[4:5]
	s_cbranch_execz .LBB2_17
; %bb.21:                               ;   in Loop: Header=BB2_20 Depth=1
	global_load_dword v0, v[10:11], off offset:20 glc
	s_waitcnt vmcnt(0)
	buffer_invl2
	buffer_wbinvl1_vol
	v_and_b32_e32 v0, 1, v0
	s_branch .LBB2_17
.LBB2_22:
	s_and_saveexec_b64 s[10:11], s[4:5]
	s_cbranch_execz .LBB2_25
; %bb.23:
	v_mov_b32_e32 v6, 0
	global_load_dwordx2 v[4:5], v6, s[6:7] offset:40
	global_load_dwordx2 v[8:9], v6, s[6:7] offset:24 glc
	global_load_dwordx2 v[10:11], v6, s[6:7]
	v_mov_b32_e32 v1, s9
	s_mov_b64 s[4:5], 0
	s_waitcnt vmcnt(2)
	v_add_co_u32_e32 v3, vcc, 1, v4
	v_addc_co_u32_e32 v7, vcc, 0, v5, vcc
	v_add_co_u32_e32 v0, vcc, s8, v3
	v_addc_co_u32_e32 v1, vcc, v7, v1, vcc
	v_cmp_eq_u64_e32 vcc, 0, v[0:1]
	v_cndmask_b32_e32 v1, v1, v7, vcc
	v_cndmask_b32_e32 v0, v0, v3, vcc
	v_and_b32_e32 v3, v1, v5
	v_and_b32_e32 v4, v0, v4
	v_mul_lo_u32 v3, v3, 24
	v_mul_hi_u32 v5, v4, 24
	v_mul_lo_u32 v4, v4, 24
	v_add_u32_e32 v3, v5, v3
	s_waitcnt vmcnt(0)
	v_add_co_u32_e32 v4, vcc, v10, v4
	v_addc_co_u32_e32 v5, vcc, v11, v3, vcc
	v_mov_b32_e32 v2, v8
	global_store_dwordx2 v[4:5], v[8:9], off
	v_mov_b32_e32 v3, v9
	buffer_wbl2
	s_waitcnt vmcnt(0)
	global_atomic_cmpswap_x2 v[2:3], v6, v[0:3], s[6:7] offset:24 glc
	s_waitcnt vmcnt(0)
	v_cmp_ne_u64_e32 vcc, v[2:3], v[8:9]
	s_and_b64 exec, exec, vcc
	s_cbranch_execz .LBB2_25
.LBB2_24:                               ; =>This Inner Loop Header: Depth=1
	s_sleep 1
	global_store_dwordx2 v[4:5], v[2:3], off
	buffer_wbl2
	s_waitcnt vmcnt(0)
	global_atomic_cmpswap_x2 v[8:9], v6, v[0:3], s[6:7] offset:24 glc
	s_waitcnt vmcnt(0)
	v_cmp_eq_u64_e32 vcc, v[8:9], v[2:3]
	s_or_b64 s[4:5], vcc, s[4:5]
	v_pk_mov_b32 v[2:3], v[8:9], v[8:9] op_sel:[0,1]
	s_andn2_b64 exec, exec, s[4:5]
	s_cbranch_execnz .LBB2_24
.LBB2_25:
	s_or_b64 exec, exec, s[10:11]
	s_waitcnt vmcnt(0) lgkmcnt(0)
	s_setpc_b64 s[30:31]
.Lfunc_end2:
	.size	__ockl_printf_append_args, .Lfunc_end2-__ockl_printf_append_args
                                        ; -- End function
	.section	.AMDGPU.csdata,"",@progbits
; Function info:
; codeLenInByte = 1284
; NumSgprs: 36
; NumVgprs: 16
; NumAgprs: 0
; TotalNumVgprs: 16
; ScratchSize: 0
; MemoryBound: 0
	.text
	.p2align	2                               ; -- Begin function _ZL14no_device_codePKciS0_iS0_
	.type	_ZL14no_device_codePKciS0_iS0_,@function
_ZL14no_device_codePKciS0_iS0_:         ; @_ZL14no_device_codePKciS0_iS0_
; %bb.0:
	s_waitcnt vmcnt(0) expcnt(0) lgkmcnt(0)
	s_mov_b32 s25, s33
	s_mov_b32 s33, s32
	s_xor_saveexec_b64 s[4:5], -1
	buffer_store_dword v38, off, s[0:3], s33 ; 4-byte Folded Spill
	s_mov_b64 exec, s[4:5]
	v_writelane_b32 v38, s30, 0
	s_addk_i32 s32, 0x400
	v_writelane_b32 v38, s31, 1
	s_load_dwordx2 s[6:7], s[8:9], 0x50
	v_mbcnt_lo_u32_b32 v0, -1, 0
	v_mbcnt_hi_u32_b32 v35, -1, v0
	v_readfirstlane_b32 s4, v35
	s_mov_b64 s[26:27], s[8:9]
	v_cmp_eq_u32_e64 s[4:5], s4, v35
	v_pk_mov_b32 v[6:7], 0, 0
	s_and_saveexec_b64 s[10:11], s[4:5]
	s_cbranch_execz .LBB3_6
; %bb.1:
	v_mov_b32_e32 v0, 0
	s_waitcnt lgkmcnt(0)
	global_load_dwordx2 v[4:5], v0, s[6:7] offset:24 glc
	s_waitcnt vmcnt(0)
	buffer_invl2
	buffer_wbinvl1_vol
	global_load_dwordx2 v[2:3], v0, s[6:7] offset:40
	global_load_dwordx2 v[6:7], v0, s[6:7]
	s_waitcnt vmcnt(1)
	v_and_b32_e32 v1, v2, v4
	v_and_b32_e32 v2, v3, v5
	v_mul_lo_u32 v2, v2, 24
	v_mul_hi_u32 v3, v1, 24
	v_mul_lo_u32 v1, v1, 24
	v_add_u32_e32 v3, v3, v2
	s_waitcnt vmcnt(0)
	v_add_co_u32_e32 v2, vcc, v6, v1
	v_addc_co_u32_e32 v3, vcc, v7, v3, vcc
	global_load_dwordx2 v[2:3], v[2:3], off glc
	s_waitcnt vmcnt(0)
	global_atomic_cmpswap_x2 v[6:7], v0, v[2:5], s[6:7] offset:24 glc
	s_waitcnt vmcnt(0)
	buffer_invl2
	buffer_wbinvl1_vol
	v_cmp_ne_u64_e32 vcc, v[6:7], v[4:5]
	s_and_saveexec_b64 s[12:13], vcc
	s_cbranch_execz .LBB3_5
; %bb.2:
	s_mov_b64 s[14:15], 0
.LBB3_3:                                ; =>This Inner Loop Header: Depth=1
	s_sleep 1
	global_load_dwordx2 v[2:3], v0, s[6:7] offset:40
	global_load_dwordx2 v[8:9], v0, s[6:7]
	v_pk_mov_b32 v[4:5], v[6:7], v[6:7] op_sel:[0,1]
	s_waitcnt vmcnt(1)
	v_and_b32_e32 v2, v2, v4
	v_and_b32_e32 v1, v3, v5
	s_waitcnt vmcnt(0)
	v_mad_u64_u32 v[2:3], s[16:17], v2, 24, v[8:9]
	v_mov_b32_e32 v6, v3
	v_mad_u64_u32 v[6:7], s[16:17], v1, 24, v[6:7]
	v_mov_b32_e32 v3, v6
	global_load_dwordx2 v[2:3], v[2:3], off glc
	s_waitcnt vmcnt(0)
	global_atomic_cmpswap_x2 v[6:7], v0, v[2:5], s[6:7] offset:24 glc
	s_waitcnt vmcnt(0)
	buffer_invl2
	buffer_wbinvl1_vol
	v_cmp_eq_u64_e32 vcc, v[6:7], v[4:5]
	s_or_b64 s[14:15], vcc, s[14:15]
	s_andn2_b64 exec, exec, s[14:15]
	s_cbranch_execnz .LBB3_3
; %bb.4:
	s_or_b64 exec, exec, s[14:15]
.LBB3_5:
	s_or_b64 exec, exec, s[12:13]
.LBB3_6:
	s_or_b64 exec, exec, s[10:11]
	v_mov_b32_e32 v5, 0
	s_waitcnt lgkmcnt(0)
	global_load_dwordx2 v[8:9], v5, s[6:7] offset:40
	global_load_dwordx4 v[0:3], v5, s[6:7]
	v_readfirstlane_b32 s10, v6
	v_readfirstlane_b32 s11, v7
	s_mov_b64 s[12:13], exec
	s_waitcnt vmcnt(1)
	v_readfirstlane_b32 s14, v8
	v_readfirstlane_b32 s15, v9
	s_and_b64 s[14:15], s[10:11], s[14:15]
	s_mul_i32 s16, s15, 24
	s_mul_hi_u32 s17, s14, 24
	s_mul_i32 s18, s14, 24
	s_add_i32 s16, s17, s16
	v_mov_b32_e32 v4, s16
	s_waitcnt vmcnt(0)
	v_add_co_u32_e32 v8, vcc, s18, v0
	v_addc_co_u32_e32 v9, vcc, v1, v4, vcc
	s_and_saveexec_b64 s[16:17], s[4:5]
	s_cbranch_execz .LBB3_8
; %bb.7:
	v_pk_mov_b32 v[10:11], s[12:13], s[12:13] op_sel:[0,1]
	v_mov_b32_e32 v12, 2
	v_mov_b32_e32 v13, 1
	global_store_dwordx4 v[8:9], v[10:13], off offset:8
.LBB3_8:
	s_or_b64 exec, exec, s[16:17]
	s_lshl_b64 s[12:13], s[14:15], 12
	v_mov_b32_e32 v4, s13
	v_add_co_u32_e32 v2, vcc, s12, v2
	v_addc_co_u32_e32 v3, vcc, v3, v4, vcc
	s_mov_b32 s12, 0
	v_lshlrev_b32_e32 v34, 6, v35
	v_add_co_u32_e32 v10, vcc, v2, v34
	v_mov_b32_e32 v4, 33
	v_mov_b32_e32 v6, v5
	;; [unrolled: 1-line block ×3, first 2 shown]
	v_readfirstlane_b32 s16, v2
	v_readfirstlane_b32 s17, v3
	s_mov_b32 s13, s12
	v_addc_co_u32_e32 v11, vcc, 0, v3, vcc
	s_mov_b32 s14, s12
	s_mov_b32 s15, s12
	s_nop 0
	global_store_dwordx4 v34, v[4:7], s[16:17]
	v_pk_mov_b32 v[2:3], s[12:13], s[12:13] op_sel:[0,1]
	v_pk_mov_b32 v[4:5], s[14:15], s[14:15] op_sel:[0,1]
	global_store_dwordx4 v34, v[2:5], s[16:17] offset:16
	global_store_dwordx4 v34, v[2:5], s[16:17] offset:32
	;; [unrolled: 1-line block ×3, first 2 shown]
	s_and_saveexec_b64 s[12:13], s[4:5]
	s_cbranch_execz .LBB3_16
; %bb.9:
	v_mov_b32_e32 v6, 0
	global_load_dwordx2 v[14:15], v6, s[6:7] offset:32 glc
	global_load_dwordx2 v[2:3], v6, s[6:7] offset:40
	v_mov_b32_e32 v12, s10
	v_mov_b32_e32 v13, s11
	s_waitcnt vmcnt(0)
	v_and_b32_e32 v2, s10, v2
	v_and_b32_e32 v3, s11, v3
	v_mul_lo_u32 v3, v3, 24
	v_mul_hi_u32 v4, v2, 24
	v_mul_lo_u32 v2, v2, 24
	v_add_u32_e32 v3, v4, v3
	v_add_co_u32_e32 v4, vcc, v0, v2
	v_addc_co_u32_e32 v5, vcc, v1, v3, vcc
	global_store_dwordx2 v[4:5], v[14:15], off
	buffer_wbl2
	s_waitcnt vmcnt(0)
	global_atomic_cmpswap_x2 v[2:3], v6, v[12:15], s[6:7] offset:32 glc
	s_waitcnt vmcnt(0)
	v_cmp_ne_u64_e32 vcc, v[2:3], v[14:15]
	s_and_saveexec_b64 s[14:15], vcc
	s_cbranch_execz .LBB3_12
; %bb.10:
	s_mov_b64 s[16:17], 0
.LBB3_11:                               ; =>This Inner Loop Header: Depth=1
	s_sleep 1
	global_store_dwordx2 v[4:5], v[2:3], off
	v_mov_b32_e32 v0, s10
	v_mov_b32_e32 v1, s11
	buffer_wbl2
	s_waitcnt vmcnt(0)
	global_atomic_cmpswap_x2 v[0:1], v6, v[0:3], s[6:7] offset:32 glc
	s_waitcnt vmcnt(0)
	v_cmp_eq_u64_e32 vcc, v[0:1], v[2:3]
	s_or_b64 s[16:17], vcc, s[16:17]
	v_pk_mov_b32 v[2:3], v[0:1], v[0:1] op_sel:[0,1]
	s_andn2_b64 exec, exec, s[16:17]
	s_cbranch_execnz .LBB3_11
.LBB3_12:
	s_or_b64 exec, exec, s[14:15]
	v_mov_b32_e32 v3, 0
	global_load_dwordx2 v[0:1], v3, s[6:7] offset:16
	s_mov_b64 s[14:15], exec
	v_mbcnt_lo_u32_b32 v2, s14, 0
	v_mbcnt_hi_u32_b32 v2, s15, v2
	v_cmp_eq_u32_e32 vcc, 0, v2
	s_and_saveexec_b64 s[16:17], vcc
	s_cbranch_execz .LBB3_14
; %bb.13:
	s_bcnt1_i32_b64 s14, s[14:15]
	v_mov_b32_e32 v2, s14
	buffer_wbl2
	s_waitcnt vmcnt(0)
	global_atomic_add_x2 v[0:1], v[2:3], off offset:8
.LBB3_14:
	s_or_b64 exec, exec, s[16:17]
	s_waitcnt vmcnt(0)
	global_load_dwordx2 v[2:3], v[0:1], off offset:16
	s_waitcnt vmcnt(0)
	v_cmp_eq_u64_e32 vcc, 0, v[2:3]
	s_cbranch_vccnz .LBB3_16
; %bb.15:
	global_load_dword v0, v[0:1], off offset:24
	v_mov_b32_e32 v1, 0
	buffer_wbl2
	s_waitcnt vmcnt(0)
	global_store_dwordx2 v[2:3], v[0:1], off
	v_and_b32_e32 v0, 0xffffff, v0
	v_readfirstlane_b32 m0, v0
	s_sendmsg sendmsg(MSG_INTERRUPT)
.LBB3_16:
	s_or_b64 exec, exec, s[12:13]
	s_branch .LBB3_20
.LBB3_17:                               ;   in Loop: Header=BB3_20 Depth=1
	s_or_b64 exec, exec, s[12:13]
	v_readfirstlane_b32 s12, v0
	s_cmp_eq_u32 s12, 0
	s_cbranch_scc1 .LBB3_19
; %bb.18:                               ;   in Loop: Header=BB3_20 Depth=1
	s_sleep 1
	s_cbranch_execnz .LBB3_20
	s_branch .LBB3_22
.LBB3_19:
	s_branch .LBB3_22
.LBB3_20:                               ; =>This Inner Loop Header: Depth=1
	v_mov_b32_e32 v0, 1
	s_and_saveexec_b64 s[12:13], s[4:5]
	s_cbranch_execz .LBB3_17
; %bb.21:                               ;   in Loop: Header=BB3_20 Depth=1
	global_load_dword v0, v[8:9], off offset:20 glc
	s_waitcnt vmcnt(0)
	buffer_invl2
	buffer_wbinvl1_vol
	v_and_b32_e32 v0, 1, v0
	s_branch .LBB3_17
.LBB3_22:
	global_load_dwordx2 v[4:5], v[10:11], off
	s_and_saveexec_b64 s[12:13], s[4:5]
	s_cbranch_execz .LBB3_25
; %bb.23:
	v_mov_b32_e32 v8, 0
	global_load_dwordx2 v[6:7], v8, s[6:7] offset:40
	global_load_dwordx2 v[10:11], v8, s[6:7] offset:24 glc
	global_load_dwordx2 v[12:13], v8, s[6:7]
	v_mov_b32_e32 v1, s11
	s_mov_b64 s[4:5], 0
	s_waitcnt vmcnt(2)
	v_add_co_u32_e32 v3, vcc, 1, v6
	v_addc_co_u32_e32 v9, vcc, 0, v7, vcc
	v_add_co_u32_e32 v0, vcc, s10, v3
	v_addc_co_u32_e32 v1, vcc, v9, v1, vcc
	v_cmp_eq_u64_e32 vcc, 0, v[0:1]
	v_cndmask_b32_e32 v1, v1, v9, vcc
	v_cndmask_b32_e32 v0, v0, v3, vcc
	v_and_b32_e32 v3, v1, v7
	v_and_b32_e32 v6, v0, v6
	v_mul_lo_u32 v3, v3, 24
	v_mul_hi_u32 v7, v6, 24
	v_mul_lo_u32 v6, v6, 24
	v_add_u32_e32 v3, v7, v3
	s_waitcnt vmcnt(0)
	v_add_co_u32_e32 v6, vcc, v12, v6
	v_addc_co_u32_e32 v7, vcc, v13, v3, vcc
	v_mov_b32_e32 v2, v10
	global_store_dwordx2 v[6:7], v[10:11], off
	v_mov_b32_e32 v3, v11
	buffer_wbl2
	s_waitcnt vmcnt(0)
	global_atomic_cmpswap_x2 v[2:3], v8, v[0:3], s[6:7] offset:24 glc
	s_waitcnt vmcnt(0)
	v_cmp_ne_u64_e32 vcc, v[2:3], v[10:11]
	s_and_b64 exec, exec, vcc
	s_cbranch_execz .LBB3_25
.LBB3_24:                               ; =>This Inner Loop Header: Depth=1
	s_sleep 1
	global_store_dwordx2 v[6:7], v[2:3], off
	buffer_wbl2
	s_waitcnt vmcnt(0)
	global_atomic_cmpswap_x2 v[10:11], v8, v[0:3], s[6:7] offset:24 glc
	s_waitcnt vmcnt(0)
	v_cmp_eq_u64_e32 vcc, v[10:11], v[2:3]
	s_or_b64 s[4:5], vcc, s[4:5]
	v_pk_mov_b32 v[2:3], v[10:11], v[10:11] op_sel:[0,1]
	s_andn2_b64 exec, exec, s[4:5]
	s_cbranch_execnz .LBB3_24
.LBB3_25:
	s_or_b64 exec, exec, s[12:13]
	s_getpc_b64 s[10:11]
	s_add_u32 s10, s10, .str.3@rel32@lo+4
	s_addc_u32 s11, s11, .str.3@rel32@hi+12
	s_cmp_lg_u64 s[10:11], 0
	s_cbranch_scc0 .LBB3_109
; %bb.26:
	s_waitcnt vmcnt(0)
	v_and_b32_e32 v26, 2, v4
	v_mov_b32_e32 v29, 0
	v_and_b32_e32 v0, -3, v4
	v_mov_b32_e32 v1, v5
	s_mov_b64 s[12:13], 0x4d
	v_mov_b32_e32 v8, 2
	v_mov_b32_e32 v9, 1
	s_branch .LBB3_28
.LBB3_27:                               ;   in Loop: Header=BB3_28 Depth=1
	s_or_b64 exec, exec, s[18:19]
	s_sub_u32 s12, s12, s14
	s_subb_u32 s13, s13, s15
	s_add_u32 s10, s10, s14
	s_addc_u32 s11, s11, s15
	s_cmp_lg_u64 s[12:13], 0
	s_cbranch_scc0 .LBB3_110
.LBB3_28:                               ; =>This Loop Header: Depth=1
                                        ;     Child Loop BB3_31 Depth 2
                                        ;     Child Loop BB3_38 Depth 2
	;; [unrolled: 1-line block ×11, first 2 shown]
	v_cmp_lt_u64_e64 s[4:5], s[12:13], 56
	s_and_b64 s[4:5], s[4:5], exec
	v_cmp_gt_u64_e64 s[4:5], s[12:13], 7
	s_cselect_b32 s15, s13, 0
	s_cselect_b32 s14, s12, 56
	s_and_b64 vcc, exec, s[4:5]
	s_cbranch_vccnz .LBB3_33
; %bb.29:                               ;   in Loop: Header=BB3_28 Depth=1
	s_mov_b64 s[4:5], 0
	s_cmp_eq_u64 s[12:13], 0
	s_waitcnt vmcnt(0)
	v_pk_mov_b32 v[2:3], 0, 0
	s_cbranch_scc1 .LBB3_32
; %bb.30:                               ;   in Loop: Header=BB3_28 Depth=1
	s_lshl_b64 s[16:17], s[14:15], 3
	s_mov_b64 s[18:19], 0
	v_pk_mov_b32 v[2:3], 0, 0
	s_mov_b64 s[20:21], s[10:11]
.LBB3_31:                               ;   Parent Loop BB3_28 Depth=1
                                        ; =>  This Inner Loop Header: Depth=2
	global_load_ubyte v6, v29, s[20:21]
	s_waitcnt vmcnt(0)
	v_and_b32_e32 v28, 0xffff, v6
	v_lshlrev_b64 v[6:7], s18, v[28:29]
	s_add_u32 s18, s18, 8
	s_addc_u32 s19, s19, 0
	s_add_u32 s20, s20, 1
	s_addc_u32 s21, s21, 0
	v_or_b32_e32 v2, v6, v2
	s_cmp_lg_u32 s16, s18
	v_or_b32_e32 v3, v7, v3
	s_cbranch_scc1 .LBB3_31
.LBB3_32:                               ;   in Loop: Header=BB3_28 Depth=1
	s_mov_b32 s20, 0
	s_andn2_b64 vcc, exec, s[4:5]
	s_mov_b64 s[4:5], s[10:11]
	s_cbranch_vccz .LBB3_34
	s_branch .LBB3_35
.LBB3_33:                               ;   in Loop: Header=BB3_28 Depth=1
                                        ; implicit-def: $vgpr2_vgpr3
                                        ; implicit-def: $sgpr20
	s_mov_b64 s[4:5], s[10:11]
.LBB3_34:                               ;   in Loop: Header=BB3_28 Depth=1
	global_load_dwordx2 v[2:3], v29, s[10:11]
	s_add_i32 s20, s14, -8
	s_add_u32 s4, s10, 8
	s_addc_u32 s5, s11, 0
.LBB3_35:                               ;   in Loop: Header=BB3_28 Depth=1
	s_cmp_gt_u32 s20, 7
	s_cbranch_scc1 .LBB3_39
; %bb.36:                               ;   in Loop: Header=BB3_28 Depth=1
	s_cmp_eq_u32 s20, 0
	s_cbranch_scc1 .LBB3_40
; %bb.37:                               ;   in Loop: Header=BB3_28 Depth=1
	s_mov_b64 s[16:17], 0
	v_pk_mov_b32 v[10:11], 0, 0
	s_mov_b64 s[18:19], 0
.LBB3_38:                               ;   Parent Loop BB3_28 Depth=1
                                        ; =>  This Inner Loop Header: Depth=2
	s_add_u32 s22, s4, s18
	s_addc_u32 s23, s5, s19
	global_load_ubyte v6, v29, s[22:23]
	s_add_u32 s18, s18, 1
	s_addc_u32 s19, s19, 0
	s_waitcnt vmcnt(0)
	v_and_b32_e32 v28, 0xffff, v6
	v_lshlrev_b64 v[6:7], s16, v[28:29]
	s_add_u32 s16, s16, 8
	s_addc_u32 s17, s17, 0
	v_or_b32_e32 v10, v6, v10
	s_cmp_lg_u32 s20, s18
	v_or_b32_e32 v11, v7, v11
	s_cbranch_scc1 .LBB3_38
	s_branch .LBB3_41
.LBB3_39:                               ;   in Loop: Header=BB3_28 Depth=1
                                        ; implicit-def: $vgpr10_vgpr11
                                        ; implicit-def: $sgpr21
	s_branch .LBB3_42
.LBB3_40:                               ;   in Loop: Header=BB3_28 Depth=1
	v_pk_mov_b32 v[10:11], 0, 0
.LBB3_41:                               ;   in Loop: Header=BB3_28 Depth=1
	s_mov_b32 s21, 0
	s_cbranch_execnz .LBB3_43
.LBB3_42:                               ;   in Loop: Header=BB3_28 Depth=1
	global_load_dwordx2 v[10:11], v29, s[4:5]
	s_add_i32 s21, s20, -8
	s_add_u32 s4, s4, 8
	s_addc_u32 s5, s5, 0
.LBB3_43:                               ;   in Loop: Header=BB3_28 Depth=1
	s_cmp_gt_u32 s21, 7
	s_cbranch_scc1 .LBB3_47
; %bb.44:                               ;   in Loop: Header=BB3_28 Depth=1
	s_cmp_eq_u32 s21, 0
	s_cbranch_scc1 .LBB3_48
; %bb.45:                               ;   in Loop: Header=BB3_28 Depth=1
	s_mov_b64 s[16:17], 0
	v_pk_mov_b32 v[12:13], 0, 0
	s_mov_b64 s[18:19], 0
.LBB3_46:                               ;   Parent Loop BB3_28 Depth=1
                                        ; =>  This Inner Loop Header: Depth=2
	s_add_u32 s22, s4, s18
	s_addc_u32 s23, s5, s19
	global_load_ubyte v6, v29, s[22:23]
	s_add_u32 s18, s18, 1
	s_addc_u32 s19, s19, 0
	s_waitcnt vmcnt(0)
	v_and_b32_e32 v28, 0xffff, v6
	v_lshlrev_b64 v[6:7], s16, v[28:29]
	s_add_u32 s16, s16, 8
	s_addc_u32 s17, s17, 0
	v_or_b32_e32 v12, v6, v12
	s_cmp_lg_u32 s21, s18
	v_or_b32_e32 v13, v7, v13
	s_cbranch_scc1 .LBB3_46
	s_branch .LBB3_49
.LBB3_47:                               ;   in Loop: Header=BB3_28 Depth=1
                                        ; implicit-def: $sgpr20
	s_branch .LBB3_50
.LBB3_48:                               ;   in Loop: Header=BB3_28 Depth=1
	v_pk_mov_b32 v[12:13], 0, 0
.LBB3_49:                               ;   in Loop: Header=BB3_28 Depth=1
	s_mov_b32 s20, 0
	s_cbranch_execnz .LBB3_51
.LBB3_50:                               ;   in Loop: Header=BB3_28 Depth=1
	global_load_dwordx2 v[12:13], v29, s[4:5]
	s_add_i32 s20, s21, -8
	s_add_u32 s4, s4, 8
	s_addc_u32 s5, s5, 0
.LBB3_51:                               ;   in Loop: Header=BB3_28 Depth=1
	s_cmp_gt_u32 s20, 7
	s_cbranch_scc1 .LBB3_55
; %bb.52:                               ;   in Loop: Header=BB3_28 Depth=1
	s_cmp_eq_u32 s20, 0
	s_cbranch_scc1 .LBB3_56
; %bb.53:                               ;   in Loop: Header=BB3_28 Depth=1
	s_mov_b64 s[16:17], 0
	v_pk_mov_b32 v[14:15], 0, 0
	s_mov_b64 s[18:19], 0
.LBB3_54:                               ;   Parent Loop BB3_28 Depth=1
                                        ; =>  This Inner Loop Header: Depth=2
	s_add_u32 s22, s4, s18
	s_addc_u32 s23, s5, s19
	global_load_ubyte v6, v29, s[22:23]
	s_add_u32 s18, s18, 1
	s_addc_u32 s19, s19, 0
	s_waitcnt vmcnt(0)
	v_and_b32_e32 v28, 0xffff, v6
	v_lshlrev_b64 v[6:7], s16, v[28:29]
	s_add_u32 s16, s16, 8
	s_addc_u32 s17, s17, 0
	v_or_b32_e32 v14, v6, v14
	s_cmp_lg_u32 s20, s18
	v_or_b32_e32 v15, v7, v15
	s_cbranch_scc1 .LBB3_54
	s_branch .LBB3_57
.LBB3_55:                               ;   in Loop: Header=BB3_28 Depth=1
                                        ; implicit-def: $vgpr14_vgpr15
                                        ; implicit-def: $sgpr21
	s_branch .LBB3_58
.LBB3_56:                               ;   in Loop: Header=BB3_28 Depth=1
	v_pk_mov_b32 v[14:15], 0, 0
.LBB3_57:                               ;   in Loop: Header=BB3_28 Depth=1
	s_mov_b32 s21, 0
	s_cbranch_execnz .LBB3_59
.LBB3_58:                               ;   in Loop: Header=BB3_28 Depth=1
	global_load_dwordx2 v[14:15], v29, s[4:5]
	s_add_i32 s21, s20, -8
	s_add_u32 s4, s4, 8
	s_addc_u32 s5, s5, 0
.LBB3_59:                               ;   in Loop: Header=BB3_28 Depth=1
	s_cmp_gt_u32 s21, 7
	s_cbranch_scc1 .LBB3_63
; %bb.60:                               ;   in Loop: Header=BB3_28 Depth=1
	s_cmp_eq_u32 s21, 0
	s_cbranch_scc1 .LBB3_64
; %bb.61:                               ;   in Loop: Header=BB3_28 Depth=1
	s_mov_b64 s[16:17], 0
	v_pk_mov_b32 v[16:17], 0, 0
	s_mov_b64 s[18:19], 0
.LBB3_62:                               ;   Parent Loop BB3_28 Depth=1
                                        ; =>  This Inner Loop Header: Depth=2
	s_add_u32 s22, s4, s18
	s_addc_u32 s23, s5, s19
	global_load_ubyte v6, v29, s[22:23]
	s_add_u32 s18, s18, 1
	s_addc_u32 s19, s19, 0
	s_waitcnt vmcnt(0)
	v_and_b32_e32 v28, 0xffff, v6
	v_lshlrev_b64 v[6:7], s16, v[28:29]
	s_add_u32 s16, s16, 8
	s_addc_u32 s17, s17, 0
	v_or_b32_e32 v16, v6, v16
	s_cmp_lg_u32 s21, s18
	v_or_b32_e32 v17, v7, v17
	s_cbranch_scc1 .LBB3_62
	s_branch .LBB3_65
.LBB3_63:                               ;   in Loop: Header=BB3_28 Depth=1
                                        ; implicit-def: $sgpr20
	s_branch .LBB3_66
.LBB3_64:                               ;   in Loop: Header=BB3_28 Depth=1
	v_pk_mov_b32 v[16:17], 0, 0
.LBB3_65:                               ;   in Loop: Header=BB3_28 Depth=1
	s_mov_b32 s20, 0
	s_cbranch_execnz .LBB3_67
.LBB3_66:                               ;   in Loop: Header=BB3_28 Depth=1
	global_load_dwordx2 v[16:17], v29, s[4:5]
	s_add_i32 s20, s21, -8
	s_add_u32 s4, s4, 8
	s_addc_u32 s5, s5, 0
.LBB3_67:                               ;   in Loop: Header=BB3_28 Depth=1
	s_cmp_gt_u32 s20, 7
	s_cbranch_scc1 .LBB3_71
; %bb.68:                               ;   in Loop: Header=BB3_28 Depth=1
	s_cmp_eq_u32 s20, 0
	s_cbranch_scc1 .LBB3_72
; %bb.69:                               ;   in Loop: Header=BB3_28 Depth=1
	s_mov_b64 s[16:17], 0
	v_pk_mov_b32 v[18:19], 0, 0
	s_mov_b64 s[18:19], 0
.LBB3_70:                               ;   Parent Loop BB3_28 Depth=1
                                        ; =>  This Inner Loop Header: Depth=2
	s_add_u32 s22, s4, s18
	s_addc_u32 s23, s5, s19
	global_load_ubyte v6, v29, s[22:23]
	s_add_u32 s18, s18, 1
	s_addc_u32 s19, s19, 0
	s_waitcnt vmcnt(0)
	v_and_b32_e32 v28, 0xffff, v6
	v_lshlrev_b64 v[6:7], s16, v[28:29]
	s_add_u32 s16, s16, 8
	s_addc_u32 s17, s17, 0
	v_or_b32_e32 v18, v6, v18
	s_cmp_lg_u32 s20, s18
	v_or_b32_e32 v19, v7, v19
	s_cbranch_scc1 .LBB3_70
	s_branch .LBB3_73
.LBB3_71:                               ;   in Loop: Header=BB3_28 Depth=1
                                        ; implicit-def: $vgpr18_vgpr19
                                        ; implicit-def: $sgpr21
	s_branch .LBB3_74
.LBB3_72:                               ;   in Loop: Header=BB3_28 Depth=1
	v_pk_mov_b32 v[18:19], 0, 0
.LBB3_73:                               ;   in Loop: Header=BB3_28 Depth=1
	s_mov_b32 s21, 0
	s_cbranch_execnz .LBB3_75
.LBB3_74:                               ;   in Loop: Header=BB3_28 Depth=1
	global_load_dwordx2 v[18:19], v29, s[4:5]
	s_add_i32 s21, s20, -8
	s_add_u32 s4, s4, 8
	s_addc_u32 s5, s5, 0
.LBB3_75:                               ;   in Loop: Header=BB3_28 Depth=1
	s_cmp_gt_u32 s21, 7
	s_cbranch_scc1 .LBB3_79
; %bb.76:                               ;   in Loop: Header=BB3_28 Depth=1
	s_cmp_eq_u32 s21, 0
	s_cbranch_scc1 .LBB3_80
; %bb.77:                               ;   in Loop: Header=BB3_28 Depth=1
	s_mov_b64 s[16:17], 0
	v_pk_mov_b32 v[20:21], 0, 0
	s_mov_b64 s[18:19], s[4:5]
.LBB3_78:                               ;   Parent Loop BB3_28 Depth=1
                                        ; =>  This Inner Loop Header: Depth=2
	global_load_ubyte v6, v29, s[18:19]
	s_add_i32 s21, s21, -1
	s_waitcnt vmcnt(0)
	v_and_b32_e32 v28, 0xffff, v6
	v_lshlrev_b64 v[6:7], s16, v[28:29]
	s_add_u32 s16, s16, 8
	s_addc_u32 s17, s17, 0
	s_add_u32 s18, s18, 1
	s_addc_u32 s19, s19, 0
	v_or_b32_e32 v20, v6, v20
	s_cmp_lg_u32 s21, 0
	v_or_b32_e32 v21, v7, v21
	s_cbranch_scc1 .LBB3_78
	s_branch .LBB3_81
.LBB3_79:                               ;   in Loop: Header=BB3_28 Depth=1
	s_branch .LBB3_82
.LBB3_80:                               ;   in Loop: Header=BB3_28 Depth=1
	v_pk_mov_b32 v[20:21], 0, 0
.LBB3_81:                               ;   in Loop: Header=BB3_28 Depth=1
	s_cbranch_execnz .LBB3_83
.LBB3_82:                               ;   in Loop: Header=BB3_28 Depth=1
	global_load_dwordx2 v[20:21], v29, s[4:5]
.LBB3_83:                               ;   in Loop: Header=BB3_28 Depth=1
	v_readfirstlane_b32 s4, v35
	v_cmp_eq_u32_e64 s[4:5], s4, v35
	v_pk_mov_b32 v[6:7], 0, 0
	s_and_saveexec_b64 s[16:17], s[4:5]
	s_cbranch_execz .LBB3_89
; %bb.84:                               ;   in Loop: Header=BB3_28 Depth=1
	global_load_dwordx2 v[24:25], v29, s[6:7] offset:24 glc
	s_waitcnt vmcnt(0)
	buffer_invl2
	buffer_wbinvl1_vol
	global_load_dwordx2 v[6:7], v29, s[6:7] offset:40
	global_load_dwordx2 v[22:23], v29, s[6:7]
	s_waitcnt vmcnt(1)
	v_and_b32_e32 v6, v6, v24
	v_and_b32_e32 v7, v7, v25
	v_mul_lo_u32 v7, v7, 24
	v_mul_hi_u32 v27, v6, 24
	v_mul_lo_u32 v6, v6, 24
	v_add_u32_e32 v7, v27, v7
	s_waitcnt vmcnt(0)
	v_add_co_u32_e32 v6, vcc, v22, v6
	v_addc_co_u32_e32 v7, vcc, v23, v7, vcc
	global_load_dwordx2 v[22:23], v[6:7], off glc
	s_waitcnt vmcnt(0)
	global_atomic_cmpswap_x2 v[6:7], v29, v[22:25], s[6:7] offset:24 glc
	s_waitcnt vmcnt(0)
	buffer_invl2
	buffer_wbinvl1_vol
	v_cmp_ne_u64_e32 vcc, v[6:7], v[24:25]
	s_and_saveexec_b64 s[18:19], vcc
	s_cbranch_execz .LBB3_88
; %bb.85:                               ;   in Loop: Header=BB3_28 Depth=1
	s_mov_b64 s[20:21], 0
.LBB3_86:                               ;   Parent Loop BB3_28 Depth=1
                                        ; =>  This Inner Loop Header: Depth=2
	s_sleep 1
	global_load_dwordx2 v[22:23], v29, s[6:7] offset:40
	global_load_dwordx2 v[30:31], v29, s[6:7]
	v_pk_mov_b32 v[24:25], v[6:7], v[6:7] op_sel:[0,1]
	s_waitcnt vmcnt(1)
	v_and_b32_e32 v6, v22, v24
	s_waitcnt vmcnt(0)
	v_mad_u64_u32 v[6:7], s[22:23], v6, 24, v[30:31]
	v_and_b32_e32 v23, v23, v25
	v_mov_b32_e32 v22, v7
	v_mad_u64_u32 v[22:23], s[22:23], v23, 24, v[22:23]
	v_mov_b32_e32 v7, v22
	global_load_dwordx2 v[22:23], v[6:7], off glc
	s_waitcnt vmcnt(0)
	global_atomic_cmpswap_x2 v[6:7], v29, v[22:25], s[6:7] offset:24 glc
	s_waitcnt vmcnt(0)
	buffer_invl2
	buffer_wbinvl1_vol
	v_cmp_eq_u64_e32 vcc, v[6:7], v[24:25]
	s_or_b64 s[20:21], vcc, s[20:21]
	s_andn2_b64 exec, exec, s[20:21]
	s_cbranch_execnz .LBB3_86
; %bb.87:                               ;   in Loop: Header=BB3_28 Depth=1
	s_or_b64 exec, exec, s[20:21]
.LBB3_88:                               ;   in Loop: Header=BB3_28 Depth=1
	s_or_b64 exec, exec, s[18:19]
.LBB3_89:                               ;   in Loop: Header=BB3_28 Depth=1
	s_or_b64 exec, exec, s[16:17]
	global_load_dwordx2 v[30:31], v29, s[6:7] offset:40
	global_load_dwordx4 v[22:25], v29, s[6:7]
	v_readfirstlane_b32 s16, v6
	v_readfirstlane_b32 s17, v7
	s_mov_b64 s[18:19], exec
	s_waitcnt vmcnt(1)
	v_readfirstlane_b32 s20, v30
	v_readfirstlane_b32 s21, v31
	s_and_b64 s[20:21], s[16:17], s[20:21]
	s_mul_i32 s22, s21, 24
	s_mul_hi_u32 s23, s20, 24
	s_mul_i32 s24, s20, 24
	s_add_i32 s22, s23, s22
	v_mov_b32_e32 v6, s22
	s_waitcnt vmcnt(0)
	v_add_co_u32_e32 v30, vcc, s24, v22
	v_addc_co_u32_e32 v31, vcc, v23, v6, vcc
	s_and_saveexec_b64 s[22:23], s[4:5]
	s_cbranch_execz .LBB3_91
; %bb.90:                               ;   in Loop: Header=BB3_28 Depth=1
	v_pk_mov_b32 v[6:7], s[18:19], s[18:19] op_sel:[0,1]
	global_store_dwordx4 v[30:31], v[6:9], off offset:8
.LBB3_91:                               ;   in Loop: Header=BB3_28 Depth=1
	s_or_b64 exec, exec, s[22:23]
	s_lshl_b64 s[18:19], s[20:21], 12
	v_mov_b32_e32 v7, s19
	v_add_co_u32_e32 v6, vcc, s18, v24
	v_addc_co_u32_e32 v7, vcc, v25, v7, vcc
	v_or_b32_e32 v25, v0, v26
	v_cmp_gt_u64_e64 vcc, s[12:13], 56
	s_lshl_b32 s18, s14, 2
	v_cndmask_b32_e32 v0, v25, v0, vcc
	s_add_i32 s18, s18, 28
	v_or_b32_e32 v24, 0, v1
	s_and_b32 s18, s18, 0x1e0
	v_and_b32_e32 v0, 0xffffff1f, v0
	v_cndmask_b32_e32 v1, v24, v1, vcc
	v_or_b32_e32 v0, s18, v0
	v_readfirstlane_b32 s18, v6
	v_readfirstlane_b32 s19, v7
	s_nop 4
	global_store_dwordx4 v34, v[0:3], s[18:19]
	global_store_dwordx4 v34, v[10:13], s[18:19] offset:16
	global_store_dwordx4 v34, v[14:17], s[18:19] offset:32
	;; [unrolled: 1-line block ×3, first 2 shown]
	s_and_saveexec_b64 s[18:19], s[4:5]
	s_cbranch_execz .LBB3_99
; %bb.92:                               ;   in Loop: Header=BB3_28 Depth=1
	global_load_dwordx2 v[14:15], v29, s[6:7] offset:32 glc
	global_load_dwordx2 v[0:1], v29, s[6:7] offset:40
	v_mov_b32_e32 v12, s16
	v_mov_b32_e32 v13, s17
	s_waitcnt vmcnt(0)
	v_readfirstlane_b32 s20, v0
	v_readfirstlane_b32 s21, v1
	s_and_b64 s[20:21], s[20:21], s[16:17]
	s_mul_i32 s21, s21, 24
	s_mul_hi_u32 s22, s20, 24
	s_mul_i32 s20, s20, 24
	s_add_i32 s21, s22, s21
	v_mov_b32_e32 v0, s21
	v_add_co_u32_e32 v10, vcc, s20, v22
	v_addc_co_u32_e32 v11, vcc, v23, v0, vcc
	global_store_dwordx2 v[10:11], v[14:15], off
	buffer_wbl2
	s_waitcnt vmcnt(0)
	global_atomic_cmpswap_x2 v[2:3], v29, v[12:15], s[6:7] offset:32 glc
	s_waitcnt vmcnt(0)
	v_cmp_ne_u64_e32 vcc, v[2:3], v[14:15]
	s_and_saveexec_b64 s[20:21], vcc
	s_cbranch_execz .LBB3_95
; %bb.93:                               ;   in Loop: Header=BB3_28 Depth=1
	s_mov_b64 s[22:23], 0
.LBB3_94:                               ;   Parent Loop BB3_28 Depth=1
                                        ; =>  This Inner Loop Header: Depth=2
	s_sleep 1
	global_store_dwordx2 v[10:11], v[2:3], off
	v_mov_b32_e32 v0, s16
	v_mov_b32_e32 v1, s17
	buffer_wbl2
	s_waitcnt vmcnt(0)
	global_atomic_cmpswap_x2 v[0:1], v29, v[0:3], s[6:7] offset:32 glc
	s_waitcnt vmcnt(0)
	v_cmp_eq_u64_e32 vcc, v[0:1], v[2:3]
	s_or_b64 s[22:23], vcc, s[22:23]
	v_pk_mov_b32 v[2:3], v[0:1], v[0:1] op_sel:[0,1]
	s_andn2_b64 exec, exec, s[22:23]
	s_cbranch_execnz .LBB3_94
.LBB3_95:                               ;   in Loop: Header=BB3_28 Depth=1
	s_or_b64 exec, exec, s[20:21]
	global_load_dwordx2 v[0:1], v29, s[6:7] offset:16
	s_mov_b64 s[22:23], exec
	v_mbcnt_lo_u32_b32 v2, s22, 0
	v_mbcnt_hi_u32_b32 v2, s23, v2
	v_cmp_eq_u32_e32 vcc, 0, v2
	s_and_saveexec_b64 s[20:21], vcc
	s_cbranch_execz .LBB3_97
; %bb.96:                               ;   in Loop: Header=BB3_28 Depth=1
	s_bcnt1_i32_b64 s22, s[22:23]
	v_mov_b32_e32 v28, s22
	buffer_wbl2
	s_waitcnt vmcnt(0)
	global_atomic_add_x2 v[0:1], v[28:29], off offset:8
.LBB3_97:                               ;   in Loop: Header=BB3_28 Depth=1
	s_or_b64 exec, exec, s[20:21]
	s_waitcnt vmcnt(0)
	global_load_dwordx2 v[2:3], v[0:1], off offset:16
	s_waitcnt vmcnt(0)
	v_cmp_eq_u64_e32 vcc, 0, v[2:3]
	s_cbranch_vccnz .LBB3_99
; %bb.98:                               ;   in Loop: Header=BB3_28 Depth=1
	global_load_dword v28, v[0:1], off offset:24
	s_waitcnt vmcnt(0)
	v_and_b32_e32 v0, 0xffffff, v28
	v_readfirstlane_b32 m0, v0
	buffer_wbl2
	global_store_dwordx2 v[2:3], v[28:29], off
	s_sendmsg sendmsg(MSG_INTERRUPT)
.LBB3_99:                               ;   in Loop: Header=BB3_28 Depth=1
	s_or_b64 exec, exec, s[18:19]
	v_add_co_u32_e32 v0, vcc, v6, v34
	v_addc_co_u32_e32 v1, vcc, 0, v7, vcc
	s_branch .LBB3_103
.LBB3_100:                              ;   in Loop: Header=BB3_103 Depth=2
	s_or_b64 exec, exec, s[18:19]
	v_readfirstlane_b32 s18, v2
	s_cmp_eq_u32 s18, 0
	s_cbranch_scc1 .LBB3_102
; %bb.101:                              ;   in Loop: Header=BB3_103 Depth=2
	s_sleep 1
	s_cbranch_execnz .LBB3_103
	s_branch .LBB3_105
.LBB3_102:                              ;   in Loop: Header=BB3_28 Depth=1
	s_branch .LBB3_105
.LBB3_103:                              ;   Parent Loop BB3_28 Depth=1
                                        ; =>  This Inner Loop Header: Depth=2
	v_mov_b32_e32 v2, 1
	s_and_saveexec_b64 s[18:19], s[4:5]
	s_cbranch_execz .LBB3_100
; %bb.104:                              ;   in Loop: Header=BB3_103 Depth=2
	global_load_dword v2, v[30:31], off offset:20 glc
	s_waitcnt vmcnt(0)
	buffer_invl2
	buffer_wbinvl1_vol
	v_and_b32_e32 v2, 1, v2
	s_branch .LBB3_100
.LBB3_105:                              ;   in Loop: Header=BB3_28 Depth=1
	global_load_dwordx4 v[0:3], v[0:1], off
	s_and_saveexec_b64 s[18:19], s[4:5]
	s_cbranch_execz .LBB3_27
; %bb.106:                              ;   in Loop: Header=BB3_28 Depth=1
	global_load_dwordx2 v[2:3], v29, s[6:7] offset:40
	global_load_dwordx2 v[6:7], v29, s[6:7] offset:24 glc
	global_load_dwordx2 v[14:15], v29, s[6:7]
	v_mov_b32_e32 v11, s17
	s_waitcnt vmcnt(2)
	v_add_co_u32_e32 v13, vcc, 1, v2
	v_addc_co_u32_e32 v16, vcc, 0, v3, vcc
	v_add_co_u32_e32 v10, vcc, s16, v13
	v_addc_co_u32_e32 v11, vcc, v16, v11, vcc
	v_cmp_eq_u64_e32 vcc, 0, v[10:11]
	v_cndmask_b32_e32 v11, v11, v16, vcc
	v_cndmask_b32_e32 v10, v10, v13, vcc
	v_and_b32_e32 v3, v11, v3
	v_and_b32_e32 v2, v10, v2
	v_mul_lo_u32 v3, v3, 24
	v_mul_hi_u32 v13, v2, 24
	v_mul_lo_u32 v2, v2, 24
	v_add_u32_e32 v3, v13, v3
	s_waitcnt vmcnt(0)
	v_add_co_u32_e32 v2, vcc, v14, v2
	v_addc_co_u32_e32 v3, vcc, v15, v3, vcc
	v_mov_b32_e32 v12, v6
	global_store_dwordx2 v[2:3], v[6:7], off
	v_mov_b32_e32 v13, v7
	buffer_wbl2
	s_waitcnt vmcnt(0)
	global_atomic_cmpswap_x2 v[12:13], v29, v[10:13], s[6:7] offset:24 glc
	s_waitcnt vmcnt(0)
	v_cmp_ne_u64_e32 vcc, v[12:13], v[6:7]
	s_and_b64 exec, exec, vcc
	s_cbranch_execz .LBB3_27
; %bb.107:                              ;   in Loop: Header=BB3_28 Depth=1
	s_mov_b64 s[4:5], 0
.LBB3_108:                              ;   Parent Loop BB3_28 Depth=1
                                        ; =>  This Inner Loop Header: Depth=2
	s_sleep 1
	global_store_dwordx2 v[2:3], v[12:13], off
	buffer_wbl2
	s_waitcnt vmcnt(0)
	global_atomic_cmpswap_x2 v[6:7], v29, v[10:13], s[6:7] offset:24 glc
	s_waitcnt vmcnt(0)
	v_cmp_eq_u64_e32 vcc, v[6:7], v[12:13]
	s_or_b64 s[4:5], vcc, s[4:5]
	v_pk_mov_b32 v[12:13], v[6:7], v[6:7] op_sel:[0,1]
	s_andn2_b64 exec, exec, s[4:5]
	s_cbranch_execnz .LBB3_108
	s_branch .LBB3_27
.LBB3_109:
                                        ; implicit-def: $vgpr0_vgpr1
	s_cbranch_execnz .LBB3_111
	s_branch .LBB3_137
.LBB3_110:
	s_branch .LBB3_137
.LBB3_111:
	v_readfirstlane_b32 s4, v35
	v_cmp_eq_u32_e64 s[4:5], s4, v35
	v_pk_mov_b32 v[8:9], 0, 0
	s_and_saveexec_b64 s[10:11], s[4:5]
	s_cbranch_execz .LBB3_117
; %bb.112:
	s_waitcnt vmcnt(0)
	v_mov_b32_e32 v0, 0
	global_load_dwordx2 v[10:11], v0, s[6:7] offset:24 glc
	s_waitcnt vmcnt(0)
	buffer_invl2
	buffer_wbinvl1_vol
	global_load_dwordx2 v[2:3], v0, s[6:7] offset:40
	global_load_dwordx2 v[6:7], v0, s[6:7]
	s_waitcnt vmcnt(1)
	v_and_b32_e32 v1, v2, v10
	v_and_b32_e32 v2, v3, v11
	v_mul_lo_u32 v2, v2, 24
	v_mul_hi_u32 v3, v1, 24
	v_mul_lo_u32 v1, v1, 24
	v_add_u32_e32 v3, v3, v2
	s_waitcnt vmcnt(0)
	v_add_co_u32_e32 v2, vcc, v6, v1
	v_addc_co_u32_e32 v3, vcc, v7, v3, vcc
	global_load_dwordx2 v[8:9], v[2:3], off glc
	s_waitcnt vmcnt(0)
	global_atomic_cmpswap_x2 v[8:9], v0, v[8:11], s[6:7] offset:24 glc
	s_waitcnt vmcnt(0)
	buffer_invl2
	buffer_wbinvl1_vol
	v_cmp_ne_u64_e32 vcc, v[8:9], v[10:11]
	s_and_saveexec_b64 s[12:13], vcc
	s_cbranch_execz .LBB3_116
; %bb.113:
	s_mov_b64 s[14:15], 0
.LBB3_114:                              ; =>This Inner Loop Header: Depth=1
	s_sleep 1
	global_load_dwordx2 v[2:3], v0, s[6:7] offset:40
	global_load_dwordx2 v[6:7], v0, s[6:7]
	v_pk_mov_b32 v[10:11], v[8:9], v[8:9] op_sel:[0,1]
	s_waitcnt vmcnt(1)
	v_and_b32_e32 v2, v2, v10
	v_and_b32_e32 v1, v3, v11
	s_waitcnt vmcnt(0)
	v_mad_u64_u32 v[2:3], s[16:17], v2, 24, v[6:7]
	v_mov_b32_e32 v6, v3
	v_mad_u64_u32 v[6:7], s[16:17], v1, 24, v[6:7]
	v_mov_b32_e32 v3, v6
	global_load_dwordx2 v[8:9], v[2:3], off glc
	s_waitcnt vmcnt(0)
	global_atomic_cmpswap_x2 v[8:9], v0, v[8:11], s[6:7] offset:24 glc
	s_waitcnt vmcnt(0)
	buffer_invl2
	buffer_wbinvl1_vol
	v_cmp_eq_u64_e32 vcc, v[8:9], v[10:11]
	s_or_b64 s[14:15], vcc, s[14:15]
	s_andn2_b64 exec, exec, s[14:15]
	s_cbranch_execnz .LBB3_114
; %bb.115:
	s_or_b64 exec, exec, s[14:15]
.LBB3_116:
	s_or_b64 exec, exec, s[12:13]
.LBB3_117:
	s_or_b64 exec, exec, s[10:11]
	v_mov_b32_e32 v6, 0
	global_load_dwordx2 v[10:11], v6, s[6:7] offset:40
	global_load_dwordx4 v[0:3], v6, s[6:7]
	v_readfirstlane_b32 s10, v8
	v_readfirstlane_b32 s11, v9
	s_mov_b64 s[12:13], exec
	s_waitcnt vmcnt(1)
	v_readfirstlane_b32 s14, v10
	v_readfirstlane_b32 s15, v11
	s_and_b64 s[14:15], s[10:11], s[14:15]
	s_mul_i32 s16, s15, 24
	s_mul_hi_u32 s17, s14, 24
	s_mul_i32 s18, s14, 24
	s_add_i32 s16, s17, s16
	v_mov_b32_e32 v7, s16
	s_waitcnt vmcnt(0)
	v_add_co_u32_e32 v8, vcc, s18, v0
	v_addc_co_u32_e32 v9, vcc, v1, v7, vcc
	s_and_saveexec_b64 s[16:17], s[4:5]
	s_cbranch_execz .LBB3_119
; %bb.118:
	v_pk_mov_b32 v[10:11], s[12:13], s[12:13] op_sel:[0,1]
	v_mov_b32_e32 v12, 2
	v_mov_b32_e32 v13, 1
	global_store_dwordx4 v[8:9], v[10:13], off offset:8
.LBB3_119:
	s_or_b64 exec, exec, s[16:17]
	s_lshl_b64 s[12:13], s[14:15], 12
	v_mov_b32_e32 v7, s13
	v_add_co_u32_e32 v2, vcc, s12, v2
	s_movk_i32 s12, 0xff1f
	v_addc_co_u32_e32 v3, vcc, v3, v7, vcc
	v_and_or_b32 v4, v4, s12, 32
	s_mov_b32 s12, 0
	v_add_co_u32_e32 v10, vcc, v2, v34
	v_mov_b32_e32 v7, v6
	v_readfirstlane_b32 s16, v2
	v_readfirstlane_b32 s17, v3
	s_mov_b32 s13, s12
	v_addc_co_u32_e32 v11, vcc, 0, v3, vcc
	s_mov_b32 s14, s12
	s_mov_b32 s15, s12
	s_nop 0
	global_store_dwordx4 v34, v[4:7], s[16:17]
	v_pk_mov_b32 v[2:3], s[12:13], s[12:13] op_sel:[0,1]
	v_pk_mov_b32 v[4:5], s[14:15], s[14:15] op_sel:[0,1]
	global_store_dwordx4 v34, v[2:5], s[16:17] offset:16
	global_store_dwordx4 v34, v[2:5], s[16:17] offset:32
	;; [unrolled: 1-line block ×3, first 2 shown]
	s_and_saveexec_b64 s[12:13], s[4:5]
	s_cbranch_execz .LBB3_127
; %bb.120:
	v_mov_b32_e32 v6, 0
	global_load_dwordx2 v[14:15], v6, s[6:7] offset:32 glc
	global_load_dwordx2 v[2:3], v6, s[6:7] offset:40
	v_mov_b32_e32 v12, s10
	v_mov_b32_e32 v13, s11
	s_waitcnt vmcnt(0)
	v_readfirstlane_b32 s14, v2
	v_readfirstlane_b32 s15, v3
	s_and_b64 s[14:15], s[14:15], s[10:11]
	s_mul_i32 s15, s15, 24
	s_mul_hi_u32 s16, s14, 24
	s_mul_i32 s14, s14, 24
	s_add_i32 s15, s16, s15
	v_mov_b32_e32 v2, s15
	v_add_co_u32_e32 v4, vcc, s14, v0
	v_addc_co_u32_e32 v5, vcc, v1, v2, vcc
	global_store_dwordx2 v[4:5], v[14:15], off
	buffer_wbl2
	s_waitcnt vmcnt(0)
	global_atomic_cmpswap_x2 v[2:3], v6, v[12:15], s[6:7] offset:32 glc
	s_waitcnt vmcnt(0)
	v_cmp_ne_u64_e32 vcc, v[2:3], v[14:15]
	s_and_saveexec_b64 s[14:15], vcc
	s_cbranch_execz .LBB3_123
; %bb.121:
	s_mov_b64 s[16:17], 0
.LBB3_122:                              ; =>This Inner Loop Header: Depth=1
	s_sleep 1
	global_store_dwordx2 v[4:5], v[2:3], off
	v_mov_b32_e32 v0, s10
	v_mov_b32_e32 v1, s11
	buffer_wbl2
	s_waitcnt vmcnt(0)
	global_atomic_cmpswap_x2 v[0:1], v6, v[0:3], s[6:7] offset:32 glc
	s_waitcnt vmcnt(0)
	v_cmp_eq_u64_e32 vcc, v[0:1], v[2:3]
	s_or_b64 s[16:17], vcc, s[16:17]
	v_pk_mov_b32 v[2:3], v[0:1], v[0:1] op_sel:[0,1]
	s_andn2_b64 exec, exec, s[16:17]
	s_cbranch_execnz .LBB3_122
.LBB3_123:
	s_or_b64 exec, exec, s[14:15]
	v_mov_b32_e32 v3, 0
	global_load_dwordx2 v[0:1], v3, s[6:7] offset:16
	s_mov_b64 s[14:15], exec
	v_mbcnt_lo_u32_b32 v2, s14, 0
	v_mbcnt_hi_u32_b32 v2, s15, v2
	v_cmp_eq_u32_e32 vcc, 0, v2
	s_and_saveexec_b64 s[16:17], vcc
	s_cbranch_execz .LBB3_125
; %bb.124:
	s_bcnt1_i32_b64 s14, s[14:15]
	v_mov_b32_e32 v2, s14
	buffer_wbl2
	s_waitcnt vmcnt(0)
	global_atomic_add_x2 v[0:1], v[2:3], off offset:8
.LBB3_125:
	s_or_b64 exec, exec, s[16:17]
	s_waitcnt vmcnt(0)
	global_load_dwordx2 v[2:3], v[0:1], off offset:16
	s_waitcnt vmcnt(0)
	v_cmp_eq_u64_e32 vcc, 0, v[2:3]
	s_cbranch_vccnz .LBB3_127
; %bb.126:
	global_load_dword v0, v[0:1], off offset:24
	v_mov_b32_e32 v1, 0
	buffer_wbl2
	s_waitcnt vmcnt(0)
	global_store_dwordx2 v[2:3], v[0:1], off
	v_and_b32_e32 v0, 0xffffff, v0
	v_readfirstlane_b32 m0, v0
	s_sendmsg sendmsg(MSG_INTERRUPT)
.LBB3_127:
	s_or_b64 exec, exec, s[12:13]
	s_branch .LBB3_131
.LBB3_128:                              ;   in Loop: Header=BB3_131 Depth=1
	s_or_b64 exec, exec, s[12:13]
	v_readfirstlane_b32 s12, v0
	s_cmp_eq_u32 s12, 0
	s_cbranch_scc1 .LBB3_130
; %bb.129:                              ;   in Loop: Header=BB3_131 Depth=1
	s_sleep 1
	s_cbranch_execnz .LBB3_131
	s_branch .LBB3_133
.LBB3_130:
	s_branch .LBB3_133
.LBB3_131:                              ; =>This Inner Loop Header: Depth=1
	v_mov_b32_e32 v0, 1
	s_and_saveexec_b64 s[12:13], s[4:5]
	s_cbranch_execz .LBB3_128
; %bb.132:                              ;   in Loop: Header=BB3_131 Depth=1
	global_load_dword v0, v[8:9], off offset:20 glc
	s_waitcnt vmcnt(0)
	buffer_invl2
	buffer_wbinvl1_vol
	v_and_b32_e32 v0, 1, v0
	s_branch .LBB3_128
.LBB3_133:
	global_load_dwordx2 v[0:1], v[10:11], off
	s_and_saveexec_b64 s[12:13], s[4:5]
	s_cbranch_execz .LBB3_136
; %bb.134:
	v_mov_b32_e32 v8, 0
	global_load_dwordx2 v[6:7], v8, s[6:7] offset:40
	global_load_dwordx2 v[10:11], v8, s[6:7] offset:24 glc
	global_load_dwordx2 v[12:13], v8, s[6:7]
	v_mov_b32_e32 v3, s11
	s_mov_b64 s[4:5], 0
	s_waitcnt vmcnt(2)
	v_add_co_u32_e32 v5, vcc, 1, v6
	v_addc_co_u32_e32 v9, vcc, 0, v7, vcc
	v_add_co_u32_e32 v2, vcc, s10, v5
	v_addc_co_u32_e32 v3, vcc, v9, v3, vcc
	v_cmp_eq_u64_e32 vcc, 0, v[2:3]
	v_cndmask_b32_e32 v3, v3, v9, vcc
	v_cndmask_b32_e32 v2, v2, v5, vcc
	v_and_b32_e32 v5, v3, v7
	v_and_b32_e32 v6, v2, v6
	v_mul_lo_u32 v5, v5, 24
	v_mul_hi_u32 v7, v6, 24
	v_mul_lo_u32 v6, v6, 24
	v_add_u32_e32 v5, v7, v5
	s_waitcnt vmcnt(0)
	v_add_co_u32_e32 v6, vcc, v12, v6
	v_addc_co_u32_e32 v7, vcc, v13, v5, vcc
	v_mov_b32_e32 v4, v10
	global_store_dwordx2 v[6:7], v[10:11], off
	v_mov_b32_e32 v5, v11
	buffer_wbl2
	s_waitcnt vmcnt(0)
	global_atomic_cmpswap_x2 v[4:5], v8, v[2:5], s[6:7] offset:24 glc
	s_waitcnt vmcnt(0)
	v_cmp_ne_u64_e32 vcc, v[4:5], v[10:11]
	s_and_b64 exec, exec, vcc
	s_cbranch_execz .LBB3_136
.LBB3_135:                              ; =>This Inner Loop Header: Depth=1
	s_sleep 1
	global_store_dwordx2 v[6:7], v[4:5], off
	buffer_wbl2
	s_waitcnt vmcnt(0)
	global_atomic_cmpswap_x2 v[10:11], v8, v[2:5], s[6:7] offset:24 glc
	s_waitcnt vmcnt(0)
	v_cmp_eq_u64_e32 vcc, v[10:11], v[4:5]
	s_or_b64 s[4:5], vcc, s[4:5]
	v_pk_mov_b32 v[4:5], v[10:11], v[10:11] op_sel:[0,1]
	s_andn2_b64 exec, exec, s[4:5]
	s_cbranch_execnz .LBB3_135
.LBB3_136:
	s_or_b64 exec, exec, s[12:13]
.LBB3_137:
	s_getpc_b64 s[10:11]
	s_add_u32 s10, s10, .str.1@rel32@lo+4
	s_addc_u32 s11, s11, .str.1@rel32@hi+12
	s_cmp_lg_u64 s[10:11], 0
	s_cselect_b64 s[4:5], -1, 0
	s_cmp_eq_u64 s[10:11], 0
	s_mov_b64 s[10:11], 0
	s_cbranch_scc1 .LBB3_141
; %bb.138:
	s_waitcnt vmcnt(0)
	v_mov_b32_e32 v2, 0
	s_getpc_b64 s[10:11]
	s_add_u32 s10, s10, .str.1@rel32@lo+3
	s_addc_u32 s11, s11, .str.1@rel32@hi+11
.LBB3_139:                              ; =>This Inner Loop Header: Depth=1
	global_load_ubyte v3, v2, s[10:11] offset:1
	s_add_u32 s12, s10, 1
	s_addc_u32 s13, s11, 0
	s_mov_b64 s[10:11], s[12:13]
	s_waitcnt vmcnt(0)
	v_cmp_ne_u16_e32 vcc, 0, v3
	s_cbranch_vccnz .LBB3_139
; %bb.140:
	s_getpc_b64 s[10:11]
	s_add_u32 s10, s10, .str.1@rel32@lo+4
	s_addc_u32 s11, s11, .str.1@rel32@hi+12
	s_sub_u32 s10, s12, s10
	s_subb_u32 s11, s13, s11
	s_add_u32 s10, s10, 1
	s_addc_u32 s11, s11, 0
.LBB3_141:
	s_and_b64 vcc, exec, s[4:5]
	s_cbranch_vccz .LBB3_225
; %bb.142:
	s_waitcnt vmcnt(0)
	v_and_b32_e32 v28, 2, v0
	v_mov_b32_e32 v31, 0
	v_and_b32_e32 v2, -3, v0
	v_mov_b32_e32 v3, v1
	v_mov_b32_e32 v6, 2
	;; [unrolled: 1-line block ×3, first 2 shown]
	s_getpc_b64 s[12:13]
	s_add_u32 s12, s12, .str.1@rel32@lo+4
	s_addc_u32 s13, s13, .str.1@rel32@hi+12
	s_branch .LBB3_144
.LBB3_143:                              ;   in Loop: Header=BB3_144 Depth=1
	s_or_b64 exec, exec, s[18:19]
	s_sub_u32 s10, s10, s14
	s_subb_u32 s11, s11, s15
	s_add_u32 s12, s12, s14
	s_addc_u32 s13, s13, s15
	s_cmp_lg_u64 s[10:11], 0
	s_cbranch_scc0 .LBB3_226
.LBB3_144:                              ; =>This Loop Header: Depth=1
                                        ;     Child Loop BB3_147 Depth 2
                                        ;     Child Loop BB3_154 Depth 2
	;; [unrolled: 1-line block ×11, first 2 shown]
	v_cmp_lt_u64_e64 s[4:5], s[10:11], 56
	s_and_b64 s[4:5], s[4:5], exec
	v_cmp_gt_u64_e64 s[4:5], s[10:11], 7
	s_cselect_b32 s15, s11, 0
	s_cselect_b32 s14, s10, 56
	s_and_b64 vcc, exec, s[4:5]
	s_cbranch_vccnz .LBB3_149
; %bb.145:                              ;   in Loop: Header=BB3_144 Depth=1
	s_mov_b64 s[4:5], 0
	s_cmp_eq_u64 s[10:11], 0
	v_pk_mov_b32 v[10:11], 0, 0
	s_cbranch_scc1 .LBB3_148
; %bb.146:                              ;   in Loop: Header=BB3_144 Depth=1
	s_lshl_b64 s[16:17], s[14:15], 3
	s_mov_b64 s[18:19], 0
	v_pk_mov_b32 v[10:11], 0, 0
	s_mov_b64 s[20:21], s[12:13]
.LBB3_147:                              ;   Parent Loop BB3_144 Depth=1
                                        ; =>  This Inner Loop Header: Depth=2
	global_load_ubyte v4, v31, s[20:21]
	s_waitcnt vmcnt(0)
	v_and_b32_e32 v30, 0xffff, v4
	v_lshlrev_b64 v[4:5], s18, v[30:31]
	s_add_u32 s18, s18, 8
	s_addc_u32 s19, s19, 0
	s_add_u32 s20, s20, 1
	s_addc_u32 s21, s21, 0
	v_or_b32_e32 v10, v4, v10
	s_cmp_lg_u32 s16, s18
	v_or_b32_e32 v11, v5, v11
	s_cbranch_scc1 .LBB3_147
.LBB3_148:                              ;   in Loop: Header=BB3_144 Depth=1
	s_mov_b32 s20, 0
	s_andn2_b64 vcc, exec, s[4:5]
	s_mov_b64 s[4:5], s[12:13]
	s_cbranch_vccz .LBB3_150
	s_branch .LBB3_151
.LBB3_149:                              ;   in Loop: Header=BB3_144 Depth=1
                                        ; implicit-def: $vgpr10_vgpr11
                                        ; implicit-def: $sgpr20
	s_mov_b64 s[4:5], s[12:13]
.LBB3_150:                              ;   in Loop: Header=BB3_144 Depth=1
	global_load_dwordx2 v[10:11], v31, s[12:13]
	s_add_i32 s20, s14, -8
	s_add_u32 s4, s12, 8
	s_addc_u32 s5, s13, 0
.LBB3_151:                              ;   in Loop: Header=BB3_144 Depth=1
	s_cmp_gt_u32 s20, 7
	s_cbranch_scc1 .LBB3_155
; %bb.152:                              ;   in Loop: Header=BB3_144 Depth=1
	s_cmp_eq_u32 s20, 0
	s_cbranch_scc1 .LBB3_156
; %bb.153:                              ;   in Loop: Header=BB3_144 Depth=1
	s_mov_b64 s[16:17], 0
	v_pk_mov_b32 v[12:13], 0, 0
	s_mov_b64 s[18:19], 0
.LBB3_154:                              ;   Parent Loop BB3_144 Depth=1
                                        ; =>  This Inner Loop Header: Depth=2
	s_add_u32 s22, s4, s18
	s_addc_u32 s23, s5, s19
	global_load_ubyte v4, v31, s[22:23]
	s_add_u32 s18, s18, 1
	s_addc_u32 s19, s19, 0
	s_waitcnt vmcnt(0)
	v_and_b32_e32 v30, 0xffff, v4
	v_lshlrev_b64 v[4:5], s16, v[30:31]
	s_add_u32 s16, s16, 8
	s_addc_u32 s17, s17, 0
	v_or_b32_e32 v12, v4, v12
	s_cmp_lg_u32 s20, s18
	v_or_b32_e32 v13, v5, v13
	s_cbranch_scc1 .LBB3_154
	s_branch .LBB3_157
.LBB3_155:                              ;   in Loop: Header=BB3_144 Depth=1
                                        ; implicit-def: $vgpr12_vgpr13
                                        ; implicit-def: $sgpr21
	s_branch .LBB3_158
.LBB3_156:                              ;   in Loop: Header=BB3_144 Depth=1
	v_pk_mov_b32 v[12:13], 0, 0
.LBB3_157:                              ;   in Loop: Header=BB3_144 Depth=1
	s_mov_b32 s21, 0
	s_cbranch_execnz .LBB3_159
.LBB3_158:                              ;   in Loop: Header=BB3_144 Depth=1
	global_load_dwordx2 v[12:13], v31, s[4:5]
	s_add_i32 s21, s20, -8
	s_add_u32 s4, s4, 8
	s_addc_u32 s5, s5, 0
.LBB3_159:                              ;   in Loop: Header=BB3_144 Depth=1
	s_cmp_gt_u32 s21, 7
	s_cbranch_scc1 .LBB3_163
; %bb.160:                              ;   in Loop: Header=BB3_144 Depth=1
	s_cmp_eq_u32 s21, 0
	s_cbranch_scc1 .LBB3_164
; %bb.161:                              ;   in Loop: Header=BB3_144 Depth=1
	s_mov_b64 s[16:17], 0
	v_pk_mov_b32 v[14:15], 0, 0
	s_mov_b64 s[18:19], 0
.LBB3_162:                              ;   Parent Loop BB3_144 Depth=1
                                        ; =>  This Inner Loop Header: Depth=2
	s_add_u32 s22, s4, s18
	s_addc_u32 s23, s5, s19
	global_load_ubyte v4, v31, s[22:23]
	s_add_u32 s18, s18, 1
	s_addc_u32 s19, s19, 0
	s_waitcnt vmcnt(0)
	v_and_b32_e32 v30, 0xffff, v4
	v_lshlrev_b64 v[4:5], s16, v[30:31]
	s_add_u32 s16, s16, 8
	s_addc_u32 s17, s17, 0
	v_or_b32_e32 v14, v4, v14
	s_cmp_lg_u32 s21, s18
	v_or_b32_e32 v15, v5, v15
	s_cbranch_scc1 .LBB3_162
	s_branch .LBB3_165
.LBB3_163:                              ;   in Loop: Header=BB3_144 Depth=1
                                        ; implicit-def: $sgpr20
	s_branch .LBB3_166
.LBB3_164:                              ;   in Loop: Header=BB3_144 Depth=1
	v_pk_mov_b32 v[14:15], 0, 0
.LBB3_165:                              ;   in Loop: Header=BB3_144 Depth=1
	s_mov_b32 s20, 0
	s_cbranch_execnz .LBB3_167
.LBB3_166:                              ;   in Loop: Header=BB3_144 Depth=1
	global_load_dwordx2 v[14:15], v31, s[4:5]
	s_add_i32 s20, s21, -8
	s_add_u32 s4, s4, 8
	s_addc_u32 s5, s5, 0
.LBB3_167:                              ;   in Loop: Header=BB3_144 Depth=1
	s_cmp_gt_u32 s20, 7
	s_cbranch_scc1 .LBB3_171
; %bb.168:                              ;   in Loop: Header=BB3_144 Depth=1
	s_cmp_eq_u32 s20, 0
	s_cbranch_scc1 .LBB3_172
; %bb.169:                              ;   in Loop: Header=BB3_144 Depth=1
	s_mov_b64 s[16:17], 0
	v_pk_mov_b32 v[16:17], 0, 0
	s_mov_b64 s[18:19], 0
.LBB3_170:                              ;   Parent Loop BB3_144 Depth=1
                                        ; =>  This Inner Loop Header: Depth=2
	s_add_u32 s22, s4, s18
	s_addc_u32 s23, s5, s19
	global_load_ubyte v4, v31, s[22:23]
	s_add_u32 s18, s18, 1
	s_addc_u32 s19, s19, 0
	s_waitcnt vmcnt(0)
	v_and_b32_e32 v30, 0xffff, v4
	v_lshlrev_b64 v[4:5], s16, v[30:31]
	s_add_u32 s16, s16, 8
	s_addc_u32 s17, s17, 0
	v_or_b32_e32 v16, v4, v16
	s_cmp_lg_u32 s20, s18
	v_or_b32_e32 v17, v5, v17
	s_cbranch_scc1 .LBB3_170
	s_branch .LBB3_173
.LBB3_171:                              ;   in Loop: Header=BB3_144 Depth=1
                                        ; implicit-def: $vgpr16_vgpr17
                                        ; implicit-def: $sgpr21
	s_branch .LBB3_174
.LBB3_172:                              ;   in Loop: Header=BB3_144 Depth=1
	v_pk_mov_b32 v[16:17], 0, 0
.LBB3_173:                              ;   in Loop: Header=BB3_144 Depth=1
	s_mov_b32 s21, 0
	s_cbranch_execnz .LBB3_175
.LBB3_174:                              ;   in Loop: Header=BB3_144 Depth=1
	global_load_dwordx2 v[16:17], v31, s[4:5]
	s_add_i32 s21, s20, -8
	s_add_u32 s4, s4, 8
	s_addc_u32 s5, s5, 0
.LBB3_175:                              ;   in Loop: Header=BB3_144 Depth=1
	s_cmp_gt_u32 s21, 7
	s_cbranch_scc1 .LBB3_179
; %bb.176:                              ;   in Loop: Header=BB3_144 Depth=1
	s_cmp_eq_u32 s21, 0
	s_cbranch_scc1 .LBB3_180
; %bb.177:                              ;   in Loop: Header=BB3_144 Depth=1
	s_mov_b64 s[16:17], 0
	v_pk_mov_b32 v[18:19], 0, 0
	s_mov_b64 s[18:19], 0
.LBB3_178:                              ;   Parent Loop BB3_144 Depth=1
                                        ; =>  This Inner Loop Header: Depth=2
	s_add_u32 s22, s4, s18
	s_addc_u32 s23, s5, s19
	global_load_ubyte v4, v31, s[22:23]
	s_add_u32 s18, s18, 1
	s_addc_u32 s19, s19, 0
	s_waitcnt vmcnt(0)
	v_and_b32_e32 v30, 0xffff, v4
	v_lshlrev_b64 v[4:5], s16, v[30:31]
	s_add_u32 s16, s16, 8
	s_addc_u32 s17, s17, 0
	v_or_b32_e32 v18, v4, v18
	s_cmp_lg_u32 s21, s18
	v_or_b32_e32 v19, v5, v19
	s_cbranch_scc1 .LBB3_178
	s_branch .LBB3_181
.LBB3_179:                              ;   in Loop: Header=BB3_144 Depth=1
                                        ; implicit-def: $sgpr20
	s_branch .LBB3_182
.LBB3_180:                              ;   in Loop: Header=BB3_144 Depth=1
	v_pk_mov_b32 v[18:19], 0, 0
.LBB3_181:                              ;   in Loop: Header=BB3_144 Depth=1
	s_mov_b32 s20, 0
	s_cbranch_execnz .LBB3_183
.LBB3_182:                              ;   in Loop: Header=BB3_144 Depth=1
	global_load_dwordx2 v[18:19], v31, s[4:5]
	s_add_i32 s20, s21, -8
	s_add_u32 s4, s4, 8
	s_addc_u32 s5, s5, 0
.LBB3_183:                              ;   in Loop: Header=BB3_144 Depth=1
	s_cmp_gt_u32 s20, 7
	s_cbranch_scc1 .LBB3_187
; %bb.184:                              ;   in Loop: Header=BB3_144 Depth=1
	s_cmp_eq_u32 s20, 0
	s_cbranch_scc1 .LBB3_188
; %bb.185:                              ;   in Loop: Header=BB3_144 Depth=1
	s_mov_b64 s[16:17], 0
	v_pk_mov_b32 v[20:21], 0, 0
	s_mov_b64 s[18:19], 0
.LBB3_186:                              ;   Parent Loop BB3_144 Depth=1
                                        ; =>  This Inner Loop Header: Depth=2
	s_add_u32 s22, s4, s18
	s_addc_u32 s23, s5, s19
	global_load_ubyte v4, v31, s[22:23]
	s_add_u32 s18, s18, 1
	s_addc_u32 s19, s19, 0
	s_waitcnt vmcnt(0)
	v_and_b32_e32 v30, 0xffff, v4
	v_lshlrev_b64 v[4:5], s16, v[30:31]
	s_add_u32 s16, s16, 8
	s_addc_u32 s17, s17, 0
	v_or_b32_e32 v20, v4, v20
	s_cmp_lg_u32 s20, s18
	v_or_b32_e32 v21, v5, v21
	s_cbranch_scc1 .LBB3_186
	s_branch .LBB3_189
.LBB3_187:                              ;   in Loop: Header=BB3_144 Depth=1
                                        ; implicit-def: $vgpr20_vgpr21
                                        ; implicit-def: $sgpr21
	s_branch .LBB3_190
.LBB3_188:                              ;   in Loop: Header=BB3_144 Depth=1
	v_pk_mov_b32 v[20:21], 0, 0
.LBB3_189:                              ;   in Loop: Header=BB3_144 Depth=1
	s_mov_b32 s21, 0
	s_cbranch_execnz .LBB3_191
.LBB3_190:                              ;   in Loop: Header=BB3_144 Depth=1
	global_load_dwordx2 v[20:21], v31, s[4:5]
	s_add_i32 s21, s20, -8
	s_add_u32 s4, s4, 8
	s_addc_u32 s5, s5, 0
.LBB3_191:                              ;   in Loop: Header=BB3_144 Depth=1
	s_cmp_gt_u32 s21, 7
	s_cbranch_scc1 .LBB3_195
; %bb.192:                              ;   in Loop: Header=BB3_144 Depth=1
	s_cmp_eq_u32 s21, 0
	s_cbranch_scc1 .LBB3_196
; %bb.193:                              ;   in Loop: Header=BB3_144 Depth=1
	s_mov_b64 s[16:17], 0
	v_pk_mov_b32 v[22:23], 0, 0
	s_mov_b64 s[18:19], s[4:5]
.LBB3_194:                              ;   Parent Loop BB3_144 Depth=1
                                        ; =>  This Inner Loop Header: Depth=2
	global_load_ubyte v4, v31, s[18:19]
	s_add_i32 s21, s21, -1
	s_waitcnt vmcnt(0)
	v_and_b32_e32 v30, 0xffff, v4
	v_lshlrev_b64 v[4:5], s16, v[30:31]
	s_add_u32 s16, s16, 8
	s_addc_u32 s17, s17, 0
	s_add_u32 s18, s18, 1
	s_addc_u32 s19, s19, 0
	v_or_b32_e32 v22, v4, v22
	s_cmp_lg_u32 s21, 0
	v_or_b32_e32 v23, v5, v23
	s_cbranch_scc1 .LBB3_194
	s_branch .LBB3_197
.LBB3_195:                              ;   in Loop: Header=BB3_144 Depth=1
	s_branch .LBB3_198
.LBB3_196:                              ;   in Loop: Header=BB3_144 Depth=1
	v_pk_mov_b32 v[22:23], 0, 0
.LBB3_197:                              ;   in Loop: Header=BB3_144 Depth=1
	s_cbranch_execnz .LBB3_199
.LBB3_198:                              ;   in Loop: Header=BB3_144 Depth=1
	global_load_dwordx2 v[22:23], v31, s[4:5]
.LBB3_199:                              ;   in Loop: Header=BB3_144 Depth=1
	v_readfirstlane_b32 s4, v35
	v_cmp_eq_u32_e64 s[4:5], s4, v35
	s_waitcnt vmcnt(0)
	v_pk_mov_b32 v[4:5], 0, 0
	s_and_saveexec_b64 s[16:17], s[4:5]
	s_cbranch_execz .LBB3_205
; %bb.200:                              ;   in Loop: Header=BB3_144 Depth=1
	global_load_dwordx2 v[26:27], v31, s[6:7] offset:24 glc
	s_waitcnt vmcnt(0)
	buffer_invl2
	buffer_wbinvl1_vol
	global_load_dwordx2 v[4:5], v31, s[6:7] offset:40
	global_load_dwordx2 v[8:9], v31, s[6:7]
	s_waitcnt vmcnt(1)
	v_and_b32_e32 v4, v4, v26
	v_and_b32_e32 v5, v5, v27
	v_mul_lo_u32 v5, v5, 24
	v_mul_hi_u32 v24, v4, 24
	v_mul_lo_u32 v4, v4, 24
	v_add_u32_e32 v5, v24, v5
	s_waitcnt vmcnt(0)
	v_add_co_u32_e32 v4, vcc, v8, v4
	v_addc_co_u32_e32 v5, vcc, v9, v5, vcc
	global_load_dwordx2 v[24:25], v[4:5], off glc
	s_waitcnt vmcnt(0)
	global_atomic_cmpswap_x2 v[4:5], v31, v[24:27], s[6:7] offset:24 glc
	s_waitcnt vmcnt(0)
	buffer_invl2
	buffer_wbinvl1_vol
	v_cmp_ne_u64_e32 vcc, v[4:5], v[26:27]
	s_and_saveexec_b64 s[18:19], vcc
	s_cbranch_execz .LBB3_204
; %bb.201:                              ;   in Loop: Header=BB3_144 Depth=1
	s_mov_b64 s[20:21], 0
.LBB3_202:                              ;   Parent Loop BB3_144 Depth=1
                                        ; =>  This Inner Loop Header: Depth=2
	s_sleep 1
	global_load_dwordx2 v[8:9], v31, s[6:7] offset:40
	global_load_dwordx2 v[24:25], v31, s[6:7]
	v_pk_mov_b32 v[26:27], v[4:5], v[4:5] op_sel:[0,1]
	s_waitcnt vmcnt(1)
	v_and_b32_e32 v4, v8, v26
	s_waitcnt vmcnt(0)
	v_mad_u64_u32 v[4:5], s[22:23], v4, 24, v[24:25]
	v_and_b32_e32 v9, v9, v27
	v_mov_b32_e32 v8, v5
	v_mad_u64_u32 v[8:9], s[22:23], v9, 24, v[8:9]
	v_mov_b32_e32 v5, v8
	global_load_dwordx2 v[24:25], v[4:5], off glc
	s_waitcnt vmcnt(0)
	global_atomic_cmpswap_x2 v[4:5], v31, v[24:27], s[6:7] offset:24 glc
	s_waitcnt vmcnt(0)
	buffer_invl2
	buffer_wbinvl1_vol
	v_cmp_eq_u64_e32 vcc, v[4:5], v[26:27]
	s_or_b64 s[20:21], vcc, s[20:21]
	s_andn2_b64 exec, exec, s[20:21]
	s_cbranch_execnz .LBB3_202
; %bb.203:                              ;   in Loop: Header=BB3_144 Depth=1
	s_or_b64 exec, exec, s[20:21]
.LBB3_204:                              ;   in Loop: Header=BB3_144 Depth=1
	s_or_b64 exec, exec, s[18:19]
.LBB3_205:                              ;   in Loop: Header=BB3_144 Depth=1
	s_or_b64 exec, exec, s[16:17]
	global_load_dwordx2 v[8:9], v31, s[6:7] offset:40
	global_load_dwordx4 v[24:27], v31, s[6:7]
	v_readfirstlane_b32 s16, v4
	v_readfirstlane_b32 s17, v5
	s_mov_b64 s[18:19], exec
	s_waitcnt vmcnt(1)
	v_readfirstlane_b32 s20, v8
	v_readfirstlane_b32 s21, v9
	s_and_b64 s[20:21], s[16:17], s[20:21]
	s_mul_i32 s22, s21, 24
	s_mul_hi_u32 s23, s20, 24
	s_mul_i32 s24, s20, 24
	s_add_i32 s22, s23, s22
	v_mov_b32_e32 v4, s22
	s_waitcnt vmcnt(0)
	v_add_co_u32_e32 v32, vcc, s24, v24
	v_addc_co_u32_e32 v33, vcc, v25, v4, vcc
	s_and_saveexec_b64 s[22:23], s[4:5]
	s_cbranch_execz .LBB3_207
; %bb.206:                              ;   in Loop: Header=BB3_144 Depth=1
	v_pk_mov_b32 v[4:5], s[18:19], s[18:19] op_sel:[0,1]
	global_store_dwordx4 v[32:33], v[4:7], off offset:8
.LBB3_207:                              ;   in Loop: Header=BB3_144 Depth=1
	s_or_b64 exec, exec, s[22:23]
	s_lshl_b64 s[18:19], s[20:21], 12
	v_mov_b32_e32 v4, s19
	v_add_co_u32_e32 v26, vcc, s18, v26
	v_addc_co_u32_e32 v27, vcc, v27, v4, vcc
	v_or_b32_e32 v5, v2, v28
	v_cmp_gt_u64_e64 vcc, s[10:11], 56
	s_lshl_b32 s18, s14, 2
	v_cndmask_b32_e32 v2, v5, v2, vcc
	s_add_i32 s18, s18, 28
	v_or_b32_e32 v4, 0, v3
	s_and_b32 s18, s18, 0x1e0
	v_and_b32_e32 v2, 0xffffff1f, v2
	v_cndmask_b32_e32 v9, v4, v3, vcc
	v_or_b32_e32 v8, s18, v2
	v_readfirstlane_b32 s18, v26
	v_readfirstlane_b32 s19, v27
	s_nop 4
	global_store_dwordx4 v34, v[8:11], s[18:19]
	global_store_dwordx4 v34, v[12:15], s[18:19] offset:16
	global_store_dwordx4 v34, v[16:19], s[18:19] offset:32
	;; [unrolled: 1-line block ×3, first 2 shown]
	s_and_saveexec_b64 s[18:19], s[4:5]
	s_cbranch_execz .LBB3_215
; %bb.208:                              ;   in Loop: Header=BB3_144 Depth=1
	global_load_dwordx2 v[12:13], v31, s[6:7] offset:32 glc
	global_load_dwordx2 v[2:3], v31, s[6:7] offset:40
	v_mov_b32_e32 v10, s16
	v_mov_b32_e32 v11, s17
	s_waitcnt vmcnt(0)
	v_readfirstlane_b32 s20, v2
	v_readfirstlane_b32 s21, v3
	s_and_b64 s[20:21], s[20:21], s[16:17]
	s_mul_i32 s21, s21, 24
	s_mul_hi_u32 s22, s20, 24
	s_mul_i32 s20, s20, 24
	s_add_i32 s21, s22, s21
	v_mov_b32_e32 v2, s21
	v_add_co_u32_e32 v8, vcc, s20, v24
	v_addc_co_u32_e32 v9, vcc, v25, v2, vcc
	global_store_dwordx2 v[8:9], v[12:13], off
	buffer_wbl2
	s_waitcnt vmcnt(0)
	global_atomic_cmpswap_x2 v[4:5], v31, v[10:13], s[6:7] offset:32 glc
	s_waitcnt vmcnt(0)
	v_cmp_ne_u64_e32 vcc, v[4:5], v[12:13]
	s_and_saveexec_b64 s[20:21], vcc
	s_cbranch_execz .LBB3_211
; %bb.209:                              ;   in Loop: Header=BB3_144 Depth=1
	s_mov_b64 s[22:23], 0
.LBB3_210:                              ;   Parent Loop BB3_144 Depth=1
                                        ; =>  This Inner Loop Header: Depth=2
	s_sleep 1
	global_store_dwordx2 v[8:9], v[4:5], off
	v_mov_b32_e32 v2, s16
	v_mov_b32_e32 v3, s17
	buffer_wbl2
	s_waitcnt vmcnt(0)
	global_atomic_cmpswap_x2 v[2:3], v31, v[2:5], s[6:7] offset:32 glc
	s_waitcnt vmcnt(0)
	v_cmp_eq_u64_e32 vcc, v[2:3], v[4:5]
	s_or_b64 s[22:23], vcc, s[22:23]
	v_pk_mov_b32 v[4:5], v[2:3], v[2:3] op_sel:[0,1]
	s_andn2_b64 exec, exec, s[22:23]
	s_cbranch_execnz .LBB3_210
.LBB3_211:                              ;   in Loop: Header=BB3_144 Depth=1
	s_or_b64 exec, exec, s[20:21]
	global_load_dwordx2 v[2:3], v31, s[6:7] offset:16
	s_mov_b64 s[22:23], exec
	v_mbcnt_lo_u32_b32 v4, s22, 0
	v_mbcnt_hi_u32_b32 v4, s23, v4
	v_cmp_eq_u32_e32 vcc, 0, v4
	s_and_saveexec_b64 s[20:21], vcc
	s_cbranch_execz .LBB3_213
; %bb.212:                              ;   in Loop: Header=BB3_144 Depth=1
	s_bcnt1_i32_b64 s22, s[22:23]
	v_mov_b32_e32 v30, s22
	buffer_wbl2
	s_waitcnt vmcnt(0)
	global_atomic_add_x2 v[2:3], v[30:31], off offset:8
.LBB3_213:                              ;   in Loop: Header=BB3_144 Depth=1
	s_or_b64 exec, exec, s[20:21]
	s_waitcnt vmcnt(0)
	global_load_dwordx2 v[4:5], v[2:3], off offset:16
	s_waitcnt vmcnt(0)
	v_cmp_eq_u64_e32 vcc, 0, v[4:5]
	s_cbranch_vccnz .LBB3_215
; %bb.214:                              ;   in Loop: Header=BB3_144 Depth=1
	global_load_dword v30, v[2:3], off offset:24
	s_waitcnt vmcnt(0)
	v_and_b32_e32 v2, 0xffffff, v30
	v_readfirstlane_b32 m0, v2
	buffer_wbl2
	global_store_dwordx2 v[4:5], v[30:31], off
	s_sendmsg sendmsg(MSG_INTERRUPT)
.LBB3_215:                              ;   in Loop: Header=BB3_144 Depth=1
	s_or_b64 exec, exec, s[18:19]
	v_add_co_u32_e32 v2, vcc, v26, v34
	v_addc_co_u32_e32 v3, vcc, 0, v27, vcc
	s_branch .LBB3_219
.LBB3_216:                              ;   in Loop: Header=BB3_219 Depth=2
	s_or_b64 exec, exec, s[18:19]
	v_readfirstlane_b32 s18, v4
	s_cmp_eq_u32 s18, 0
	s_cbranch_scc1 .LBB3_218
; %bb.217:                              ;   in Loop: Header=BB3_219 Depth=2
	s_sleep 1
	s_cbranch_execnz .LBB3_219
	s_branch .LBB3_221
.LBB3_218:                              ;   in Loop: Header=BB3_144 Depth=1
	s_branch .LBB3_221
.LBB3_219:                              ;   Parent Loop BB3_144 Depth=1
                                        ; =>  This Inner Loop Header: Depth=2
	v_mov_b32_e32 v4, 1
	s_and_saveexec_b64 s[18:19], s[4:5]
	s_cbranch_execz .LBB3_216
; %bb.220:                              ;   in Loop: Header=BB3_219 Depth=2
	global_load_dword v4, v[32:33], off offset:20 glc
	s_waitcnt vmcnt(0)
	buffer_invl2
	buffer_wbinvl1_vol
	v_and_b32_e32 v4, 1, v4
	s_branch .LBB3_216
.LBB3_221:                              ;   in Loop: Header=BB3_144 Depth=1
	global_load_dwordx4 v[2:5], v[2:3], off
	s_and_saveexec_b64 s[18:19], s[4:5]
	s_cbranch_execz .LBB3_143
; %bb.222:                              ;   in Loop: Header=BB3_144 Depth=1
	global_load_dwordx2 v[4:5], v31, s[6:7] offset:40
	global_load_dwordx2 v[12:13], v31, s[6:7] offset:24 glc
	global_load_dwordx2 v[14:15], v31, s[6:7]
	v_mov_b32_e32 v9, s17
	s_waitcnt vmcnt(2)
	v_add_co_u32_e32 v11, vcc, 1, v4
	v_addc_co_u32_e32 v16, vcc, 0, v5, vcc
	v_add_co_u32_e32 v8, vcc, s16, v11
	v_addc_co_u32_e32 v9, vcc, v16, v9, vcc
	v_cmp_eq_u64_e32 vcc, 0, v[8:9]
	v_cndmask_b32_e32 v9, v9, v16, vcc
	v_cndmask_b32_e32 v8, v8, v11, vcc
	v_and_b32_e32 v5, v9, v5
	v_and_b32_e32 v4, v8, v4
	v_mul_lo_u32 v5, v5, 24
	v_mul_hi_u32 v11, v4, 24
	v_mul_lo_u32 v4, v4, 24
	v_add_u32_e32 v5, v11, v5
	s_waitcnt vmcnt(0)
	v_add_co_u32_e32 v4, vcc, v14, v4
	v_addc_co_u32_e32 v5, vcc, v15, v5, vcc
	v_mov_b32_e32 v10, v12
	global_store_dwordx2 v[4:5], v[12:13], off
	v_mov_b32_e32 v11, v13
	buffer_wbl2
	s_waitcnt vmcnt(0)
	global_atomic_cmpswap_x2 v[10:11], v31, v[8:11], s[6:7] offset:24 glc
	s_waitcnt vmcnt(0)
	v_cmp_ne_u64_e32 vcc, v[10:11], v[12:13]
	s_and_b64 exec, exec, vcc
	s_cbranch_execz .LBB3_143
; %bb.223:                              ;   in Loop: Header=BB3_144 Depth=1
	s_mov_b64 s[4:5], 0
.LBB3_224:                              ;   Parent Loop BB3_144 Depth=1
                                        ; =>  This Inner Loop Header: Depth=2
	s_sleep 1
	global_store_dwordx2 v[4:5], v[10:11], off
	buffer_wbl2
	s_waitcnt vmcnt(0)
	global_atomic_cmpswap_x2 v[12:13], v31, v[8:11], s[6:7] offset:24 glc
	s_waitcnt vmcnt(0)
	v_cmp_eq_u64_e32 vcc, v[12:13], v[10:11]
	s_or_b64 s[4:5], vcc, s[4:5]
	v_pk_mov_b32 v[10:11], v[12:13], v[12:13] op_sel:[0,1]
	s_andn2_b64 exec, exec, s[4:5]
	s_cbranch_execnz .LBB3_224
	s_branch .LBB3_143
.LBB3_225:
                                        ; implicit-def: $vgpr2_vgpr3
	s_cbranch_execnz .LBB3_227
	s_branch .LBB3_253
.LBB3_226:
	s_branch .LBB3_253
.LBB3_227:
	v_readfirstlane_b32 s4, v35
	v_cmp_eq_u32_e64 s[4:5], s4, v35
	v_pk_mov_b32 v[8:9], 0, 0
	s_and_saveexec_b64 s[10:11], s[4:5]
	s_cbranch_execz .LBB3_233
; %bb.228:
	s_waitcnt vmcnt(0)
	v_mov_b32_e32 v2, 0
	global_load_dwordx2 v[6:7], v2, s[6:7] offset:24 glc
	s_waitcnt vmcnt(0)
	buffer_invl2
	buffer_wbinvl1_vol
	global_load_dwordx2 v[4:5], v2, s[6:7] offset:40
	global_load_dwordx2 v[8:9], v2, s[6:7]
	s_waitcnt vmcnt(1)
	v_and_b32_e32 v3, v4, v6
	v_and_b32_e32 v4, v5, v7
	v_mul_lo_u32 v4, v4, 24
	v_mul_hi_u32 v5, v3, 24
	v_mul_lo_u32 v3, v3, 24
	v_add_u32_e32 v5, v5, v4
	s_waitcnt vmcnt(0)
	v_add_co_u32_e32 v4, vcc, v8, v3
	v_addc_co_u32_e32 v5, vcc, v9, v5, vcc
	global_load_dwordx2 v[4:5], v[4:5], off glc
	s_waitcnt vmcnt(0)
	global_atomic_cmpswap_x2 v[8:9], v2, v[4:7], s[6:7] offset:24 glc
	s_waitcnt vmcnt(0)
	buffer_invl2
	buffer_wbinvl1_vol
	v_cmp_ne_u64_e32 vcc, v[8:9], v[6:7]
	s_and_saveexec_b64 s[12:13], vcc
	s_cbranch_execz .LBB3_232
; %bb.229:
	s_mov_b64 s[14:15], 0
.LBB3_230:                              ; =>This Inner Loop Header: Depth=1
	s_sleep 1
	global_load_dwordx2 v[4:5], v2, s[6:7] offset:40
	global_load_dwordx2 v[10:11], v2, s[6:7]
	v_pk_mov_b32 v[6:7], v[8:9], v[8:9] op_sel:[0,1]
	s_waitcnt vmcnt(1)
	v_and_b32_e32 v4, v4, v6
	v_and_b32_e32 v3, v5, v7
	s_waitcnt vmcnt(0)
	v_mad_u64_u32 v[4:5], s[16:17], v4, 24, v[10:11]
	v_mov_b32_e32 v8, v5
	v_mad_u64_u32 v[8:9], s[16:17], v3, 24, v[8:9]
	v_mov_b32_e32 v5, v8
	global_load_dwordx2 v[4:5], v[4:5], off glc
	s_waitcnt vmcnt(0)
	global_atomic_cmpswap_x2 v[8:9], v2, v[4:7], s[6:7] offset:24 glc
	s_waitcnt vmcnt(0)
	buffer_invl2
	buffer_wbinvl1_vol
	v_cmp_eq_u64_e32 vcc, v[8:9], v[6:7]
	s_or_b64 s[14:15], vcc, s[14:15]
	s_andn2_b64 exec, exec, s[14:15]
	s_cbranch_execnz .LBB3_230
; %bb.231:
	s_or_b64 exec, exec, s[14:15]
.LBB3_232:
	s_or_b64 exec, exec, s[12:13]
.LBB3_233:
	s_or_b64 exec, exec, s[10:11]
	s_waitcnt vmcnt(0)
	v_mov_b32_e32 v2, 0
	global_load_dwordx2 v[10:11], v2, s[6:7] offset:40
	global_load_dwordx4 v[4:7], v2, s[6:7]
	v_readfirstlane_b32 s10, v8
	v_readfirstlane_b32 s11, v9
	s_mov_b64 s[12:13], exec
	s_waitcnt vmcnt(1)
	v_readfirstlane_b32 s14, v10
	v_readfirstlane_b32 s15, v11
	s_and_b64 s[14:15], s[10:11], s[14:15]
	s_mul_i32 s16, s15, 24
	s_mul_hi_u32 s17, s14, 24
	s_mul_i32 s18, s14, 24
	s_add_i32 s16, s17, s16
	v_mov_b32_e32 v3, s16
	s_waitcnt vmcnt(0)
	v_add_co_u32_e32 v8, vcc, s18, v4
	v_addc_co_u32_e32 v9, vcc, v5, v3, vcc
	s_and_saveexec_b64 s[16:17], s[4:5]
	s_cbranch_execz .LBB3_235
; %bb.234:
	v_pk_mov_b32 v[10:11], s[12:13], s[12:13] op_sel:[0,1]
	v_mov_b32_e32 v12, 2
	v_mov_b32_e32 v13, 1
	global_store_dwordx4 v[8:9], v[10:13], off offset:8
.LBB3_235:
	s_or_b64 exec, exec, s[16:17]
	s_lshl_b64 s[12:13], s[14:15], 12
	v_mov_b32_e32 v3, s13
	v_add_co_u32_e32 v10, vcc, s12, v6
	s_movk_i32 s12, 0xff1f
	v_addc_co_u32_e32 v11, vcc, v7, v3, vcc
	v_and_or_b32 v0, v0, s12, 32
	s_mov_b32 s12, 0
	v_mov_b32_e32 v3, v2
	v_readfirstlane_b32 s16, v10
	v_readfirstlane_b32 s17, v11
	s_mov_b32 s13, s12
	v_add_co_u32_e32 v6, vcc, v10, v34
	s_mov_b32 s14, s12
	s_mov_b32 s15, s12
	s_nop 0
	global_store_dwordx4 v34, v[0:3], s[16:17]
	v_addc_co_u32_e32 v7, vcc, 0, v11, vcc
	v_pk_mov_b32 v[0:1], s[12:13], s[12:13] op_sel:[0,1]
	v_pk_mov_b32 v[2:3], s[14:15], s[14:15] op_sel:[0,1]
	global_store_dwordx4 v34, v[0:3], s[16:17] offset:16
	global_store_dwordx4 v34, v[0:3], s[16:17] offset:32
	;; [unrolled: 1-line block ×3, first 2 shown]
	s_and_saveexec_b64 s[12:13], s[4:5]
	s_cbranch_execz .LBB3_243
; %bb.236:
	v_mov_b32_e32 v10, 0
	global_load_dwordx2 v[14:15], v10, s[6:7] offset:32 glc
	global_load_dwordx2 v[0:1], v10, s[6:7] offset:40
	v_mov_b32_e32 v12, s10
	v_mov_b32_e32 v13, s11
	s_waitcnt vmcnt(0)
	v_readfirstlane_b32 s14, v0
	v_readfirstlane_b32 s15, v1
	s_and_b64 s[14:15], s[14:15], s[10:11]
	s_mul_i32 s15, s15, 24
	s_mul_hi_u32 s16, s14, 24
	s_mul_i32 s14, s14, 24
	s_add_i32 s15, s16, s15
	v_mov_b32_e32 v0, s15
	v_add_co_u32_e32 v4, vcc, s14, v4
	v_addc_co_u32_e32 v5, vcc, v5, v0, vcc
	global_store_dwordx2 v[4:5], v[14:15], off
	buffer_wbl2
	s_waitcnt vmcnt(0)
	global_atomic_cmpswap_x2 v[2:3], v10, v[12:15], s[6:7] offset:32 glc
	s_waitcnt vmcnt(0)
	v_cmp_ne_u64_e32 vcc, v[2:3], v[14:15]
	s_and_saveexec_b64 s[14:15], vcc
	s_cbranch_execz .LBB3_239
; %bb.237:
	s_mov_b64 s[16:17], 0
.LBB3_238:                              ; =>This Inner Loop Header: Depth=1
	s_sleep 1
	global_store_dwordx2 v[4:5], v[2:3], off
	v_mov_b32_e32 v0, s10
	v_mov_b32_e32 v1, s11
	buffer_wbl2
	s_waitcnt vmcnt(0)
	global_atomic_cmpswap_x2 v[0:1], v10, v[0:3], s[6:7] offset:32 glc
	s_waitcnt vmcnt(0)
	v_cmp_eq_u64_e32 vcc, v[0:1], v[2:3]
	s_or_b64 s[16:17], vcc, s[16:17]
	v_pk_mov_b32 v[2:3], v[0:1], v[0:1] op_sel:[0,1]
	s_andn2_b64 exec, exec, s[16:17]
	s_cbranch_execnz .LBB3_238
.LBB3_239:
	s_or_b64 exec, exec, s[14:15]
	v_mov_b32_e32 v3, 0
	global_load_dwordx2 v[0:1], v3, s[6:7] offset:16
	s_mov_b64 s[14:15], exec
	v_mbcnt_lo_u32_b32 v2, s14, 0
	v_mbcnt_hi_u32_b32 v2, s15, v2
	v_cmp_eq_u32_e32 vcc, 0, v2
	s_and_saveexec_b64 s[16:17], vcc
	s_cbranch_execz .LBB3_241
; %bb.240:
	s_bcnt1_i32_b64 s14, s[14:15]
	v_mov_b32_e32 v2, s14
	buffer_wbl2
	s_waitcnt vmcnt(0)
	global_atomic_add_x2 v[0:1], v[2:3], off offset:8
.LBB3_241:
	s_or_b64 exec, exec, s[16:17]
	s_waitcnt vmcnt(0)
	global_load_dwordx2 v[2:3], v[0:1], off offset:16
	s_waitcnt vmcnt(0)
	v_cmp_eq_u64_e32 vcc, 0, v[2:3]
	s_cbranch_vccnz .LBB3_243
; %bb.242:
	global_load_dword v0, v[0:1], off offset:24
	v_mov_b32_e32 v1, 0
	buffer_wbl2
	s_waitcnt vmcnt(0)
	global_store_dwordx2 v[2:3], v[0:1], off
	v_and_b32_e32 v0, 0xffffff, v0
	v_readfirstlane_b32 m0, v0
	s_sendmsg sendmsg(MSG_INTERRUPT)
.LBB3_243:
	s_or_b64 exec, exec, s[12:13]
	s_branch .LBB3_247
.LBB3_244:                              ;   in Loop: Header=BB3_247 Depth=1
	s_or_b64 exec, exec, s[12:13]
	v_readfirstlane_b32 s12, v0
	s_cmp_eq_u32 s12, 0
	s_cbranch_scc1 .LBB3_246
; %bb.245:                              ;   in Loop: Header=BB3_247 Depth=1
	s_sleep 1
	s_cbranch_execnz .LBB3_247
	s_branch .LBB3_249
.LBB3_246:
	s_branch .LBB3_249
.LBB3_247:                              ; =>This Inner Loop Header: Depth=1
	v_mov_b32_e32 v0, 1
	s_and_saveexec_b64 s[12:13], s[4:5]
	s_cbranch_execz .LBB3_244
; %bb.248:                              ;   in Loop: Header=BB3_247 Depth=1
	global_load_dword v0, v[8:9], off offset:20 glc
	s_waitcnt vmcnt(0)
	buffer_invl2
	buffer_wbinvl1_vol
	v_and_b32_e32 v0, 1, v0
	s_branch .LBB3_244
.LBB3_249:
	global_load_dwordx2 v[2:3], v[6:7], off
	s_and_saveexec_b64 s[12:13], s[4:5]
	s_cbranch_execz .LBB3_252
; %bb.250:
	v_mov_b32_e32 v8, 0
	global_load_dwordx2 v[0:1], v8, s[6:7] offset:40
	global_load_dwordx2 v[10:11], v8, s[6:7] offset:24 glc
	global_load_dwordx2 v[12:13], v8, s[6:7]
	v_mov_b32_e32 v5, s11
	s_mov_b64 s[4:5], 0
	s_waitcnt vmcnt(2)
	v_add_co_u32_e32 v7, vcc, 1, v0
	v_addc_co_u32_e32 v9, vcc, 0, v1, vcc
	v_add_co_u32_e32 v4, vcc, s10, v7
	v_addc_co_u32_e32 v5, vcc, v9, v5, vcc
	v_cmp_eq_u64_e32 vcc, 0, v[4:5]
	v_cndmask_b32_e32 v5, v5, v9, vcc
	v_cndmask_b32_e32 v4, v4, v7, vcc
	v_and_b32_e32 v1, v5, v1
	v_and_b32_e32 v0, v4, v0
	v_mul_lo_u32 v1, v1, 24
	v_mul_hi_u32 v7, v0, 24
	v_mul_lo_u32 v0, v0, 24
	v_add_u32_e32 v1, v7, v1
	s_waitcnt vmcnt(0)
	v_add_co_u32_e32 v0, vcc, v12, v0
	v_addc_co_u32_e32 v1, vcc, v13, v1, vcc
	v_mov_b32_e32 v6, v10
	global_store_dwordx2 v[0:1], v[10:11], off
	v_mov_b32_e32 v7, v11
	buffer_wbl2
	s_waitcnt vmcnt(0)
	global_atomic_cmpswap_x2 v[6:7], v8, v[4:7], s[6:7] offset:24 glc
	s_waitcnt vmcnt(0)
	v_cmp_ne_u64_e32 vcc, v[6:7], v[10:11]
	s_and_b64 exec, exec, vcc
	s_cbranch_execz .LBB3_252
.LBB3_251:                              ; =>This Inner Loop Header: Depth=1
	s_sleep 1
	global_store_dwordx2 v[0:1], v[6:7], off
	buffer_wbl2
	s_waitcnt vmcnt(0)
	global_atomic_cmpswap_x2 v[10:11], v8, v[4:7], s[6:7] offset:24 glc
	s_waitcnt vmcnt(0)
	v_cmp_eq_u64_e32 vcc, v[10:11], v[6:7]
	s_or_b64 s[4:5], vcc, s[4:5]
	v_pk_mov_b32 v[6:7], v[10:11], v[10:11] op_sel:[0,1]
	s_andn2_b64 exec, exec, s[4:5]
	s_cbranch_execnz .LBB3_251
.LBB3_252:
	s_or_b64 exec, exec, s[12:13]
.LBB3_253:
	v_readfirstlane_b32 s4, v35
	v_cmp_eq_u32_e64 s[4:5], s4, v35
	s_waitcnt vmcnt(0)
	v_pk_mov_b32 v[0:1], 0, 0
	s_and_saveexec_b64 s[10:11], s[4:5]
	s_cbranch_execz .LBB3_259
; %bb.254:
	v_mov_b32_e32 v4, 0
	global_load_dwordx2 v[8:9], v4, s[6:7] offset:24 glc
	s_waitcnt vmcnt(0)
	buffer_invl2
	buffer_wbinvl1_vol
	global_load_dwordx2 v[0:1], v4, s[6:7] offset:40
	global_load_dwordx2 v[6:7], v4, s[6:7]
	s_waitcnt vmcnt(1)
	v_and_b32_e32 v0, v0, v8
	v_and_b32_e32 v1, v1, v9
	v_mul_lo_u32 v1, v1, 24
	v_mul_hi_u32 v5, v0, 24
	v_mul_lo_u32 v0, v0, 24
	v_add_u32_e32 v1, v5, v1
	s_waitcnt vmcnt(0)
	v_add_co_u32_e32 v0, vcc, v6, v0
	v_addc_co_u32_e32 v1, vcc, v7, v1, vcc
	global_load_dwordx2 v[6:7], v[0:1], off glc
	s_waitcnt vmcnt(0)
	global_atomic_cmpswap_x2 v[0:1], v4, v[6:9], s[6:7] offset:24 glc
	s_waitcnt vmcnt(0)
	buffer_invl2
	buffer_wbinvl1_vol
	v_cmp_ne_u64_e32 vcc, v[0:1], v[8:9]
	s_and_saveexec_b64 s[12:13], vcc
	s_cbranch_execz .LBB3_258
; %bb.255:
	s_mov_b64 s[14:15], 0
.LBB3_256:                              ; =>This Inner Loop Header: Depth=1
	s_sleep 1
	global_load_dwordx2 v[6:7], v4, s[6:7] offset:40
	global_load_dwordx2 v[10:11], v4, s[6:7]
	v_pk_mov_b32 v[8:9], v[0:1], v[0:1] op_sel:[0,1]
	s_waitcnt vmcnt(1)
	v_and_b32_e32 v0, v6, v8
	s_waitcnt vmcnt(0)
	v_mad_u64_u32 v[0:1], s[16:17], v0, 24, v[10:11]
	v_and_b32_e32 v5, v7, v9
	v_mov_b32_e32 v6, v1
	v_mad_u64_u32 v[6:7], s[16:17], v5, 24, v[6:7]
	v_mov_b32_e32 v1, v6
	global_load_dwordx2 v[6:7], v[0:1], off glc
	s_waitcnt vmcnt(0)
	global_atomic_cmpswap_x2 v[0:1], v4, v[6:9], s[6:7] offset:24 glc
	s_waitcnt vmcnt(0)
	buffer_invl2
	buffer_wbinvl1_vol
	v_cmp_eq_u64_e32 vcc, v[0:1], v[8:9]
	s_or_b64 s[14:15], vcc, s[14:15]
	s_andn2_b64 exec, exec, s[14:15]
	s_cbranch_execnz .LBB3_256
; %bb.257:
	s_or_b64 exec, exec, s[14:15]
.LBB3_258:
	s_or_b64 exec, exec, s[12:13]
.LBB3_259:
	s_or_b64 exec, exec, s[10:11]
	v_mov_b32_e32 v5, 0
	global_load_dwordx2 v[10:11], v5, s[6:7] offset:40
	global_load_dwordx4 v[6:9], v5, s[6:7]
	v_readfirstlane_b32 s10, v0
	v_readfirstlane_b32 s11, v1
	s_mov_b64 s[12:13], exec
	s_waitcnt vmcnt(1)
	v_readfirstlane_b32 s14, v10
	v_readfirstlane_b32 s15, v11
	s_and_b64 s[14:15], s[10:11], s[14:15]
	s_mul_i32 s16, s15, 24
	s_mul_hi_u32 s17, s14, 24
	s_mul_i32 s18, s14, 24
	s_add_i32 s16, s17, s16
	v_mov_b32_e32 v0, s16
	s_waitcnt vmcnt(0)
	v_add_co_u32_e32 v10, vcc, s18, v6
	v_addc_co_u32_e32 v11, vcc, v7, v0, vcc
	s_and_saveexec_b64 s[16:17], s[4:5]
	s_cbranch_execz .LBB3_261
; %bb.260:
	v_pk_mov_b32 v[12:13], s[12:13], s[12:13] op_sel:[0,1]
	v_mov_b32_e32 v14, 2
	v_mov_b32_e32 v15, 1
	global_store_dwordx4 v[10:11], v[12:15], off offset:8
.LBB3_261:
	s_or_b64 exec, exec, s[16:17]
	s_lshl_b64 s[12:13], s[14:15], 12
	v_mov_b32_e32 v1, s13
	v_add_co_u32_e32 v0, vcc, s12, v8
	s_movk_i32 s12, 0xff1f
	v_addc_co_u32_e32 v1, vcc, v9, v1, vcc
	v_and_or_b32 v2, v2, s12, 32
	s_mov_b32 s12, 0
	v_add_co_u32_e32 v8, vcc, v0, v34
	v_mov_b32_e32 v4, 0x6cc
	v_readfirstlane_b32 s16, v0
	v_readfirstlane_b32 s17, v1
	s_mov_b32 s13, s12
	v_addc_co_u32_e32 v9, vcc, 0, v1, vcc
	s_mov_b32 s14, s12
	s_mov_b32 s15, s12
	s_nop 0
	global_store_dwordx4 v34, v[2:5], s[16:17]
	v_pk_mov_b32 v[0:1], s[12:13], s[12:13] op_sel:[0,1]
	v_pk_mov_b32 v[2:3], s[14:15], s[14:15] op_sel:[0,1]
	global_store_dwordx4 v34, v[0:3], s[16:17] offset:16
	global_store_dwordx4 v34, v[0:3], s[16:17] offset:32
	;; [unrolled: 1-line block ×3, first 2 shown]
	s_and_saveexec_b64 s[12:13], s[4:5]
	s_cbranch_execz .LBB3_269
; %bb.262:
	v_mov_b32_e32 v12, 0
	global_load_dwordx2 v[16:17], v12, s[6:7] offset:32 glc
	global_load_dwordx2 v[0:1], v12, s[6:7] offset:40
	v_mov_b32_e32 v14, s10
	v_mov_b32_e32 v15, s11
	s_waitcnt vmcnt(0)
	v_readfirstlane_b32 s14, v0
	v_readfirstlane_b32 s15, v1
	s_and_b64 s[14:15], s[14:15], s[10:11]
	s_mul_i32 s15, s15, 24
	s_mul_hi_u32 s16, s14, 24
	s_mul_i32 s14, s14, 24
	s_add_i32 s15, s16, s15
	v_mov_b32_e32 v0, s15
	v_add_co_u32_e32 v4, vcc, s14, v6
	v_addc_co_u32_e32 v5, vcc, v7, v0, vcc
	global_store_dwordx2 v[4:5], v[16:17], off
	buffer_wbl2
	s_waitcnt vmcnt(0)
	global_atomic_cmpswap_x2 v[2:3], v12, v[14:17], s[6:7] offset:32 glc
	s_waitcnt vmcnt(0)
	v_cmp_ne_u64_e32 vcc, v[2:3], v[16:17]
	s_and_saveexec_b64 s[14:15], vcc
	s_cbranch_execz .LBB3_265
; %bb.263:
	s_mov_b64 s[16:17], 0
.LBB3_264:                              ; =>This Inner Loop Header: Depth=1
	s_sleep 1
	global_store_dwordx2 v[4:5], v[2:3], off
	v_mov_b32_e32 v0, s10
	v_mov_b32_e32 v1, s11
	buffer_wbl2
	s_waitcnt vmcnt(0)
	global_atomic_cmpswap_x2 v[0:1], v12, v[0:3], s[6:7] offset:32 glc
	s_waitcnt vmcnt(0)
	v_cmp_eq_u64_e32 vcc, v[0:1], v[2:3]
	s_or_b64 s[16:17], vcc, s[16:17]
	v_pk_mov_b32 v[2:3], v[0:1], v[0:1] op_sel:[0,1]
	s_andn2_b64 exec, exec, s[16:17]
	s_cbranch_execnz .LBB3_264
.LBB3_265:
	s_or_b64 exec, exec, s[14:15]
	v_mov_b32_e32 v3, 0
	global_load_dwordx2 v[0:1], v3, s[6:7] offset:16
	s_mov_b64 s[14:15], exec
	v_mbcnt_lo_u32_b32 v2, s14, 0
	v_mbcnt_hi_u32_b32 v2, s15, v2
	v_cmp_eq_u32_e32 vcc, 0, v2
	s_and_saveexec_b64 s[16:17], vcc
	s_cbranch_execz .LBB3_267
; %bb.266:
	s_bcnt1_i32_b64 s14, s[14:15]
	v_mov_b32_e32 v2, s14
	buffer_wbl2
	s_waitcnt vmcnt(0)
	global_atomic_add_x2 v[0:1], v[2:3], off offset:8
.LBB3_267:
	s_or_b64 exec, exec, s[16:17]
	s_waitcnt vmcnt(0)
	global_load_dwordx2 v[2:3], v[0:1], off offset:16
	s_waitcnt vmcnt(0)
	v_cmp_eq_u64_e32 vcc, 0, v[2:3]
	s_cbranch_vccnz .LBB3_269
; %bb.268:
	global_load_dword v0, v[0:1], off offset:24
	v_mov_b32_e32 v1, 0
	buffer_wbl2
	s_waitcnt vmcnt(0)
	global_store_dwordx2 v[2:3], v[0:1], off
	v_and_b32_e32 v0, 0xffffff, v0
	v_readfirstlane_b32 m0, v0
	s_sendmsg sendmsg(MSG_INTERRUPT)
.LBB3_269:
	s_or_b64 exec, exec, s[12:13]
	s_branch .LBB3_273
.LBB3_270:                              ;   in Loop: Header=BB3_273 Depth=1
	s_or_b64 exec, exec, s[12:13]
	v_readfirstlane_b32 s12, v0
	s_cmp_eq_u32 s12, 0
	s_cbranch_scc1 .LBB3_272
; %bb.271:                              ;   in Loop: Header=BB3_273 Depth=1
	s_sleep 1
	s_cbranch_execnz .LBB3_273
	s_branch .LBB3_275
.LBB3_272:
	s_branch .LBB3_275
.LBB3_273:                              ; =>This Inner Loop Header: Depth=1
	v_mov_b32_e32 v0, 1
	s_and_saveexec_b64 s[12:13], s[4:5]
	s_cbranch_execz .LBB3_270
; %bb.274:                              ;   in Loop: Header=BB3_273 Depth=1
	global_load_dword v0, v[10:11], off offset:20 glc
	s_waitcnt vmcnt(0)
	buffer_invl2
	buffer_wbinvl1_vol
	v_and_b32_e32 v0, 1, v0
	s_branch .LBB3_270
.LBB3_275:
	global_load_dwordx2 v[0:1], v[8:9], off
	s_and_saveexec_b64 s[12:13], s[4:5]
	s_cbranch_execz .LBB3_278
; %bb.276:
	v_mov_b32_e32 v8, 0
	global_load_dwordx2 v[6:7], v8, s[6:7] offset:40
	global_load_dwordx2 v[10:11], v8, s[6:7] offset:24 glc
	global_load_dwordx2 v[12:13], v8, s[6:7]
	v_mov_b32_e32 v3, s11
	s_mov_b64 s[4:5], 0
	s_waitcnt vmcnt(2)
	v_add_co_u32_e32 v5, vcc, 1, v6
	v_addc_co_u32_e32 v9, vcc, 0, v7, vcc
	v_add_co_u32_e32 v2, vcc, s10, v5
	v_addc_co_u32_e32 v3, vcc, v9, v3, vcc
	v_cmp_eq_u64_e32 vcc, 0, v[2:3]
	v_cndmask_b32_e32 v3, v3, v9, vcc
	v_cndmask_b32_e32 v2, v2, v5, vcc
	v_and_b32_e32 v5, v3, v7
	v_and_b32_e32 v6, v2, v6
	v_mul_lo_u32 v5, v5, 24
	v_mul_hi_u32 v7, v6, 24
	v_mul_lo_u32 v6, v6, 24
	v_add_u32_e32 v5, v7, v5
	s_waitcnt vmcnt(0)
	v_add_co_u32_e32 v6, vcc, v12, v6
	v_addc_co_u32_e32 v7, vcc, v13, v5, vcc
	v_mov_b32_e32 v4, v10
	global_store_dwordx2 v[6:7], v[10:11], off
	v_mov_b32_e32 v5, v11
	buffer_wbl2
	s_waitcnt vmcnt(0)
	global_atomic_cmpswap_x2 v[4:5], v8, v[2:5], s[6:7] offset:24 glc
	s_waitcnt vmcnt(0)
	v_cmp_ne_u64_e32 vcc, v[4:5], v[10:11]
	s_and_b64 exec, exec, vcc
	s_cbranch_execz .LBB3_278
.LBB3_277:                              ; =>This Inner Loop Header: Depth=1
	s_sleep 1
	global_store_dwordx2 v[6:7], v[4:5], off
	buffer_wbl2
	s_waitcnt vmcnt(0)
	global_atomic_cmpswap_x2 v[10:11], v8, v[2:5], s[6:7] offset:24 glc
	s_waitcnt vmcnt(0)
	v_cmp_eq_u64_e32 vcc, v[10:11], v[4:5]
	s_or_b64 s[4:5], vcc, s[4:5]
	v_pk_mov_b32 v[4:5], v[10:11], v[10:11] op_sel:[0,1]
	s_andn2_b64 exec, exec, s[4:5]
	s_cbranch_execnz .LBB3_277
.LBB3_278:
	s_or_b64 exec, exec, s[12:13]
	s_getpc_b64 s[4:5]
	s_add_u32 s4, s4, __FUNCTION__._ZL18flash_attn_ext_f16ILi64ELi64ELi32ELi1ELb1ELb0EEvPKcS1_S1_S1_S1_PKiPfP15HIP_vector_typeIfLj2EEffffjfiS5_IjLj3EEiiiiiiiiiiiliiliiiiil@rel32@lo+4
	s_addc_u32 s5, s5, __FUNCTION__._ZL18flash_attn_ext_f16ILi64ELi64ELi32ELi1ELb1ELb0EEvPKcS1_S1_S1_S1_PKiPfP15HIP_vector_typeIfLj2EEffffjfiS5_IjLj3EEiiiiiiiiiiiliiliiiiil@rel32@hi+12
	s_cmp_lg_u64 s[4:5], 0
	s_cselect_b32 s10, 19, 0
	s_mov_b64 s[8:9], s[26:27]
	v_mov_b32_e32 v2, s4
	v_mov_b32_e32 v3, s5
	;; [unrolled: 1-line block ×4, first 2 shown]
	s_getpc_b64 s[6:7]
	s_add_u32 s6, s6, __ockl_printf_append_string_n@rel32@lo+4
	s_addc_u32 s7, s7, __ockl_printf_append_string_n@rel32@hi+12
	s_swappc_b64 s[30:31], s[6:7]
	s_mov_b64 s[8:9], s[26:27]
	v_mov_b32_e32 v2, 0x514
	v_mov_b32_e32 v3, 0
	;; [unrolled: 1-line block ×3, first 2 shown]
	s_getpc_b64 s[4:5]
	s_add_u32 s4, s4, __ockl_printf_append_args@rel32@lo+4
	s_addc_u32 s5, s5, __ockl_printf_append_args@rel32@hi+12
	s_swappc_b64 s[30:31], s[4:5]
	s_trap 2
.Lfunc_end3:
	.size	_ZL14no_device_codePKciS0_iS0_, .Lfunc_end3-_ZL14no_device_codePKciS0_iS0_
                                        ; -- End function
	.section	.AMDGPU.csdata,"",@progbits
; Function info:
; codeLenInByte = 9988
; NumSgprs: 38
; NumVgprs: 39
; NumAgprs: 0
; TotalNumVgprs: 39
; ScratchSize: 16
; MemoryBound: 0
	.section	.text._ZL18flash_attn_ext_f16ILi64ELi64ELi32ELi1ELb1ELb0EEvPKcS1_S1_S1_S1_PKiPfP15HIP_vector_typeIfLj2EEffffjfiS5_IjLj3EEiiiiiiiiiiiliiliiiiil,"axG",@progbits,_ZL18flash_attn_ext_f16ILi64ELi64ELi32ELi1ELb1ELb0EEvPKcS1_S1_S1_S1_PKiPfP15HIP_vector_typeIfLj2EEffffjfiS5_IjLj3EEiiiiiiiiiiiliiliiiiil,comdat
	.globl	_ZL18flash_attn_ext_f16ILi64ELi64ELi32ELi1ELb1ELb0EEvPKcS1_S1_S1_S1_PKiPfP15HIP_vector_typeIfLj2EEffffjfiS5_IjLj3EEiiiiiiiiiiiliiliiiiil ; -- Begin function _ZL18flash_attn_ext_f16ILi64ELi64ELi32ELi1ELb1ELb0EEvPKcS1_S1_S1_S1_PKiPfP15HIP_vector_typeIfLj2EEffffjfiS5_IjLj3EEiiiiiiiiiiiliiliiiiil
	.p2align	8
	.type	_ZL18flash_attn_ext_f16ILi64ELi64ELi32ELi1ELb1ELb0EEvPKcS1_S1_S1_S1_PKiPfP15HIP_vector_typeIfLj2EEffffjfiS5_IjLj3EEiiiiiiiiiiiliiliiiiil,@function
_ZL18flash_attn_ext_f16ILi64ELi64ELi32ELi1ELb1ELb0EEvPKcS1_S1_S1_S1_PKiPfP15HIP_vector_typeIfLj2EEffffjfiS5_IjLj3EEiiiiiiiiiiiliiliiiiil: ; @_ZL18flash_attn_ext_f16ILi64ELi64ELi32ELi1ELb1ELb0EEvPKcS1_S1_S1_S1_PKiPfP15HIP_vector_typeIfLj2EEffffjfiS5_IjLj3EEiiiiiiiiiiiliiliiiiil
; %bb.0:
	s_add_u32 flat_scratch_lo, s6, s9
	s_addc_u32 flat_scratch_hi, s7, 0
	s_add_u32 s0, s0, s9
	s_addc_u32 s1, s1, 0
	s_add_u32 s8, s4, 0xd0
	s_addc_u32 s9, s5, 0
	s_mov_b32 s32, 0
	s_getpc_b64 s[4:5]
	s_add_u32 s4, s4, _ZL14no_device_codePKciS0_iS0_@rel32@lo+4
	s_addc_u32 s5, s5, _ZL14no_device_codePKciS0_iS0_@rel32@hi+12
	s_swappc_b64 s[30:31], s[4:5]
	.section	.rodata,"a",@progbits
	.p2align	6, 0x0
	.amdhsa_kernel _ZL18flash_attn_ext_f16ILi64ELi64ELi32ELi1ELb1ELb0EEvPKcS1_S1_S1_S1_PKiPfP15HIP_vector_typeIfLj2EEffffjfiS5_IjLj3EEiiiiiiiiiiiliiliiiiil
		.amdhsa_group_segment_fixed_size 0
		.amdhsa_private_segment_fixed_size 16
		.amdhsa_kernarg_size 464
		.amdhsa_user_sgpr_count 8
		.amdhsa_user_sgpr_private_segment_buffer 1
		.amdhsa_user_sgpr_dispatch_ptr 0
		.amdhsa_user_sgpr_queue_ptr 0
		.amdhsa_user_sgpr_kernarg_segment_ptr 1
		.amdhsa_user_sgpr_dispatch_id 0
		.amdhsa_user_sgpr_flat_scratch_init 1
		.amdhsa_user_sgpr_kernarg_preload_length 0
		.amdhsa_user_sgpr_kernarg_preload_offset 0
		.amdhsa_user_sgpr_private_segment_size 0
		.amdhsa_uses_dynamic_stack 0
		.amdhsa_system_sgpr_private_segment_wavefront_offset 1
		.amdhsa_system_sgpr_workgroup_id_x 1
		.amdhsa_system_sgpr_workgroup_id_y 0
		.amdhsa_system_sgpr_workgroup_id_z 0
		.amdhsa_system_sgpr_workgroup_info 0
		.amdhsa_system_vgpr_workitem_id 0
		.amdhsa_next_free_vgpr 39
		.amdhsa_next_free_sgpr 34
		.amdhsa_accum_offset 40
		.amdhsa_reserve_vcc 1
		.amdhsa_reserve_flat_scratch 1
		.amdhsa_float_round_mode_32 0
		.amdhsa_float_round_mode_16_64 0
		.amdhsa_float_denorm_mode_32 3
		.amdhsa_float_denorm_mode_16_64 3
		.amdhsa_dx10_clamp 1
		.amdhsa_ieee_mode 1
		.amdhsa_fp16_overflow 0
		.amdhsa_tg_split 0
		.amdhsa_exception_fp_ieee_invalid_op 0
		.amdhsa_exception_fp_denorm_src 0
		.amdhsa_exception_fp_ieee_div_zero 0
		.amdhsa_exception_fp_ieee_overflow 0
		.amdhsa_exception_fp_ieee_underflow 0
		.amdhsa_exception_fp_ieee_inexact 0
		.amdhsa_exception_int_div_zero 0
	.end_amdhsa_kernel
	.section	.text._ZL18flash_attn_ext_f16ILi64ELi64ELi32ELi1ELb1ELb0EEvPKcS1_S1_S1_S1_PKiPfP15HIP_vector_typeIfLj2EEffffjfiS5_IjLj3EEiiiiiiiiiiiliiliiiiil,"axG",@progbits,_ZL18flash_attn_ext_f16ILi64ELi64ELi32ELi1ELb1ELb0EEvPKcS1_S1_S1_S1_PKiPfP15HIP_vector_typeIfLj2EEffffjfiS5_IjLj3EEiiiiiiiiiiiliiliiiiil,comdat
.Lfunc_end4:
	.size	_ZL18flash_attn_ext_f16ILi64ELi64ELi32ELi1ELb1ELb0EEvPKcS1_S1_S1_S1_PKiPfP15HIP_vector_typeIfLj2EEffffjfiS5_IjLj3EEiiiiiiiiiiiliiliiiiil, .Lfunc_end4-_ZL18flash_attn_ext_f16ILi64ELi64ELi32ELi1ELb1ELb0EEvPKcS1_S1_S1_S1_PKiPfP15HIP_vector_typeIfLj2EEffffjfiS5_IjLj3EEiiiiiiiiiiiliiliiiiil
                                        ; -- End function
	.section	.AMDGPU.csdata,"",@progbits
; Kernel info:
; codeLenInByte = 56
; NumSgprs: 40
; NumVgprs: 39
; NumAgprs: 0
; TotalNumVgprs: 39
; ScratchSize: 16
; MemoryBound: 0
; FloatMode: 240
; IeeeMode: 1
; LDSByteSize: 0 bytes/workgroup (compile time only)
; SGPRBlocks: 4
; VGPRBlocks: 4
; NumSGPRsForWavesPerEU: 40
; NumVGPRsForWavesPerEU: 39
; AccumOffset: 40
; Occupancy: 8
; WaveLimiterHint : 1
; COMPUTE_PGM_RSRC2:SCRATCH_EN: 1
; COMPUTE_PGM_RSRC2:USER_SGPR: 8
; COMPUTE_PGM_RSRC2:TRAP_HANDLER: 0
; COMPUTE_PGM_RSRC2:TGID_X_EN: 1
; COMPUTE_PGM_RSRC2:TGID_Y_EN: 0
; COMPUTE_PGM_RSRC2:TGID_Z_EN: 0
; COMPUTE_PGM_RSRC2:TIDIG_COMP_CNT: 0
; COMPUTE_PGM_RSRC3_GFX90A:ACCUM_OFFSET: 9
; COMPUTE_PGM_RSRC3_GFX90A:TG_SPLIT: 0
	.section	.text._ZL25flash_attn_mask_to_KV_maxILi32EEvPK7__half2Piiii,"axG",@progbits,_ZL25flash_attn_mask_to_KV_maxILi32EEvPK7__half2Piiii,comdat
	.globl	_ZL25flash_attn_mask_to_KV_maxILi32EEvPK7__half2Piiii ; -- Begin function _ZL25flash_attn_mask_to_KV_maxILi32EEvPK7__half2Piiii
	.p2align	8
	.type	_ZL25flash_attn_mask_to_KV_maxILi32EEvPK7__half2Piiii,@function
_ZL25flash_attn_mask_to_KV_maxILi32EEvPK7__half2Piiii: ; @_ZL25flash_attn_mask_to_KV_maxILi32EEvPK7__half2Piiii
; %bb.0:
	s_load_dwordx4 s[8:11], s[4:5], 0x0
	v_cmp_gt_u32_e32 vcc, 32, v0
	s_and_saveexec_b64 s[0:1], vcc
	s_cbranch_execz .LBB5_2
; %bb.1:
	v_lshlrev_b32_e32 v1, 2, v0
	v_mov_b32_e32 v2, 1
	ds_write_b32 v1, v2
.LBB5_2:
	s_or_b64 exec, exec, s[0:1]
	s_load_dwordx4 s[12:15], s[4:5], 0x10
	s_load_dword s33, s[4:5], 0x20
	v_and_b32_e32 v2, 31, v0
	v_lshlrev_b32_e32 v6, 2, v2
	v_lshrrev_b32_e32 v1, 3, v0
	s_waitcnt lgkmcnt(0)
	s_mul_i32 s1, s6, s13
	s_mul_i32 s0, s7, s14
	s_lshl_b32 s1, s1, 5
	s_add_i32 s0, s0, s1
	s_ashr_i32 s1, s0, 31
	s_lshl_b64 s[0:1], s[0:1], 2
	s_add_u32 s94, s8, s0
	s_addc_u32 s95, s9, s1
	v_cmp_eq_u32_e64 s[0:1], 0, v2
	v_mbcnt_lo_u32_b32 v2, -1, 0
	s_lshl_b32 s12, s12, 8
	s_mov_b64 s[4:5], 0
	v_mov_b32_e32 v3, 0
	s_movk_i32 s92, 0x204
	s_movk_i32 s93, 0x7fff
	;; [unrolled: 1-line block ×3, first 2 shown]
	v_mbcnt_hi_u32_b32 v7, -1, v2
	s_barrier
	s_waitcnt lgkmcnt(0)
                                        ; implicit-def: $sgpr2_sgpr3
	s_branch .LBB5_5
.LBB5_3:                                ;   in Loop: Header=BB5_5 Depth=1
	s_or_b64 exec, exec, s[8:9]
	s_waitcnt lgkmcnt(0)
	s_barrier
	ds_read_b32 v10, v6
	s_waitcnt lgkmcnt(0)
	s_barrier
	ds_bpermute_b32 v2, v2, v10
	v_cmp_ne_u32_e32 vcc, 0, v10
	s_waitcnt lgkmcnt(0)
	v_cmp_ne_u32_e64 s[2:3], 0, v2
	s_and_b64 s[2:3], vcc, s[2:3]
	v_cndmask_b32_e64 v2, 0, 1, s[2:3]
	ds_bpermute_b32 v2, v4, v2
	s_waitcnt lgkmcnt(0)
	v_cmp_ne_u32_e32 vcc, 0, v2
	s_and_b64 s[2:3], vcc, s[2:3]
	v_cndmask_b32_e64 v2, 0, 1, s[2:3]
	ds_bpermute_b32 v2, v5, v2
	s_waitcnt lgkmcnt(0)
	v_cmp_ne_u32_e32 vcc, 0, v2
	;; [unrolled: 5-line block ×3, first 2 shown]
	s_and_b64 s[2:3], vcc, s[2:3]
	v_cndmask_b32_e64 v2, 0, 1, s[2:3]
	ds_bpermute_b32 v2, v9, v2
	s_xor_b64 s[2:3], s[2:3], -1
	s_waitcnt lgkmcnt(0)
	v_cmp_eq_u32_e32 vcc, 0, v2
	s_or_b64 s[2:3], vcc, s[2:3]
.LBB5_4:                                ;   in Loop: Header=BB5_5 Depth=1
	s_and_b64 s[8:9], exec, s[2:3]
	s_or_b64 s[4:5], s[8:9], s[4:5]
	v_mov_b32_e32 v2, s12
	s_mov_b32 s12, s91
	s_andn2_b64 exec, exec, s[4:5]
	s_cbranch_execz .LBB5_132
.LBB5_5:                                ; =>This Inner Loop Header: Depth=1
	s_add_i32 s91, s12, 0xffffff00
	s_or_b64 s[2:3], s[2:3], exec
	s_cmp_lt_i32 s91, 0
	s_cbranch_scc1 .LBB5_4
; %bb.6:                                ;   in Loop: Header=BB5_5 Depth=1
	s_lshr_b32 s2, s91, 1
	v_add_u32_e32 v2, s2, v0
	v_lshlrev_b64 v[4:5], 2, v[2:3]
	v_mov_b32_e32 v8, s95
	v_add_co_u32_e32 v4, vcc, s94, v4
	v_addc_co_u32_e32 v5, vcc, v8, v5, vcc
	global_load_dword v4, v[4:5], off
	s_mov_b64 s[8:9], 0
	s_waitcnt vmcnt(0)
	v_cmp_class_f16_e64 s[2:3], v4, s92
	v_and_b32_sdwa v4, s93, v4 dst_sel:DWORD dst_unused:UNUSED_PAD src0_sel:DWORD src1_sel:WORD_1
	v_cmp_eq_f16_e32 vcc, s90, v4
	s_and_b64 s[14:15], s[2:3], vcc
	s_and_saveexec_b64 s[2:3], s[14:15]
	s_cbranch_execz .LBB5_130
; %bb.7:                                ;   in Loop: Header=BB5_5 Depth=1
	v_add_u32_e32 v4, s13, v2
	v_ashrrev_i32_e32 v5, 31, v4
	v_lshlrev_b64 v[8:9], 2, v[4:5]
	v_mov_b32_e32 v2, s95
	v_add_co_u32_e32 v8, vcc, s94, v8
	v_addc_co_u32_e32 v9, vcc, v2, v9, vcc
	global_load_dword v2, v[8:9], off
	s_mov_b64 s[14:15], 0
	s_waitcnt vmcnt(0)
	v_cmp_class_f16_e64 s[16:17], v2, s92
	s_and_saveexec_b64 s[8:9], s[16:17]
	s_cbranch_execz .LBB5_129
; %bb.8:                                ;   in Loop: Header=BB5_5 Depth=1
	v_cmp_class_f16_sdwa s[18:19], v2, s92 src0_sel:WORD_1 src1_sel:DWORD
	s_mov_b64 s[16:17], 0
	s_and_saveexec_b64 s[14:15], s[18:19]
	s_cbranch_execz .LBB5_128
; %bb.9:                                ;   in Loop: Header=BB5_5 Depth=1
	v_add_u32_e32 v4, s13, v4
	v_ashrrev_i32_e32 v5, 31, v4
	v_lshlrev_b64 v[8:9], 2, v[4:5]
	v_mov_b32_e32 v2, s95
	v_add_co_u32_e32 v8, vcc, s94, v8
	v_addc_co_u32_e32 v9, vcc, v2, v9, vcc
	global_load_dword v2, v[8:9], off
	s_mov_b64 s[18:19], 0
	s_waitcnt vmcnt(0)
	v_cmp_class_f16_e64 s[20:21], v2, s92
	s_and_saveexec_b64 s[16:17], s[20:21]
	s_cbranch_execz .LBB5_127
; %bb.10:                               ;   in Loop: Header=BB5_5 Depth=1
	v_cmp_class_f16_sdwa s[22:23], v2, s92 src0_sel:WORD_1 src1_sel:DWORD
	s_mov_b64 s[20:21], 0
	s_and_saveexec_b64 s[18:19], s[22:23]
	s_cbranch_execz .LBB5_126
; %bb.11:                               ;   in Loop: Header=BB5_5 Depth=1
	v_add_u32_e32 v4, s13, v4
	v_ashrrev_i32_e32 v5, 31, v4
	v_lshlrev_b64 v[8:9], 2, v[4:5]
	v_mov_b32_e32 v2, s95
	v_add_co_u32_e32 v8, vcc, s94, v8
	v_addc_co_u32_e32 v9, vcc, v2, v9, vcc
	global_load_dword v2, v[8:9], off
	s_mov_b64 s[22:23], 0
	s_waitcnt vmcnt(0)
	v_cmp_class_f16_e64 s[24:25], v2, s92
	s_and_saveexec_b64 s[20:21], s[24:25]
	s_cbranch_execz .LBB5_125
; %bb.12:                               ;   in Loop: Header=BB5_5 Depth=1
	v_cmp_class_f16_sdwa s[26:27], v2, s92 src0_sel:WORD_1 src1_sel:DWORD
	s_mov_b64 s[24:25], 0
	s_and_saveexec_b64 s[22:23], s[26:27]
	s_cbranch_execz .LBB5_124
; %bb.13:                               ;   in Loop: Header=BB5_5 Depth=1
	;; [unrolled: 18-line block ×17, first 2 shown]
	v_add_u32_e32 v4, s13, v4
	v_ashrrev_i32_e32 v5, 31, v4
	v_lshlrev_b64 v[8:9], 2, v[4:5]
	v_mov_b32_e32 v2, s95
	v_add_co_u32_e32 v8, vcc, s94, v8
	v_addc_co_u32_e32 v9, vcc, v2, v9, vcc
	global_load_dword v2, v[8:9], off
	s_mov_b64 s[88:89], 0
	s_waitcnt vmcnt(0)
	v_cmp_class_f16_e64 vcc, v2, s92
	s_mov_b64 s[86:87], exec
                                        ; implicit-def: $vgpr12 : SGPR spill to VGPR lane
	v_writelane_b32 v12, s86, 0
	s_and_b64 vcc, s[86:87], vcc
	v_writelane_b32 v12, s87, 1
	s_mov_b64 exec, vcc
	s_cbranch_execz .LBB5_93
; %bb.44:                               ;   in Loop: Header=BB5_5 Depth=1
	v_cmp_class_f16_sdwa s[88:89], v2, s92 src0_sel:WORD_1 src1_sel:DWORD
	s_mov_b64 vcc, 0
	s_mov_b64 s[86:87], exec
	v_writelane_b32 v12, s86, 2
	s_and_b64 s[88:89], s[86:87], s[88:89]
	v_writelane_b32 v12, s87, 3
	s_mov_b64 exec, s[88:89]
	s_cbranch_execz .LBB5_92
; %bb.45:                               ;   in Loop: Header=BB5_5 Depth=1
	v_add_u32_e32 v4, s13, v4
	v_ashrrev_i32_e32 v5, 31, v4
	v_lshlrev_b64 v[8:9], 2, v[4:5]
	v_mov_b32_e32 v2, s95
	v_add_co_u32_e32 v8, vcc, s94, v8
	v_addc_co_u32_e32 v9, vcc, v2, v9, vcc
	global_load_dword v2, v[8:9], off
	s_mov_b64 vcc, 0
	s_waitcnt vmcnt(0)
	v_cmp_class_f16_e64 s[88:89], v2, s92
	s_mov_b64 s[86:87], exec
	v_writelane_b32 v12, s86, 4
	s_and_b64 s[88:89], s[86:87], s[88:89]
	v_writelane_b32 v12, s87, 5
	s_mov_b64 exec, s[88:89]
	s_cbranch_execz .LBB5_91
; %bb.46:                               ;   in Loop: Header=BB5_5 Depth=1
	v_cmp_class_f16_sdwa s[88:89], v2, s92 src0_sel:WORD_1 src1_sel:DWORD
	s_mov_b64 vcc, 0
	s_mov_b64 s[86:87], exec
	v_writelane_b32 v12, s86, 6
	s_and_b64 s[88:89], s[86:87], s[88:89]
	v_writelane_b32 v12, s87, 7
	s_mov_b64 exec, s[88:89]
	s_cbranch_execz .LBB5_90
; %bb.47:                               ;   in Loop: Header=BB5_5 Depth=1
	v_add_u32_e32 v4, s13, v4
	v_ashrrev_i32_e32 v5, 31, v4
	v_lshlrev_b64 v[8:9], 2, v[4:5]
	v_mov_b32_e32 v2, s95
	v_add_co_u32_e32 v8, vcc, s94, v8
	v_addc_co_u32_e32 v9, vcc, v2, v9, vcc
	global_load_dword v2, v[8:9], off
	s_mov_b64 vcc, 0
	s_waitcnt vmcnt(0)
	v_cmp_class_f16_e64 s[88:89], v2, s92
	s_mov_b64 s[86:87], exec
	v_writelane_b32 v12, s86, 8
	s_and_b64 s[88:89], s[86:87], s[88:89]
	v_writelane_b32 v12, s87, 9
	s_mov_b64 exec, s[88:89]
	;; [unrolled: 26-line block ×11, first 2 shown]
	s_cbranch_execz .LBB5_71
; %bb.66:                               ;   in Loop: Header=BB5_5 Depth=1
	v_cmp_class_f16_sdwa s[88:89], v2, s92 src0_sel:WORD_1 src1_sel:DWORD
	s_mov_b64 vcc, 0
	s_mov_b64 s[86:87], exec
	v_writelane_b32 v12, s86, 46
	s_and_b64 s[88:89], s[86:87], s[88:89]
	v_writelane_b32 v12, s87, 47
	s_mov_b64 exec, s[88:89]
	s_cbranch_execz .LBB5_70
; %bb.67:                               ;   in Loop: Header=BB5_5 Depth=1
	v_add_u32_e32 v4, s13, v4
	v_ashrrev_i32_e32 v5, 31, v4
	v_lshlrev_b64 v[4:5], 2, v[4:5]
	v_mov_b32_e32 v2, s95
	v_add_co_u32_e32 v4, vcc, s94, v4
	v_addc_co_u32_e32 v5, vcc, v2, v5, vcc
	global_load_dword v2, v[4:5], off
	s_mov_b64 vcc, 0
	s_waitcnt vmcnt(0)
	v_cmp_class_f16_e64 s[88:89], v2, s92
	s_and_saveexec_b64 s[86:87], s[88:89]
; %bb.68:                               ;   in Loop: Header=BB5_5 Depth=1
	v_cmp_class_f16_sdwa s[88:89], v2, s92 src0_sel:WORD_1 src1_sel:DWORD
	s_and_b64 vcc, s[88:89], exec
; %bb.69:                               ;   in Loop: Header=BB5_5 Depth=1
	s_or_b64 exec, exec, s[86:87]
	s_and_b64 vcc, vcc, exec
.LBB5_70:                               ;   in Loop: Header=BB5_5 Depth=1
	v_readlane_b32 s88, v12, 46
	v_readlane_b32 s89, v12, 47
	s_or_b64 exec, exec, s[88:89]
	s_and_b64 vcc, vcc, exec
.LBB5_71:                               ;   in Loop: Header=BB5_5 Depth=1
	v_readlane_b32 s86, v12, 44
	v_readlane_b32 s87, v12, 45
	s_or_b64 exec, exec, s[86:87]
	s_and_b64 vcc, vcc, exec
.LBB5_72:                               ;   in Loop: Header=BB5_5 Depth=1
	v_readlane_b32 s88, v12, 42
	v_readlane_b32 s89, v12, 43
	s_or_b64 exec, exec, s[88:89]
	s_and_b64 vcc, vcc, exec
.LBB5_73:                               ;   in Loop: Header=BB5_5 Depth=1
	v_readlane_b32 s86, v12, 40
	v_readlane_b32 s87, v12, 41
	s_or_b64 exec, exec, s[86:87]
	s_and_b64 vcc, vcc, exec
.LBB5_74:                               ;   in Loop: Header=BB5_5 Depth=1
	v_readlane_b32 s88, v12, 38
	v_readlane_b32 s89, v12, 39
	s_or_b64 exec, exec, s[88:89]
	s_and_b64 vcc, vcc, exec
.LBB5_75:                               ;   in Loop: Header=BB5_5 Depth=1
	v_readlane_b32 s86, v12, 36
	v_readlane_b32 s87, v12, 37
	s_or_b64 exec, exec, s[86:87]
	s_and_b64 vcc, vcc, exec
.LBB5_76:                               ;   in Loop: Header=BB5_5 Depth=1
	v_readlane_b32 s88, v12, 34
	v_readlane_b32 s89, v12, 35
	s_or_b64 exec, exec, s[88:89]
	s_and_b64 vcc, vcc, exec
.LBB5_77:                               ;   in Loop: Header=BB5_5 Depth=1
	v_readlane_b32 s86, v12, 32
	v_readlane_b32 s87, v12, 33
	s_or_b64 exec, exec, s[86:87]
	s_and_b64 vcc, vcc, exec
.LBB5_78:                               ;   in Loop: Header=BB5_5 Depth=1
	v_readlane_b32 s88, v12, 30
	v_readlane_b32 s89, v12, 31
	s_or_b64 exec, exec, s[88:89]
	s_and_b64 vcc, vcc, exec
.LBB5_79:                               ;   in Loop: Header=BB5_5 Depth=1
	v_readlane_b32 s86, v12, 28
	v_readlane_b32 s87, v12, 29
	s_or_b64 exec, exec, s[86:87]
	s_and_b64 vcc, vcc, exec
.LBB5_80:                               ;   in Loop: Header=BB5_5 Depth=1
	v_readlane_b32 s88, v12, 26
	v_readlane_b32 s89, v12, 27
	s_or_b64 exec, exec, s[88:89]
	s_and_b64 vcc, vcc, exec
.LBB5_81:                               ;   in Loop: Header=BB5_5 Depth=1
	v_readlane_b32 s86, v12, 24
	v_readlane_b32 s87, v12, 25
	s_or_b64 exec, exec, s[86:87]
	s_and_b64 vcc, vcc, exec
.LBB5_82:                               ;   in Loop: Header=BB5_5 Depth=1
	v_readlane_b32 s88, v12, 22
	v_readlane_b32 s89, v12, 23
	s_or_b64 exec, exec, s[88:89]
	s_and_b64 vcc, vcc, exec
.LBB5_83:                               ;   in Loop: Header=BB5_5 Depth=1
	v_readlane_b32 s86, v12, 20
	v_readlane_b32 s87, v12, 21
	s_or_b64 exec, exec, s[86:87]
	s_and_b64 vcc, vcc, exec
.LBB5_84:                               ;   in Loop: Header=BB5_5 Depth=1
	v_readlane_b32 s88, v12, 18
	v_readlane_b32 s89, v12, 19
	s_or_b64 exec, exec, s[88:89]
	s_and_b64 vcc, vcc, exec
.LBB5_85:                               ;   in Loop: Header=BB5_5 Depth=1
	v_readlane_b32 s86, v12, 16
	v_readlane_b32 s87, v12, 17
	s_or_b64 exec, exec, s[86:87]
	s_and_b64 vcc, vcc, exec
.LBB5_86:                               ;   in Loop: Header=BB5_5 Depth=1
	v_readlane_b32 s88, v12, 14
	v_readlane_b32 s89, v12, 15
	s_or_b64 exec, exec, s[88:89]
	s_and_b64 vcc, vcc, exec
.LBB5_87:                               ;   in Loop: Header=BB5_5 Depth=1
	v_readlane_b32 s86, v12, 12
	v_readlane_b32 s87, v12, 13
	s_or_b64 exec, exec, s[86:87]
	s_and_b64 vcc, vcc, exec
.LBB5_88:                               ;   in Loop: Header=BB5_5 Depth=1
	v_readlane_b32 s88, v12, 10
	v_readlane_b32 s89, v12, 11
	s_or_b64 exec, exec, s[88:89]
	s_and_b64 vcc, vcc, exec
.LBB5_89:                               ;   in Loop: Header=BB5_5 Depth=1
	v_readlane_b32 s86, v12, 8
	v_readlane_b32 s87, v12, 9
	s_or_b64 exec, exec, s[86:87]
	s_and_b64 vcc, vcc, exec
.LBB5_90:                               ;   in Loop: Header=BB5_5 Depth=1
	v_readlane_b32 s88, v12, 6
	v_readlane_b32 s89, v12, 7
	s_or_b64 exec, exec, s[88:89]
	s_and_b64 vcc, vcc, exec
.LBB5_91:                               ;   in Loop: Header=BB5_5 Depth=1
	v_readlane_b32 s86, v12, 4
	v_readlane_b32 s87, v12, 5
	s_or_b64 exec, exec, s[86:87]
	s_and_b64 vcc, vcc, exec
.LBB5_92:                               ;   in Loop: Header=BB5_5 Depth=1
	v_readlane_b32 s88, v12, 2
	v_readlane_b32 s89, v12, 3
	s_or_b64 exec, exec, s[88:89]
	s_and_b64 s[88:89], vcc, exec
.LBB5_93:                               ;   in Loop: Header=BB5_5 Depth=1
	v_readlane_b32 s86, v12, 0
	v_readlane_b32 s87, v12, 1
	s_or_b64 exec, exec, s[86:87]
	s_and_b64 s[86:87], s[88:89], exec
.LBB5_94:                               ;   in Loop: Header=BB5_5 Depth=1
	s_or_b64 exec, exec, s[84:85]
	s_and_b64 s[84:85], s[86:87], exec
.LBB5_95:                               ;   in Loop: Header=BB5_5 Depth=1
	s_or_b64 exec, exec, s[82:83]
	s_and_b64 s[82:83], s[84:85], exec
.LBB5_96:                               ;   in Loop: Header=BB5_5 Depth=1
	s_or_b64 exec, exec, s[80:81]
	s_and_b64 s[80:81], s[82:83], exec
.LBB5_97:                               ;   in Loop: Header=BB5_5 Depth=1
	s_or_b64 exec, exec, s[78:79]
	s_and_b64 s[78:79], s[80:81], exec
.LBB5_98:                               ;   in Loop: Header=BB5_5 Depth=1
	s_or_b64 exec, exec, s[76:77]
	s_and_b64 s[76:77], s[78:79], exec
.LBB5_99:                               ;   in Loop: Header=BB5_5 Depth=1
	s_or_b64 exec, exec, s[74:75]
	s_and_b64 s[74:75], s[76:77], exec
.LBB5_100:                              ;   in Loop: Header=BB5_5 Depth=1
	s_or_b64 exec, exec, s[72:73]
	s_and_b64 s[72:73], s[74:75], exec
.LBB5_101:                              ;   in Loop: Header=BB5_5 Depth=1
	s_or_b64 exec, exec, s[70:71]
	s_and_b64 s[70:71], s[72:73], exec
.LBB5_102:                              ;   in Loop: Header=BB5_5 Depth=1
	s_or_b64 exec, exec, s[68:69]
	s_and_b64 s[68:69], s[70:71], exec
.LBB5_103:                              ;   in Loop: Header=BB5_5 Depth=1
	s_or_b64 exec, exec, s[66:67]
	s_and_b64 s[66:67], s[68:69], exec
.LBB5_104:                              ;   in Loop: Header=BB5_5 Depth=1
	s_or_b64 exec, exec, s[64:65]
	s_and_b64 s[64:65], s[66:67], exec
.LBB5_105:                              ;   in Loop: Header=BB5_5 Depth=1
	s_or_b64 exec, exec, s[62:63]
	s_and_b64 s[62:63], s[64:65], exec
.LBB5_106:                              ;   in Loop: Header=BB5_5 Depth=1
	s_or_b64 exec, exec, s[60:61]
	s_and_b64 s[60:61], s[62:63], exec
.LBB5_107:                              ;   in Loop: Header=BB5_5 Depth=1
	s_or_b64 exec, exec, s[58:59]
	s_and_b64 s[58:59], s[60:61], exec
.LBB5_108:                              ;   in Loop: Header=BB5_5 Depth=1
	s_or_b64 exec, exec, s[56:57]
	s_and_b64 s[56:57], s[58:59], exec
.LBB5_109:                              ;   in Loop: Header=BB5_5 Depth=1
	s_or_b64 exec, exec, s[54:55]
	s_and_b64 s[54:55], s[56:57], exec
.LBB5_110:                              ;   in Loop: Header=BB5_5 Depth=1
	s_or_b64 exec, exec, s[52:53]
	s_and_b64 s[52:53], s[54:55], exec
.LBB5_111:                              ;   in Loop: Header=BB5_5 Depth=1
	s_or_b64 exec, exec, s[50:51]
	s_and_b64 s[50:51], s[52:53], exec
.LBB5_112:                              ;   in Loop: Header=BB5_5 Depth=1
	s_or_b64 exec, exec, s[48:49]
	s_and_b64 s[48:49], s[50:51], exec
.LBB5_113:                              ;   in Loop: Header=BB5_5 Depth=1
	s_or_b64 exec, exec, s[46:47]
	s_and_b64 s[46:47], s[48:49], exec
.LBB5_114:                              ;   in Loop: Header=BB5_5 Depth=1
	s_or_b64 exec, exec, s[44:45]
	s_and_b64 s[44:45], s[46:47], exec
.LBB5_115:                              ;   in Loop: Header=BB5_5 Depth=1
	s_or_b64 exec, exec, s[42:43]
	s_and_b64 s[42:43], s[44:45], exec
.LBB5_116:                              ;   in Loop: Header=BB5_5 Depth=1
	s_or_b64 exec, exec, s[40:41]
	s_and_b64 s[40:41], s[42:43], exec
.LBB5_117:                              ;   in Loop: Header=BB5_5 Depth=1
	s_or_b64 exec, exec, s[38:39]
	s_and_b64 s[38:39], s[40:41], exec
.LBB5_118:                              ;   in Loop: Header=BB5_5 Depth=1
	s_or_b64 exec, exec, s[36:37]
	s_and_b64 s[36:37], s[38:39], exec
.LBB5_119:                              ;   in Loop: Header=BB5_5 Depth=1
	s_or_b64 exec, exec, s[34:35]
	s_and_b64 s[34:35], s[36:37], exec
.LBB5_120:                              ;   in Loop: Header=BB5_5 Depth=1
	s_or_b64 exec, exec, s[30:31]
	s_and_b64 s[30:31], s[34:35], exec
.LBB5_121:                              ;   in Loop: Header=BB5_5 Depth=1
	s_or_b64 exec, exec, s[28:29]
	s_and_b64 s[28:29], s[30:31], exec
.LBB5_122:                              ;   in Loop: Header=BB5_5 Depth=1
	s_or_b64 exec, exec, s[26:27]
	s_and_b64 s[26:27], s[28:29], exec
.LBB5_123:                              ;   in Loop: Header=BB5_5 Depth=1
	s_or_b64 exec, exec, s[24:25]
	s_and_b64 s[24:25], s[26:27], exec
.LBB5_124:                              ;   in Loop: Header=BB5_5 Depth=1
	s_or_b64 exec, exec, s[22:23]
	s_and_b64 s[22:23], s[24:25], exec
.LBB5_125:                              ;   in Loop: Header=BB5_5 Depth=1
	s_or_b64 exec, exec, s[20:21]
	s_and_b64 s[20:21], s[22:23], exec
.LBB5_126:                              ;   in Loop: Header=BB5_5 Depth=1
	s_or_b64 exec, exec, s[18:19]
	s_and_b64 s[18:19], s[20:21], exec
.LBB5_127:                              ;   in Loop: Header=BB5_5 Depth=1
	s_or_b64 exec, exec, s[16:17]
	s_and_b64 s[16:17], s[18:19], exec
.LBB5_128:                              ;   in Loop: Header=BB5_5 Depth=1
	s_or_b64 exec, exec, s[14:15]
	s_and_b64 s[14:15], s[16:17], exec
.LBB5_129:                              ;   in Loop: Header=BB5_5 Depth=1
	s_or_b64 exec, exec, s[8:9]
	s_and_b64 s[8:9], s[14:15], exec
.LBB5_130:                              ;   in Loop: Header=BB5_5 Depth=1
	s_or_b64 exec, exec, s[2:3]
	v_and_b32_e32 v2, 0x60, v7
	v_add_u32_e32 v9, 32, v2
	v_xor_b32_e32 v2, 16, v7
	v_cmp_lt_i32_e32 vcc, v2, v9
	v_cndmask_b32_e32 v2, v7, v2, vcc
	v_cndmask_b32_e64 v4, 0, 1, s[8:9]
	v_lshlrev_b32_e32 v2, 2, v2
	ds_bpermute_b32 v4, v2, v4
	v_xor_b32_e32 v11, 1, v7
	s_waitcnt lgkmcnt(0)
	v_cmp_ne_u32_e32 vcc, 0, v4
	v_xor_b32_e32 v4, 8, v7
	s_and_b64 s[2:3], s[8:9], vcc
	v_cmp_lt_i32_e32 vcc, v4, v9
	v_cndmask_b32_e32 v4, v7, v4, vcc
	v_cndmask_b32_e64 v5, 0, 1, s[2:3]
	v_lshlrev_b32_e32 v4, 2, v4
	ds_bpermute_b32 v5, v4, v5
	s_waitcnt lgkmcnt(0)
	v_cmp_ne_u32_e32 vcc, 0, v5
	v_xor_b32_e32 v5, 4, v7
	s_and_b64 s[2:3], vcc, s[2:3]
	v_cmp_lt_i32_e32 vcc, v5, v9
	v_cndmask_b32_e32 v5, v7, v5, vcc
	v_cndmask_b32_e64 v8, 0, 1, s[2:3]
	v_lshlrev_b32_e32 v5, 2, v5
	ds_bpermute_b32 v8, v5, v8
	s_waitcnt lgkmcnt(0)
	v_cmp_ne_u32_e32 vcc, 0, v8
	v_xor_b32_e32 v8, 2, v7
	s_and_b64 s[2:3], vcc, s[2:3]
	v_cmp_lt_i32_e32 vcc, v8, v9
	v_cndmask_b32_e32 v8, v7, v8, vcc
	v_cndmask_b32_e64 v10, 0, 1, s[2:3]
	v_lshlrev_b32_e32 v8, 2, v8
	ds_bpermute_b32 v10, v8, v10
	s_waitcnt lgkmcnt(0)
	v_cmp_ne_u32_e32 vcc, 0, v10
	s_and_b64 s[2:3], vcc, s[2:3]
	v_cmp_lt_i32_e32 vcc, v11, v9
	v_cndmask_b32_e32 v9, v7, v11, vcc
	v_cndmask_b32_e64 v10, 0, 1, s[2:3]
	v_lshlrev_b32_e32 v9, 2, v9
	ds_bpermute_b32 v10, v9, v10
	s_and_saveexec_b64 s[8:9], s[0:1]
	s_cbranch_execz .LBB5_3
; %bb.131:                              ;   in Loop: Header=BB5_5 Depth=1
	s_waitcnt lgkmcnt(0)
	v_cmp_ne_u32_e32 vcc, 0, v10
	s_and_b64 s[2:3], vcc, s[2:3]
	v_cndmask_b32_e64 v10, 0, 1, s[2:3]
	ds_write_b32 v1, v10
	s_branch .LBB5_3
.LBB5_132:
	s_or_b64 exec, exec, s[4:5]
	v_cmp_eq_u32_e32 vcc, 0, v0
	s_and_saveexec_b64 s[0:1], vcc
	s_cbranch_execz .LBB5_134
; %bb.133:
	s_mul_i32 s0, s33, s7
	s_add_i32 s0, s0, s6
	s_ashr_i32 s1, s0, 31
	s_lshl_b64 s[0:1], s[0:1], 2
	s_add_u32 s0, s10, s0
	s_addc_u32 s1, s11, s1
	v_mov_b32_e32 v0, 0
	global_store_dword v0, v2, s[0:1]
.LBB5_134:
	s_endpgm
	.section	.rodata,"a",@progbits
	.p2align	6, 0x0
	.amdhsa_kernel _ZL25flash_attn_mask_to_KV_maxILi32EEvPK7__half2Piiii
		.amdhsa_group_segment_fixed_size 128
		.amdhsa_private_segment_fixed_size 0
		.amdhsa_kernarg_size 288
		.amdhsa_user_sgpr_count 6
		.amdhsa_user_sgpr_private_segment_buffer 1
		.amdhsa_user_sgpr_dispatch_ptr 0
		.amdhsa_user_sgpr_queue_ptr 0
		.amdhsa_user_sgpr_kernarg_segment_ptr 1
		.amdhsa_user_sgpr_dispatch_id 0
		.amdhsa_user_sgpr_flat_scratch_init 0
		.amdhsa_user_sgpr_kernarg_preload_length 0
		.amdhsa_user_sgpr_kernarg_preload_offset 0
		.amdhsa_user_sgpr_private_segment_size 0
		.amdhsa_uses_dynamic_stack 0
		.amdhsa_system_sgpr_private_segment_wavefront_offset 0
		.amdhsa_system_sgpr_workgroup_id_x 1
		.amdhsa_system_sgpr_workgroup_id_y 1
		.amdhsa_system_sgpr_workgroup_id_z 0
		.amdhsa_system_sgpr_workgroup_info 0
		.amdhsa_system_vgpr_workitem_id 0
		.amdhsa_next_free_vgpr 13
		.amdhsa_next_free_sgpr 96
		.amdhsa_accum_offset 16
		.amdhsa_reserve_vcc 1
		.amdhsa_reserve_flat_scratch 0
		.amdhsa_float_round_mode_32 0
		.amdhsa_float_round_mode_16_64 0
		.amdhsa_float_denorm_mode_32 3
		.amdhsa_float_denorm_mode_16_64 3
		.amdhsa_dx10_clamp 1
		.amdhsa_ieee_mode 1
		.amdhsa_fp16_overflow 0
		.amdhsa_tg_split 0
		.amdhsa_exception_fp_ieee_invalid_op 0
		.amdhsa_exception_fp_denorm_src 0
		.amdhsa_exception_fp_ieee_div_zero 0
		.amdhsa_exception_fp_ieee_overflow 0
		.amdhsa_exception_fp_ieee_underflow 0
		.amdhsa_exception_fp_ieee_inexact 0
		.amdhsa_exception_int_div_zero 0
	.end_amdhsa_kernel
	.section	.text._ZL25flash_attn_mask_to_KV_maxILi32EEvPK7__half2Piiii,"axG",@progbits,_ZL25flash_attn_mask_to_KV_maxILi32EEvPK7__half2Piiii,comdat
.Lfunc_end5:
	.size	_ZL25flash_attn_mask_to_KV_maxILi32EEvPK7__half2Piiii, .Lfunc_end5-_ZL25flash_attn_mask_to_KV_maxILi32EEvPK7__half2Piiii
                                        ; -- End function
	.section	.AMDGPU.csdata,"",@progbits
; Kernel info:
; codeLenInByte = 4692
; NumSgprs: 100
; NumVgprs: 13
; NumAgprs: 0
; TotalNumVgprs: 13
; ScratchSize: 0
; MemoryBound: 0
; FloatMode: 240
; IeeeMode: 1
; LDSByteSize: 128 bytes/workgroup (compile time only)
; SGPRBlocks: 12
; VGPRBlocks: 1
; NumSGPRsForWavesPerEU: 100
; NumVGPRsForWavesPerEU: 13
; AccumOffset: 16
; Occupancy: 8
; WaveLimiterHint : 0
; COMPUTE_PGM_RSRC2:SCRATCH_EN: 0
; COMPUTE_PGM_RSRC2:USER_SGPR: 6
; COMPUTE_PGM_RSRC2:TRAP_HANDLER: 0
; COMPUTE_PGM_RSRC2:TGID_X_EN: 1
; COMPUTE_PGM_RSRC2:TGID_Y_EN: 1
; COMPUTE_PGM_RSRC2:TGID_Z_EN: 0
; COMPUTE_PGM_RSRC2:TIDIG_COMP_CNT: 0
; COMPUTE_PGM_RSRC3_GFX90A:ACCUM_OFFSET: 3
; COMPUTE_PGM_RSRC3_GFX90A:TG_SPLIT: 0
	.section	.text._ZL33flash_attn_stream_k_fixup_uniformILi64ELi32ELi1EEvPfPK15HIP_vector_typeIfLj2EEiiiiiiS1_IjLj3EES5_S5_,"axG",@progbits,_ZL33flash_attn_stream_k_fixup_uniformILi64ELi32ELi1EEvPfPK15HIP_vector_typeIfLj2EEiiiiiiS1_IjLj3EES5_S5_,comdat
	.globl	_ZL33flash_attn_stream_k_fixup_uniformILi64ELi32ELi1EEvPfPK15HIP_vector_typeIfLj2EEiiiiiiS1_IjLj3EES5_S5_ ; -- Begin function _ZL33flash_attn_stream_k_fixup_uniformILi64ELi32ELi1EEvPfPK15HIP_vector_typeIfLj2EEiiiiiiS1_IjLj3EES5_S5_
	.p2align	8
	.type	_ZL33flash_attn_stream_k_fixup_uniformILi64ELi32ELi1EEvPfPK15HIP_vector_typeIfLj2EEiiiiiiS1_IjLj3EES5_S5_,@function
_ZL33flash_attn_stream_k_fixup_uniformILi64ELi32ELi1EEvPfPK15HIP_vector_typeIfLj2EEiiiiiiS1_IjLj3EES5_S5_: ; @_ZL33flash_attn_stream_k_fixup_uniformILi64ELi32ELi1EEvPfPK15HIP_vector_typeIfLj2EEiiiiiiS1_IjLj3EES5_S5_
; %bb.0:
	s_load_dwordx8 s[12:19], s[4:5], 0x1c
	s_load_dwordx2 s[10:11], s[4:5], 0x10
	s_load_dwordx4 s[0:3], s[4:5], 0x3c
	s_waitcnt lgkmcnt(0)
	s_mul_hi_u32 s9, s15, s6
	s_add_i32 s9, s6, s9
	s_lshr_b32 s9, s9, s16
	s_mul_i32 s15, s9, s17
	s_sub_i32 s15, s6, s15
	s_mul_hi_u32 s16, s15, s18
	s_add_i32 s16, s15, s16
	s_lshr_b32 s16, s16, s19
	s_mul_i32 s0, s16, s0
	s_sub_i32 s0, s15, s0
	;; [unrolled: 5-line block ×3, first 2 shown]
	s_lshl_b32 s0, s17, 5
	s_add_i32 s0, s0, s7
	s_cmp_lt_i32 s0, s10
	s_cselect_b64 s[0:1], -1, 0
	s_add_i32 s2, s15, s8
	s_cmp_lt_i32 s2, s13
	s_cselect_b64 s[2:3], -1, 0
	s_and_b64 s[0:1], s[0:1], s[2:3]
	s_andn2_b64 vcc, exec, s[0:1]
	s_cbranch_vccnz .LBB6_6
; %bb.1:
	s_load_dwordx4 s[0:3], s[4:5], 0x0
	s_mul_i32 s4, s9, s10
	s_add_i32 s4, s4, s7
	s_mul_i32 s4, s4, s11
	s_mul_i32 s16, s16, s13
	s_add_i32 s4, s4, s8
	s_add_i32 s4, s4, s16
	s_mul_i32 s5, s11, s17
	s_add_i32 s4, s4, s15
	s_lshl_b32 s5, s5, 11
	s_lshl_b32 s4, s4, 6
	s_add_i32 s5, s5, s4
	v_or_b32_e32 v2, s5, v0
	v_ashrrev_i32_e32 v3, 31, v2
	v_lshlrev_b64 v[2:3], 2, v[2:3]
	s_waitcnt lgkmcnt(0)
	v_mov_b32_e32 v1, s1
	v_add_co_u32_e32 v2, vcc, s0, v2
	v_addc_co_u32_e32 v3, vcc, v1, v3, vcc
	global_load_dword v8, v[2:3], off
	s_add_i32 s4, s7, s8
	s_mul_i32 s7, s6, s14
	s_add_i32 s5, s7, s14
	s_lshl_b32 s0, s5, 5
	s_add_i32 s0, s4, s0
	s_sub_i32 s0, s0, 32
	s_ashr_i32 s1, s0, 31
	s_lshl_b64 s[0:1], s[0:1], 3
	s_add_u32 s0, s2, s0
	s_addc_u32 s1, s3, s1
	s_load_dword s10, s[0:1], 0x4
	s_add_i32 s8, s5, -2
	s_cmp_lt_i32 s8, s7
	s_cbranch_scc1 .LBB6_4
; %bb.2:
	s_lshl_b32 s8, s12, 7
	s_ashr_i32 s9, s8, 31
	s_lshl_b64 s[8:9], s[8:9], 2
	s_add_u32 s8, s2, s8
	s_addc_u32 s11, s3, s9
	s_add_i32 s6, s6, 1
	s_add_i32 s9, s5, -1
	s_mul_i32 s5, s14, s6
	s_load_dword s0, s[0:1], 0x0
	s_lshl_b32 s1, s4, 6
	s_lshl_b32 s6, s5, 11
	s_add_i32 s1, s1, s6
	v_or_b32_e32 v0, s1, v0
	s_lshl_b32 s1, s5, 5
	s_add_i32 s1, s4, s1
	s_lshl_b32 s4, s12, 5
	s_add_i32 s1, s1, s4
	v_add_u32_e32 v0, 0xfffff000, v0
	s_sub_i32 s4, s1, 64
	s_waitcnt lgkmcnt(0)
	v_mov_b32_e32 v7, s10
	v_mov_b32_e32 v6, s0
	;; [unrolled: 1-line block ×3, first 2 shown]
	s_mov_b32 s6, 0x3fb8aa3b
	s_mov_b32 s10, 0xc2ce8ed0
	;; [unrolled: 1-line block ×3, first 2 shown]
	v_mov_b32_e32 v5, 0x7f800000
	s_mov_b32 s12, 0xc1a00000
.LBB6_3:                                ; =>This Inner Loop Header: Depth=1
	v_ashrrev_i32_e32 v1, 31, v0
	v_lshlrev_b64 v[10:11], 2, v[0:1]
	v_add_co_u32_e32 v10, vcc, s8, v10
	v_addc_co_u32_e32 v11, vcc, v4, v11, vcc
	global_load_dword v1, v[10:11], off
	s_ashr_i32 s5, s4, 31
	s_lshl_b64 s[0:1], s[4:5], 3
	s_add_u32 s0, s2, s0
	s_addc_u32 s1, s3, s1
	s_load_dwordx2 s[14:15], s[0:1], 0x0
	s_waitcnt vmcnt(1)
	v_mov_b32_e32 v9, v8
	v_max_f32_e32 v8, v6, v6
	v_mov_b32_e32 v10, v7
	s_add_i32 s9, s9, -1
	s_waitcnt lgkmcnt(0)
	v_max_f32_e64 v7, s14, s14
	v_max_f32_e32 v7, v8, v7
	v_sub_f32_e32 v11, s14, v7
	v_sub_f32_e32 v8, v6, v7
	v_mul_f32_e32 v12, 0x3fb8aa3b, v11
	v_mov_b32_e32 v6, v7
	v_mul_f32_e32 v7, 0x3fb8aa3b, v8
	v_fma_f32 v15, v11, s6, -v12
	v_rndne_f32_e32 v16, v12
	v_fma_f32 v13, v8, s6, -v7
	v_rndne_f32_e32 v14, v7
	v_fmac_f32_e32 v15, 0x32a5705f, v11
	v_sub_f32_e32 v12, v12, v16
	v_fmac_f32_e32 v13, 0x32a5705f, v8
	v_sub_f32_e32 v7, v7, v14
	v_add_f32_e32 v12, v12, v15
	v_cvt_i32_f32_e32 v16, v16
	v_add_f32_e32 v7, v7, v13
	v_exp_f32_e32 v12, v12
	v_cvt_i32_f32_e32 v14, v14
	v_exp_f32_e32 v7, v7
	v_cmp_ngt_f32_e32 vcc, s10, v11
	v_ldexp_f32 v12, v12, v16
	v_cmp_ngt_f32_e64 s[0:1], s10, v8
	v_ldexp_f32 v7, v7, v14
	v_cndmask_b32_e32 v12, 0, v12, vcc
	v_cmp_nlt_f32_e32 vcc, s11, v11
	v_cndmask_b32_e64 v7, 0, v7, s[0:1]
	v_cmp_nlt_f32_e64 s[0:1], s11, v8
	v_cndmask_b32_e32 v12, v5, v12, vcc
	v_cmp_le_f32_e32 vcc, s12, v11
	v_cndmask_b32_e64 v7, v5, v7, s[0:1]
	v_cmp_le_f32_e64 s[0:1], s12, v8
	v_cndmask_b32_e32 v8, 0, v12, vcc
	s_sub_i32 s4, s4, 32
	v_cndmask_b32_e64 v11, 0, v7, s[0:1]
	v_mul_f32_e32 v7, s15, v8
	v_add_u32_e32 v0, 0xfffff800, v0
	s_cmp_le_i32 s9, s7
	v_fmac_f32_e32 v7, v10, v11
	s_waitcnt vmcnt(0)
	v_mul_f32_e32 v8, v1, v8
	v_fmac_f32_e32 v8, v9, v11
	s_cbranch_scc0 .LBB6_3
	s_branch .LBB6_5
.LBB6_4:
	s_waitcnt lgkmcnt(0)
	v_mov_b32_e32 v7, s10
.LBB6_5:
	s_waitcnt vmcnt(0)
	v_div_scale_f32 v0, s[0:1], v7, v7, v8
	v_rcp_f32_e32 v1, v0
	v_div_scale_f32 v4, vcc, v8, v7, v8
	v_fma_f32 v5, -v0, v1, 1.0
	v_fmac_f32_e32 v1, v5, v1
	v_mul_f32_e32 v5, v4, v1
	v_fma_f32 v6, -v0, v5, v4
	v_fmac_f32_e32 v5, v6, v1
	v_fma_f32 v0, -v0, v5, v4
	v_div_fmas_f32 v0, v0, v1, v5
	v_div_fixup_f32 v0, v0, v7, v8
	global_store_dword v[2:3], v0, off
.LBB6_6:
	s_endpgm
	.section	.rodata,"a",@progbits
	.p2align	6, 0x0
	.amdhsa_kernel _ZL33flash_attn_stream_k_fixup_uniformILi64ELi32ELi1EEvPfPK15HIP_vector_typeIfLj2EEiiiiiiS1_IjLj3EES5_S5_
		.amdhsa_group_segment_fixed_size 0
		.amdhsa_private_segment_fixed_size 0
		.amdhsa_kernarg_size 76
		.amdhsa_user_sgpr_count 6
		.amdhsa_user_sgpr_private_segment_buffer 1
		.amdhsa_user_sgpr_dispatch_ptr 0
		.amdhsa_user_sgpr_queue_ptr 0
		.amdhsa_user_sgpr_kernarg_segment_ptr 1
		.amdhsa_user_sgpr_dispatch_id 0
		.amdhsa_user_sgpr_flat_scratch_init 0
		.amdhsa_user_sgpr_kernarg_preload_length 0
		.amdhsa_user_sgpr_kernarg_preload_offset 0
		.amdhsa_user_sgpr_private_segment_size 0
		.amdhsa_uses_dynamic_stack 0
		.amdhsa_system_sgpr_private_segment_wavefront_offset 0
		.amdhsa_system_sgpr_workgroup_id_x 1
		.amdhsa_system_sgpr_workgroup_id_y 1
		.amdhsa_system_sgpr_workgroup_id_z 1
		.amdhsa_system_sgpr_workgroup_info 0
		.amdhsa_system_vgpr_workitem_id 0
		.amdhsa_next_free_vgpr 17
		.amdhsa_next_free_sgpr 20
		.amdhsa_accum_offset 20
		.amdhsa_reserve_vcc 1
		.amdhsa_reserve_flat_scratch 0
		.amdhsa_float_round_mode_32 0
		.amdhsa_float_round_mode_16_64 0
		.amdhsa_float_denorm_mode_32 3
		.amdhsa_float_denorm_mode_16_64 3
		.amdhsa_dx10_clamp 1
		.amdhsa_ieee_mode 1
		.amdhsa_fp16_overflow 0
		.amdhsa_tg_split 0
		.amdhsa_exception_fp_ieee_invalid_op 0
		.amdhsa_exception_fp_denorm_src 0
		.amdhsa_exception_fp_ieee_div_zero 0
		.amdhsa_exception_fp_ieee_overflow 0
		.amdhsa_exception_fp_ieee_underflow 0
		.amdhsa_exception_fp_ieee_inexact 0
		.amdhsa_exception_int_div_zero 0
	.end_amdhsa_kernel
	.section	.text._ZL33flash_attn_stream_k_fixup_uniformILi64ELi32ELi1EEvPfPK15HIP_vector_typeIfLj2EEiiiiiiS1_IjLj3EES5_S5_,"axG",@progbits,_ZL33flash_attn_stream_k_fixup_uniformILi64ELi32ELi1EEvPfPK15HIP_vector_typeIfLj2EEiiiiiiS1_IjLj3EES5_S5_,comdat
.Lfunc_end6:
	.size	_ZL33flash_attn_stream_k_fixup_uniformILi64ELi32ELi1EEvPfPK15HIP_vector_typeIfLj2EEiiiiiiS1_IjLj3EES5_S5_, .Lfunc_end6-_ZL33flash_attn_stream_k_fixup_uniformILi64ELi32ELi1EEvPfPK15HIP_vector_typeIfLj2EEiiiiiiS1_IjLj3EES5_S5_
                                        ; -- End function
	.section	.AMDGPU.csdata,"",@progbits
; Kernel info:
; codeLenInByte = 836
; NumSgprs: 24
; NumVgprs: 17
; NumAgprs: 0
; TotalNumVgprs: 17
; ScratchSize: 0
; MemoryBound: 0
; FloatMode: 240
; IeeeMode: 1
; LDSByteSize: 0 bytes/workgroup (compile time only)
; SGPRBlocks: 2
; VGPRBlocks: 2
; NumSGPRsForWavesPerEU: 24
; NumVGPRsForWavesPerEU: 17
; AccumOffset: 20
; Occupancy: 8
; WaveLimiterHint : 0
; COMPUTE_PGM_RSRC2:SCRATCH_EN: 0
; COMPUTE_PGM_RSRC2:USER_SGPR: 6
; COMPUTE_PGM_RSRC2:TRAP_HANDLER: 0
; COMPUTE_PGM_RSRC2:TGID_X_EN: 1
; COMPUTE_PGM_RSRC2:TGID_Y_EN: 1
; COMPUTE_PGM_RSRC2:TGID_Z_EN: 1
; COMPUTE_PGM_RSRC2:TIDIG_COMP_CNT: 0
; COMPUTE_PGM_RSRC3_GFX90A:ACCUM_OFFSET: 4
; COMPUTE_PGM_RSRC3_GFX90A:TG_SPLIT: 0
	.section	.text._ZL33flash_attn_stream_k_fixup_generalILi64ELi32ELi1EEvPfPK15HIP_vector_typeIfLj2EEiiiiS1_IjLj3EES5_S5_S5_,"axG",@progbits,_ZL33flash_attn_stream_k_fixup_generalILi64ELi32ELi1EEvPfPK15HIP_vector_typeIfLj2EEiiiiS1_IjLj3EES5_S5_S5_,comdat
	.globl	_ZL33flash_attn_stream_k_fixup_generalILi64ELi32ELi1EEvPfPK15HIP_vector_typeIfLj2EEiiiiS1_IjLj3EES5_S5_S5_ ; -- Begin function _ZL33flash_attn_stream_k_fixup_generalILi64ELi32ELi1EEvPfPK15HIP_vector_typeIfLj2EEiiiiS1_IjLj3EES5_S5_S5_
	.p2align	8
	.type	_ZL33flash_attn_stream_k_fixup_generalILi64ELi32ELi1EEvPfPK15HIP_vector_typeIfLj2EEiiiiS1_IjLj3EES5_S5_S5_,@function
_ZL33flash_attn_stream_k_fixup_generalILi64ELi32ELi1EEvPfPK15HIP_vector_typeIfLj2EEiiiiS1_IjLj3EES5_S5_S5_: ; @_ZL33flash_attn_stream_k_fixup_generalILi64ELi32ELi1EEvPfPK15HIP_vector_typeIfLj2EEiiiiS1_IjLj3EES5_S5_S5_
; %bb.0:
	s_load_dwordx4 s[12:15], s[4:5], 0x10
	s_load_dword s9, s[4:5], 0x50
	s_mov_b32 s2, 0
	s_waitcnt lgkmcnt(0)
	s_mul_hi_i32 s3, s15, s6
	s_cmp_lg_u64 s[2:3], 0
	s_mul_i32 s2, s15, s6
	s_cbranch_scc0 .LBB7_21
; %bb.1:
	v_cvt_f32_u32_e32 v1, s9
	v_cvt_f32_ubyte0_e32 v2, 0
	s_sub_u32 s10, 0, s9
	s_subb_u32 s11, 0, 0
	v_madmk_f32 v1, v2, 0x4f800000, v1
	v_rcp_f32_e32 v1, v1
	v_mul_f32_e32 v1, 0x5f7ffffc, v1
	v_mul_f32_e32 v2, 0x2f800000, v1
	v_trunc_f32_e32 v2, v2
	v_madmk_f32 v1, v2, 0xcf800000, v1
	v_cvt_u32_f32_e32 v2, v2
	v_cvt_u32_f32_e32 v1, v1
	v_readfirstlane_b32 s16, v2
	v_readfirstlane_b32 s17, v1
	s_mul_i32 s18, s10, s16
	s_mul_hi_u32 s20, s10, s17
	s_mul_i32 s19, s11, s17
	s_add_i32 s18, s20, s18
	s_add_i32 s18, s18, s19
	s_mul_i32 s21, s10, s17
	s_mul_hi_u32 s19, s17, s18
	s_mul_i32 s20, s17, s18
	s_mul_hi_u32 s17, s17, s21
	s_add_u32 s17, s17, s20
	s_addc_u32 s19, 0, s19
	s_mul_hi_u32 s22, s16, s21
	s_mul_i32 s21, s16, s21
	s_add_u32 s17, s17, s21
	s_mul_hi_u32 s20, s16, s18
	s_addc_u32 s17, s19, s22
	s_addc_u32 s19, s20, 0
	s_mul_i32 s18, s16, s18
	s_add_u32 s17, s17, s18
	s_addc_u32 s18, 0, s19
	v_add_co_u32_e32 v1, vcc, s17, v1
	s_cmp_lg_u64 vcc, 0
	s_addc_u32 s16, s16, s18
	v_readfirstlane_b32 s18, v1
	s_mul_i32 s17, s10, s16
	s_mul_hi_u32 s19, s10, s18
	s_add_i32 s17, s19, s17
	s_mul_i32 s11, s11, s18
	s_add_i32 s17, s17, s11
	s_mul_i32 s10, s10, s18
	s_mul_hi_u32 s19, s16, s10
	s_mul_i32 s20, s16, s10
	s_mul_i32 s22, s18, s17
	s_mul_hi_u32 s10, s18, s10
	s_mul_hi_u32 s21, s18, s17
	s_add_u32 s10, s10, s22
	s_addc_u32 s18, 0, s21
	s_add_u32 s10, s10, s20
	s_mul_hi_u32 s11, s16, s17
	s_addc_u32 s10, s18, s19
	s_addc_u32 s11, s11, 0
	s_mul_i32 s17, s16, s17
	s_add_u32 s10, s10, s17
	s_addc_u32 s11, 0, s11
	v_add_co_u32_e32 v1, vcc, s10, v1
	s_cmp_lg_u64 vcc, 0
	s_addc_u32 s18, s16, s11
	s_ashr_i32 s10, s3, 31
	s_add_u32 s16, s2, s10
	s_mov_b32 s11, s10
	s_addc_u32 s17, s3, s10
	s_xor_b64 s[16:17], s[16:17], s[10:11]
	v_readfirstlane_b32 s20, v1
	s_mul_i32 s19, s16, s18
	s_mul_hi_u32 s21, s16, s20
	s_mul_hi_u32 s3, s16, s18
	s_add_u32 s19, s21, s19
	s_addc_u32 s3, 0, s3
	s_mul_hi_u32 s22, s17, s20
	s_mul_i32 s20, s17, s20
	s_add_u32 s19, s19, s20
	s_mul_hi_u32 s21, s17, s18
	s_addc_u32 s3, s3, s22
	s_addc_u32 s19, s21, 0
	s_mul_i32 s18, s17, s18
	s_add_u32 s3, s3, s18
	s_addc_u32 s18, 0, s19
	s_add_u32 s19, s3, 1
	s_addc_u32 s20, s18, 0
	s_add_u32 s21, s3, 2
	s_mul_i32 s23, s9, s18
	s_mul_hi_u32 s24, s9, s3
	s_addc_u32 s22, s18, 0
	s_add_i32 s24, s24, s23
	s_mul_i32 s23, s9, s3
	v_mov_b32_e32 v1, s23
	v_sub_co_u32_e32 v1, vcc, s16, v1
	s_cmp_lg_u64 vcc, 0
	s_subb_u32 s16, s17, s24
	v_subrev_co_u32_e32 v2, vcc, s9, v1
	s_cmp_lg_u64 vcc, 0
	s_subb_u32 s17, s16, 0
	v_readfirstlane_b32 s23, v2
	s_cmp_ge_u32 s23, s9
	s_cselect_b32 s23, -1, 0
	s_cmp_eq_u32 s17, 0
	s_cselect_b32 s17, s23, -1
	s_cmp_lg_u32 s17, 0
	s_cselect_b32 s17, s22, s20
	v_readfirstlane_b32 s20, v1
	s_cselect_b32 s19, s21, s19
	s_cmp_ge_u32 s20, s9
	s_cselect_b32 s20, -1, 0
	s_cmp_eq_u32 s16, 0
	s_cselect_b32 s16, s20, -1
	s_cmp_lg_u32 s16, 0
	s_cselect_b32 s17, s17, s18
	s_cselect_b32 s16, s19, s3
	s_xor_b64 s[16:17], s[16:17], s[10:11]
	s_sub_u32 s20, s16, s10
	s_load_dwordx4 s[16:19], s[4:5], 0x44
	s_cbranch_execnz .LBB7_3
.LBB7_2:
	v_cvt_f32_u32_e32 v1, s9
	s_sub_i32 s0, 0, s9
	v_rcp_iflag_f32_e32 v1, v1
	v_mul_f32_e32 v1, 0x4f7ffffe, v1
	v_cvt_u32_f32_e32 v1, v1
	v_readfirstlane_b32 s1, v1
	s_mul_i32 s0, s0, s1
	s_mul_hi_u32 s0, s1, s0
	s_add_i32 s1, s1, s0
	s_mul_hi_u32 s0, s2, s1
	s_mul_i32 s3, s0, s9
	s_sub_i32 s2, s2, s3
	s_add_i32 s1, s0, 1
	s_sub_i32 s3, s2, s9
	s_cmp_ge_u32 s2, s9
	s_cselect_b32 s0, s1, s0
	s_cselect_b32 s2, s3, s2
	s_add_i32 s1, s0, 1
	s_cmp_ge_u32 s2, s9
	s_cselect_b32 s20, s1, s0
.LBB7_3:
	s_add_i32 s0, s6, 1
	s_mul_hi_i32 s3, s15, s0
	s_mov_b32 s2, 0
	s_cmp_lg_u64 s[2:3], 0
	s_mul_i32 s2, s15, s0
	s_cbranch_scc0 .LBB7_22
; %bb.4:
	v_cvt_f32_u32_e32 v1, s9
	v_cvt_f32_ubyte0_e32 v2, 0
	s_sub_u32 s10, 0, s9
	s_subb_u32 s11, 0, 0
	v_madmk_f32 v1, v2, 0x4f800000, v1
	v_rcp_f32_e32 v1, v1
	v_mul_f32_e32 v1, 0x5f7ffffc, v1
	v_mul_f32_e32 v2, 0x2f800000, v1
	v_trunc_f32_e32 v2, v2
	v_madmk_f32 v1, v2, 0xcf800000, v1
	v_cvt_u32_f32_e32 v2, v2
	v_cvt_u32_f32_e32 v1, v1
	s_waitcnt lgkmcnt(0)
	v_readfirstlane_b32 s19, v2
	v_readfirstlane_b32 s21, v1
	s_mul_i32 s22, s10, s19
	s_mul_hi_u32 s24, s10, s21
	s_mul_i32 s23, s11, s21
	s_add_i32 s22, s24, s22
	s_add_i32 s22, s22, s23
	s_mul_i32 s25, s10, s21
	s_mul_hi_u32 s23, s21, s22
	s_mul_i32 s24, s21, s22
	s_mul_hi_u32 s21, s21, s25
	s_add_u32 s21, s21, s24
	s_addc_u32 s23, 0, s23
	s_mul_hi_u32 s26, s19, s25
	s_mul_i32 s25, s19, s25
	s_add_u32 s21, s21, s25
	s_mul_hi_u32 s24, s19, s22
	s_addc_u32 s21, s23, s26
	s_addc_u32 s23, s24, 0
	s_mul_i32 s22, s19, s22
	s_add_u32 s21, s21, s22
	s_addc_u32 s22, 0, s23
	v_add_co_u32_e32 v1, vcc, s21, v1
	s_cmp_lg_u64 vcc, 0
	s_addc_u32 s19, s19, s22
	v_readfirstlane_b32 s22, v1
	s_mul_i32 s21, s10, s19
	s_mul_hi_u32 s23, s10, s22
	s_add_i32 s21, s23, s21
	s_mul_i32 s11, s11, s22
	s_add_i32 s21, s21, s11
	s_mul_i32 s10, s10, s22
	s_mul_hi_u32 s23, s19, s10
	s_mul_i32 s24, s19, s10
	s_mul_i32 s26, s22, s21
	s_mul_hi_u32 s10, s22, s10
	s_mul_hi_u32 s25, s22, s21
	s_add_u32 s10, s10, s26
	s_addc_u32 s22, 0, s25
	s_add_u32 s10, s10, s24
	s_mul_hi_u32 s11, s19, s21
	s_addc_u32 s10, s22, s23
	s_addc_u32 s11, s11, 0
	s_mul_i32 s21, s19, s21
	s_add_u32 s10, s10, s21
	s_addc_u32 s11, 0, s11
	v_add_co_u32_e32 v1, vcc, s10, v1
	s_cmp_lg_u64 vcc, 0
	s_addc_u32 s19, s19, s11
	s_ashr_i32 s10, s3, 31
	s_add_u32 s22, s2, s10
	s_mov_b32 s11, s10
	s_addc_u32 s23, s3, s10
	s_xor_b64 s[22:23], s[22:23], s[10:11]
	v_readfirstlane_b32 s21, v1
	s_mul_i32 s11, s22, s19
	s_mul_hi_u32 s24, s22, s21
	s_mul_hi_u32 s3, s22, s19
	s_add_u32 s11, s24, s11
	s_addc_u32 s3, 0, s3
	s_mul_hi_u32 s25, s23, s21
	s_mul_i32 s21, s23, s21
	s_add_u32 s11, s11, s21
	s_mul_hi_u32 s24, s23, s19
	s_addc_u32 s3, s3, s25
	s_addc_u32 s11, s24, 0
	s_mul_i32 s19, s23, s19
	s_add_u32 s3, s3, s19
	s_addc_u32 s11, 0, s11
	s_mul_i32 s11, s9, s11
	s_mul_hi_u32 s24, s9, s3
	s_add_i32 s24, s24, s11
	s_mul_i32 s11, s9, s3
	v_mov_b32_e32 v1, s11
	s_add_u32 s19, s3, 1
	s_add_u32 s21, s3, 2
	v_sub_co_u32_e32 v1, vcc, s22, v1
	s_cmp_lg_u64 vcc, 0
	s_subb_u32 s11, s23, s24
	v_subrev_co_u32_e32 v2, vcc, s9, v1
	s_cmp_lg_u64 vcc, 0
	s_subb_u32 s22, s11, 0
	v_cmp_le_u32_e32 vcc, s9, v2
	s_cmp_eq_u32 s22, 0
	v_cndmask_b32_e64 v2, 0, -1, vcc
	s_cselect_b64 vcc, -1, 0
	v_cndmask_b32_e32 v2, -1, v2, vcc
	v_mov_b32_e32 v3, s19
	v_mov_b32_e32 v4, s21
	v_cmp_ne_u32_e32 vcc, 0, v2
	v_cndmask_b32_e32 v2, v3, v4, vcc
	v_cmp_le_u32_e32 vcc, s9, v1
	s_cmp_eq_u32 s11, 0
	v_cndmask_b32_e64 v1, 0, -1, vcc
	s_cselect_b64 vcc, -1, 0
	v_cndmask_b32_e32 v1, -1, v1, vcc
	v_mov_b32_e32 v3, s3
	v_cmp_ne_u32_e32 vcc, 0, v1
	v_cndmask_b32_e32 v1, v3, v2, vcc
	v_xor_b32_e32 v1, s10, v1
	v_subrev_co_u32_e32 v2, vcc, s10, v1
	s_cbranch_execnz .LBB7_6
.LBB7_5:
	v_cvt_f32_u32_e32 v1, s9
	s_sub_i32 s0, 0, s9
	s_mov_b32 s1, 0
	v_rcp_iflag_f32_e32 v1, v1
	v_mul_f32_e32 v1, 0x4f7ffffe, v1
	v_cvt_u32_f32_e32 v1, v1
	v_readfirstlane_b32 s3, v1
	s_mul_i32 s0, s0, s3
	s_mul_hi_u32 s0, s3, s0
	s_add_i32 s3, s3, s0
	s_mul_hi_u32 s0, s2, s3
	s_mul_i32 s10, s0, s9
	s_sub_i32 s2, s2, s10
	s_add_i32 s3, s0, 1
	s_sub_i32 s10, s2, s9
	s_cmp_ge_u32 s2, s9
	s_cselect_b32 s0, s3, s0
	s_cselect_b32 s2, s10, s2
	s_add_i32 s3, s0, 1
	s_cmp_ge_u32 s2, s9
	s_cselect_b32 s0, s3, s0
	v_pk_mov_b32 v[2:3], s[0:1], s[0:1] op_sel:[0,1]
.LBB7_6:
	s_waitcnt lgkmcnt(0)
	s_mul_hi_u32 s0, s20, s16
	s_add_i32 s0, s0, s20
	v_mul_hi_u32 v1, v2, s16
	s_lshr_b32 s19, s0, s17
	v_add_u32_e32 v1, v1, v2
	s_mul_i32 s0, s19, s18
	v_lshrrev_b32_e32 v1, s17, v1
	s_cmp_eq_u32 s0, s20
	v_cmp_eq_u32_e64 s[0:1], s19, v1
	v_mul_lo_u32 v1, v1, s18
	v_cmp_eq_u32_e32 vcc, s20, v2
	s_cselect_b64 s[10:11], -1, 0
	v_cmp_ne_u32_e64 s[2:3], v1, v2
	s_and_b64 s[0:1], s[0:1], s[2:3]
	s_or_b64 s[2:3], vcc, s[10:11]
	s_or_b64 s[0:1], s[2:3], s[0:1]
	s_and_b64 vcc, exec, s[0:1]
	s_cbranch_vccnz .LBB7_24
; %bb.7:
	s_load_dwordx8 s[24:31], s[4:5], 0x20
	s_load_dword s0, s[4:5], 0x40
	s_mov_b32 s10, 0
	s_waitcnt lgkmcnt(0)
	s_mul_hi_u32 s1, s20, s24
	s_add_i32 s1, s1, s20
	s_lshr_b32 s11, s1, s25
	s_mul_i32 s1, s11, s26
	s_sub_i32 s1, s20, s1
	s_mul_hi_u32 s2, s1, s27
	s_add_i32 s2, s1, s2
	s_lshr_b32 s25, s2, s28
	s_mul_i32 s2, s25, s29
	s_sub_i32 s1, s1, s2
	;; [unrolled: 5-line block ×3, first 2 shown]
	s_mul_hi_u32 s1, s0, s16
	s_add_i32 s0, s0, s1
	s_lshr_b32 s26, s0, s17
	s_lshl_b32 s0, s26, 5
	s_add_i32 s0, s0, s7
	s_cmp_lt_i32 s0, s12
	s_cselect_b64 s[0:1], -1, 0
	s_add_i32 s2, s24, s8
	s_cmp_lt_i32 s2, s14
	s_cselect_b64 s[2:3], -1, 0
	s_and_b64 s[0:1], s[0:1], s[2:3]
	s_andn2_b64 vcc, exec, s[0:1]
	s_cbranch_vccnz .LBB7_24
; %bb.8:
	s_load_dwordx4 s[0:3], s[4:5], 0x0
	s_lshl_b32 s4, s9, 7
	s_mov_b32 s5, s10
	s_add_i32 s21, s7, s8
	s_lshl_b64 s[4:5], s[4:5], 2
	s_waitcnt lgkmcnt(0)
	s_add_u32 s22, s2, s4
	s_mul_i32 s4, s11, s12
	s_addc_u32 s23, s3, s5
	s_add_i32 s4, s4, s7
	s_mul_i32 s4, s4, s13
	s_mul_i32 s25, s25, s14
	s_add_i32 s4, s4, s8
	s_add_i32 s4, s4, s25
	s_mul_i32 s5, s13, s26
	s_add_i32 s4, s4, s24
	s_lshl_b32 s5, s5, 11
	s_lshl_b32 s4, s4, 6
	s_add_i32 s5, s5, s4
	v_or_b32_e32 v2, s5, v0
	v_ashrrev_i32_e32 v3, 31, v2
	v_lshlrev_b64 v[2:3], 2, v[2:3]
	v_mov_b32_e32 v1, s1
	v_add_co_u32_e32 v2, vcc, s0, v2
	v_addc_co_u32_e32 v3, vcc, v1, v3, vcc
	global_load_dword v5, v[2:3], off
	v_lshl_or_b32 v4, s21, 6, v0
	v_cvt_f32_u32_e32 v0, s9
	v_cvt_f32_ubyte0_e32 v1, 0
	s_lshl_b32 s0, s6, 5
	s_add_i32 s0, s0, s21
	v_mac_f32_e32 v0, 0x4f800000, v1
	v_rcp_f32_e32 v0, v0
	v_cvt_f32_u32_e32 v1, s9
	s_ashr_i32 s1, s0, 31
	s_lshl_b64 s[0:1], s[0:1], 3
	v_mul_f32_e32 v0, 0x5f7ffffc, v0
	v_rcp_iflag_f32_e32 v1, v1
	s_add_u32 s0, s2, s0
	v_mul_f32_e32 v9, 0x2f800000, v0
	s_addc_u32 s1, s3, s1
	v_trunc_f32_e32 v10, v9
	s_load_dwordx2 s[0:1], s[0:1], 0x0
	v_mac_f32_e32 v0, 0xcf800000, v10
	v_cvt_u32_f32_e32 v9, v0
	v_mul_f32_e32 v0, 0x4f7ffffe, v1
	v_cvt_u32_f32_e32 v10, v10
	v_cvt_u32_f32_e32 v11, v0
	s_add_i32 s8, s6, -1
	s_waitcnt lgkmcnt(0)
	v_mov_b32_e32 v6, s1
	v_mov_b32_e32 v7, s0
	;; [unrolled: 1-line block ×3, first 2 shown]
	s_mov_b32 s6, 0x3fb8aa3b
	s_mov_b32 s7, 0xc2ce8ed0
	;; [unrolled: 1-line block ×4, first 2 shown]
	v_mov_b32_e32 v12, 0x7f800000
	s_mul_hi_i32 s11, s8, s15
	s_cmp_lg_u64 s[10:11], 0
	s_mul_i32 s4, s8, s15
	s_cbranch_scc0 .LBB7_15
.LBB7_9:
	s_sub_u32 s0, 0, s9
	v_readfirstlane_b32 s5, v9
	v_readfirstlane_b32 s24, v10
	s_subb_u32 s1, 0, 0
	s_mul_hi_u32 s20, s0, s5
	s_mul_i32 s25, s0, s24
	s_mul_i32 s14, s1, s5
	s_add_i32 s20, s20, s25
	s_add_i32 s20, s20, s14
	s_mul_i32 s26, s0, s5
	s_mul_hi_u32 s14, s5, s20
	s_mul_i32 s25, s5, s20
	s_mul_hi_u32 s5, s5, s26
	s_add_u32 s5, s5, s25
	s_addc_u32 s14, 0, s14
	s_mul_hi_u32 s27, s24, s26
	s_mul_i32 s26, s24, s26
	s_add_u32 s5, s5, s26
	s_mul_hi_u32 s25, s24, s20
	s_addc_u32 s5, s14, s27
	s_addc_u32 s14, s25, 0
	s_mul_i32 s20, s24, s20
	s_add_u32 s5, s5, s20
	s_addc_u32 s14, 0, s14
	v_add_co_u32_e32 v0, vcc, s5, v9
	s_cmp_lg_u64 vcc, 0
	s_addc_u32 s5, s24, s14
	v_readfirstlane_b32 s20, v0
	s_mul_i32 s14, s0, s5
	s_mul_hi_u32 s24, s0, s20
	s_add_i32 s14, s24, s14
	s_mul_i32 s1, s1, s20
	s_add_i32 s14, s14, s1
	s_mul_i32 s0, s0, s20
	s_mul_hi_u32 s24, s5, s0
	s_mul_i32 s25, s5, s0
	s_mul_i32 s27, s20, s14
	s_mul_hi_u32 s0, s20, s0
	s_mul_hi_u32 s26, s20, s14
	s_add_u32 s0, s0, s27
	s_addc_u32 s20, 0, s26
	s_add_u32 s0, s0, s25
	s_mul_hi_u32 s1, s5, s14
	s_addc_u32 s0, s20, s24
	s_addc_u32 s1, s1, 0
	s_mul_i32 s14, s5, s14
	s_add_u32 s0, s0, s14
	s_addc_u32 s1, 0, s1
	v_add_co_u32_e32 v0, vcc, s0, v0
	s_cmp_lg_u64 vcc, 0
	s_addc_u32 s5, s5, s1
	s_ashr_i32 s0, s11, 31
	s_add_u32 s24, s4, s0
	s_mov_b32 s1, s0
	s_addc_u32 s25, s11, s0
	s_xor_b64 s[24:25], s[24:25], s[0:1]
	v_readfirstlane_b32 s14, v0
	s_mul_i32 s11, s24, s5
	s_mul_hi_u32 s20, s24, s14
	s_mul_hi_u32 s1, s24, s5
	s_add_u32 s11, s20, s11
	s_addc_u32 s1, 0, s1
	s_mul_hi_u32 s26, s25, s14
	s_mul_i32 s14, s25, s14
	s_add_u32 s11, s11, s14
	s_mul_hi_u32 s20, s25, s5
	s_addc_u32 s1, s1, s26
	s_addc_u32 s11, s20, 0
	s_mul_i32 s5, s25, s5
	s_add_u32 s1, s1, s5
	s_addc_u32 s5, 0, s11
	s_mul_i32 s5, s9, s5
	s_mul_hi_u32 s20, s9, s1
	s_add_i32 s20, s20, s5
	s_mul_i32 s5, s9, s1
	v_mov_b32_e32 v0, s5
	s_add_u32 s11, s1, 1
	s_add_u32 s14, s1, 2
	v_sub_co_u32_e32 v0, vcc, s24, v0
	s_cmp_lg_u64 vcc, 0
	s_subb_u32 s5, s25, s20
	v_subrev_co_u32_e32 v1, vcc, s9, v0
	s_cmp_lg_u64 vcc, 0
	s_subb_u32 s20, s5, 0
	v_cmp_le_u32_e32 vcc, s9, v1
	s_cmp_eq_u32 s20, 0
	v_cndmask_b32_e64 v1, 0, -1, vcc
	s_cselect_b64 vcc, -1, 0
	v_cndmask_b32_e32 v1, -1, v1, vcc
	v_mov_b32_e32 v13, s11
	v_mov_b32_e32 v14, s14
	v_cmp_ne_u32_e32 vcc, 0, v1
	v_cndmask_b32_e32 v1, v13, v14, vcc
	v_cmp_le_u32_e32 vcc, s9, v0
	s_cmp_eq_u32 s5, 0
	v_cndmask_b32_e64 v0, 0, -1, vcc
	s_cselect_b64 vcc, -1, 0
	v_cndmask_b32_e32 v0, -1, v0, vcc
	v_mov_b32_e32 v13, s1
	v_cmp_ne_u32_e32 vcc, 0, v0
	v_cndmask_b32_e32 v0, v13, v1, vcc
	v_xor_b32_e32 v0, s0, v0
	v_subrev_co_u32_e32 v0, vcc, s0, v0
	s_cbranch_execnz .LBB7_11
.LBB7_10:
	s_sub_i32 s0, 0, s9
	v_mul_lo_u32 v0, s0, v11
	v_mul_hi_u32 v0, v11, v0
	v_add_u32_e32 v0, v11, v0
	v_mul_hi_u32 v0, s4, v0
	v_mul_lo_u32 v13, v0, s9
	v_sub_u32_e32 v13, s4, v13
	v_add_u32_e32 v1, 1, v0
	v_subrev_u32_e32 v14, s9, v13
	v_cmp_le_u32_e32 vcc, s9, v13
	v_cndmask_b32_e32 v13, v13, v14, vcc
	v_cndmask_b32_e32 v0, v0, v1, vcc
	v_add_u32_e32 v1, 1, v0
	v_cmp_le_u32_e32 vcc, s9, v13
	v_cndmask_b32_e32 v0, v0, v1, vcc
.LBB7_11:
	v_cmp_ne_u32_e32 vcc, v8, v0
	s_cbranch_vccz .LBB7_14
; %bb.12:
	s_add_i32 s0, s8, s9
	s_lshl_b32 s0, s0, 5
	v_mul_hi_u32 v1, v0, s16
	s_add_i32 s0, s0, s21
	s_mov_b32 s1, s10
	v_add_u32_e32 v1, v1, v0
	s_lshl_b64 s[0:1], s[0:1], 3
	v_lshrrev_b32_e32 v1, s17, v1
	s_add_u32 s4, s2, s0
	v_mul_lo_u32 v13, v1, s18
	s_addc_u32 s5, s3, s1
	v_cmp_eq_u32_e32 vcc, v13, v0
	v_cmp_gt_u32_e64 s[0:1], s19, v1
	s_or_b64 s[0:1], s[0:1], vcc
	s_and_b64 vcc, exec, s[0:1]
	s_cbranch_vccnz .LBB7_16
; %bb.13:
	s_add_i32 s11, s8, -1
	s_mov_b64 s[0:1], 0
	s_branch .LBB7_17
.LBB7_14:
                                        ; implicit-def: $sgpr0_sgpr1
                                        ; implicit-def: $vgpr14
                                        ; implicit-def: $vgpr1
                                        ; implicit-def: $vgpr13
                                        ; implicit-def: $sgpr11
                                        ; implicit-def: $vgpr0
	s_branch .LBB7_18
.LBB7_15:
                                        ; implicit-def: $vgpr0_vgpr1
	s_branch .LBB7_10
.LBB7_16:
	s_mov_b64 s[0:1], -1
	s_mov_b32 s11, s8
	v_mov_b32_e32 v0, v8
.LBB7_17:
	v_lshl_add_u32 v14, s8, 11, v4
	v_ashrrev_i32_e32 v15, 31, v14
	v_lshlrev_b64 v[14:15], 2, v[14:15]
	v_mov_b32_e32 v1, s23
	v_add_co_u32_e32 v14, vcc, s22, v14
	v_addc_co_u32_e32 v15, vcc, v1, v15, vcc
	global_load_dword v14, v[14:15], off
	s_load_dwordx2 s[4:5], s[4:5], 0x0
	v_max_f32_e32 v1, v7, v7
	s_waitcnt lgkmcnt(0)
	v_max_f32_e64 v13, s4, s4
	v_max_f32_e32 v1, v1, v13
	v_sub_f32_e32 v13, v7, v1
	v_sub_f32_e32 v15, s4, v1
	v_mul_f32_e32 v16, 0x3fb8aa3b, v13
	v_mul_f32_e32 v17, 0x3fb8aa3b, v15
	v_fma_f32 v18, v13, s6, -v16
	v_rndne_f32_e32 v19, v16
	v_fma_f32 v20, v15, s6, -v17
	v_rndne_f32_e32 v21, v17
	v_fmac_f32_e32 v18, 0x32a5705f, v13
	v_sub_f32_e32 v16, v16, v19
	v_fmac_f32_e32 v20, 0x32a5705f, v15
	v_sub_f32_e32 v17, v17, v21
	v_add_f32_e32 v16, v16, v18
	v_cvt_i32_f32_e32 v19, v19
	v_add_f32_e32 v17, v17, v20
	v_exp_f32_e32 v16, v16
	v_cvt_i32_f32_e32 v21, v21
	v_exp_f32_e32 v17, v17
	v_cmp_ngt_f32_e32 vcc, s7, v13
	v_ldexp_f32 v16, v16, v19
	v_cndmask_b32_e32 v16, 0, v16, vcc
	v_ldexp_f32 v17, v17, v21
	v_cmp_ngt_f32_e32 vcc, s7, v15
	v_cndmask_b32_e32 v17, 0, v17, vcc
	v_cmp_nlt_f32_e32 vcc, s12, v13
	v_cndmask_b32_e32 v16, v12, v16, vcc
	v_cmp_nlt_f32_e32 vcc, s12, v15
	v_cndmask_b32_e32 v17, v12, v17, vcc
	v_cmp_le_f32_e32 vcc, s13, v13
	v_cndmask_b32_e32 v16, 0, v16, vcc
	v_cmp_le_f32_e32 vcc, s13, v15
	v_cndmask_b32_e32 v15, 0, v17, vcc
	v_mul_f32_e32 v13, s5, v15
	v_fmac_f32_e32 v13, v6, v16
	s_waitcnt vmcnt(0)
	v_mul_f32_e32 v14, v14, v15
	v_fmac_f32_e32 v14, v5, v16
	s_cbranch_execnz .LBB7_19
.LBB7_18:
	s_add_i32 s11, s8, -1
	s_mov_b64 s[0:1], 0
	v_mov_b32_e32 v0, v8
	v_mov_b32_e32 v13, v6
	;; [unrolled: 1-line block ×3, first 2 shown]
	s_waitcnt vmcnt(0)
	v_mov_b32_e32 v14, v5
.LBB7_19:
	s_andn2_b64 vcc, exec, s[0:1]
	s_cbranch_vccz .LBB7_23
; %bb.20:
	v_mov_b32_e32 v8, v0
	s_mov_b32 s8, s11
	v_mov_b32_e32 v6, v13
	v_mov_b32_e32 v7, v1
	s_waitcnt vmcnt(0)
	v_mov_b32_e32 v5, v14
	s_mul_hi_i32 s11, s8, s15
	s_cmp_lg_u64 s[10:11], 0
	s_mul_i32 s4, s8, s15
	s_cbranch_scc1 .LBB7_9
	s_branch .LBB7_15
.LBB7_21:
                                        ; implicit-def: $sgpr20_sgpr21
	s_load_dwordx4 s[16:19], s[4:5], 0x44
	s_branch .LBB7_2
.LBB7_22:
                                        ; implicit-def: $vgpr2_vgpr3
	s_branch .LBB7_5
.LBB7_23:
	v_div_scale_f32 v0, s[0:1], v13, v13, v14
	v_rcp_f32_e32 v1, v0
	v_div_scale_f32 v4, vcc, v14, v13, v14
	s_waitcnt vmcnt(0)
	v_fma_f32 v5, -v0, v1, 1.0
	v_fmac_f32_e32 v1, v5, v1
	v_mul_f32_e32 v5, v4, v1
	v_fma_f32 v6, -v0, v5, v4
	v_fmac_f32_e32 v5, v6, v1
	v_fma_f32 v0, -v0, v5, v4
	v_div_fmas_f32 v0, v0, v1, v5
	v_div_fixup_f32 v0, v0, v13, v14
	global_store_dword v[2:3], v0, off
.LBB7_24:
	s_endpgm
	.section	.rodata,"a",@progbits
	.p2align	6, 0x0
	.amdhsa_kernel _ZL33flash_attn_stream_k_fixup_generalILi64ELi32ELi1EEvPfPK15HIP_vector_typeIfLj2EEiiiiS1_IjLj3EES5_S5_S5_
		.amdhsa_group_segment_fixed_size 0
		.amdhsa_private_segment_fixed_size 0
		.amdhsa_kernarg_size 336
		.amdhsa_user_sgpr_count 6
		.amdhsa_user_sgpr_private_segment_buffer 1
		.amdhsa_user_sgpr_dispatch_ptr 0
		.amdhsa_user_sgpr_queue_ptr 0
		.amdhsa_user_sgpr_kernarg_segment_ptr 1
		.amdhsa_user_sgpr_dispatch_id 0
		.amdhsa_user_sgpr_flat_scratch_init 0
		.amdhsa_user_sgpr_kernarg_preload_length 0
		.amdhsa_user_sgpr_kernarg_preload_offset 0
		.amdhsa_user_sgpr_private_segment_size 0
		.amdhsa_uses_dynamic_stack 0
		.amdhsa_system_sgpr_private_segment_wavefront_offset 0
		.amdhsa_system_sgpr_workgroup_id_x 1
		.amdhsa_system_sgpr_workgroup_id_y 1
		.amdhsa_system_sgpr_workgroup_id_z 1
		.amdhsa_system_sgpr_workgroup_info 0
		.amdhsa_system_vgpr_workitem_id 0
		.amdhsa_next_free_vgpr 22
		.amdhsa_next_free_sgpr 32
		.amdhsa_accum_offset 24
		.amdhsa_reserve_vcc 1
		.amdhsa_reserve_flat_scratch 0
		.amdhsa_float_round_mode_32 0
		.amdhsa_float_round_mode_16_64 0
		.amdhsa_float_denorm_mode_32 3
		.amdhsa_float_denorm_mode_16_64 3
		.amdhsa_dx10_clamp 1
		.amdhsa_ieee_mode 1
		.amdhsa_fp16_overflow 0
		.amdhsa_tg_split 0
		.amdhsa_exception_fp_ieee_invalid_op 0
		.amdhsa_exception_fp_denorm_src 0
		.amdhsa_exception_fp_ieee_div_zero 0
		.amdhsa_exception_fp_ieee_overflow 0
		.amdhsa_exception_fp_ieee_underflow 0
		.amdhsa_exception_fp_ieee_inexact 0
		.amdhsa_exception_int_div_zero 0
	.end_amdhsa_kernel
	.section	.text._ZL33flash_attn_stream_k_fixup_generalILi64ELi32ELi1EEvPfPK15HIP_vector_typeIfLj2EEiiiiS1_IjLj3EES5_S5_S5_,"axG",@progbits,_ZL33flash_attn_stream_k_fixup_generalILi64ELi32ELi1EEvPfPK15HIP_vector_typeIfLj2EEiiiiS1_IjLj3EES5_S5_S5_,comdat
.Lfunc_end7:
	.size	_ZL33flash_attn_stream_k_fixup_generalILi64ELi32ELi1EEvPfPK15HIP_vector_typeIfLj2EEiiiiS1_IjLj3EES5_S5_S5_, .Lfunc_end7-_ZL33flash_attn_stream_k_fixup_generalILi64ELi32ELi1EEvPfPK15HIP_vector_typeIfLj2EEiiiiS1_IjLj3EES5_S5_S5_
                                        ; -- End function
	.section	.AMDGPU.csdata,"",@progbits
; Kernel info:
; codeLenInByte = 2816
; NumSgprs: 36
; NumVgprs: 22
; NumAgprs: 0
; TotalNumVgprs: 22
; ScratchSize: 0
; MemoryBound: 0
; FloatMode: 240
; IeeeMode: 1
; LDSByteSize: 0 bytes/workgroup (compile time only)
; SGPRBlocks: 4
; VGPRBlocks: 2
; NumSGPRsForWavesPerEU: 36
; NumVGPRsForWavesPerEU: 22
; AccumOffset: 24
; Occupancy: 8
; WaveLimiterHint : 0
; COMPUTE_PGM_RSRC2:SCRATCH_EN: 0
; COMPUTE_PGM_RSRC2:USER_SGPR: 6
; COMPUTE_PGM_RSRC2:TRAP_HANDLER: 0
; COMPUTE_PGM_RSRC2:TGID_X_EN: 1
; COMPUTE_PGM_RSRC2:TGID_Y_EN: 1
; COMPUTE_PGM_RSRC2:TGID_Z_EN: 1
; COMPUTE_PGM_RSRC2:TIDIG_COMP_CNT: 0
; COMPUTE_PGM_RSRC3_GFX90A:ACCUM_OFFSET: 5
; COMPUTE_PGM_RSRC3_GFX90A:TG_SPLIT: 0
	.section	.text._ZL26flash_attn_combine_resultsILi64EEvPKfPK15HIP_vector_typeIfLj2EEPfi,"axG",@progbits,_ZL26flash_attn_combine_resultsILi64EEvPKfPK15HIP_vector_typeIfLj2EEPfi,comdat
	.globl	_ZL26flash_attn_combine_resultsILi64EEvPKfPK15HIP_vector_typeIfLj2EEPfi ; -- Begin function _ZL26flash_attn_combine_resultsILi64EEvPKfPK15HIP_vector_typeIfLj2EEPfi
	.p2align	8
	.type	_ZL26flash_attn_combine_resultsILi64EEvPKfPK15HIP_vector_typeIfLj2EEPfi,@function
_ZL26flash_attn_combine_resultsILi64EEvPKfPK15HIP_vector_typeIfLj2EEPfi: ; @_ZL26flash_attn_combine_resultsILi64EEvPKfPK15HIP_vector_typeIfLj2EEPfi
; %bb.0:
	s_load_dwordx2 s[10:11], s[4:5], 0x20
	s_load_dword s17, s[4:5], 0x18
	s_load_dwordx4 s[0:3], s[4:5], 0x0
	s_load_dwordx2 s[14:15], s[4:5], 0x10
	s_waitcnt lgkmcnt(0)
	s_mul_i32 s4, s10, s8
	s_add_i32 s4, s4, s6
	s_mul_i32 s16, s4, s11
	s_add_i32 s16, s16, s7
	s_lshl_b32 s18, s17, 1
	s_mul_i32 s4, s16, s17
	v_cmp_gt_i32_e32 vcc, s18, v0
	s_and_saveexec_b64 s[6:7], vcc
	s_cbranch_execz .LBB8_13
; %bb.1:
	v_xad_u32 v1, v0, -1, s18
	s_ashr_i32 s5, s4, 31
	v_cmp_lt_u32_e32 vcc, 63, v1
	s_mov_b64 s[10:11], -1
	v_mov_b32_e32 v2, v0
	s_and_saveexec_b64 s[8:9], vcc
	s_cbranch_execz .LBB8_10
; %bb.2:
	v_lshrrev_b32_e32 v6, 6, v1
	s_lshl_b64 s[10:11], s[4:5], 3
	v_add_u32_e32 v2, -1, v6
	s_add_u32 s19, s2, s10
	v_or_b32_e32 v1, 64, v0
	v_lshrrev_b32_e32 v3, 1, v2
	s_addc_u32 s20, s3, s11
	v_add_u32_e32 v7, 1, v3
	v_cmp_lt_u32_e32 vcc, 13, v2
	v_mov_b32_e32 v4, 0
	v_pk_mov_b32 v[2:3], v[0:1], v[0:1] op_sel:[0,1]
	s_and_saveexec_b64 s[10:11], vcc
	s_cbranch_execz .LBB8_6
; %bb.3:
	v_and_b32_e32 v8, -8, v7
	s_mov_b32 s21, 0
	v_lshl_add_u32 v9, v0, 2, 0
	s_mov_b64 s[12:13], 0
	v_mov_b32_e32 v10, s20
	v_mov_b32_e32 v5, 0
	v_pk_mov_b32 v[2:3], v[0:1], v[0:1] op_sel:[0,1]
.LBB8_4:                                ; =>This Inner Loop Header: Depth=1
	v_mov_b32_e32 v4, v2
	v_lshlrev_b64 v[26:27], 2, v[4:5]
	v_add_u32_e32 v12, 0x80, v3
	v_mov_b32_e32 v13, v5
	v_add_co_u32_e32 v26, vcc, s19, v26
	v_lshlrev_b64 v[12:13], 2, v[12:13]
	v_addc_co_u32_e32 v27, vcc, v10, v27, vcc
	v_add_u32_e32 v14, 0x100, v3
	v_mov_b32_e32 v15, v5
	v_add_co_u32_e32 v12, vcc, s19, v12
	v_lshlrev_b64 v[14:15], 2, v[14:15]
	v_addc_co_u32_e32 v13, vcc, v10, v13, vcc
	;; [unrolled: 5-line block ×7, first 2 shown]
	v_mov_b32_e32 v4, v3
	v_add_co_u32_e32 v24, vcc, s19, v24
	v_lshlrev_b64 v[28:29], 2, v[4:5]
	v_addc_co_u32_e32 v25, vcc, v10, v25, vcc
	v_add_u32_e32 v4, 0x80, v2
	v_add_co_u32_e32 v28, vcc, s19, v28
	v_addc_co_u32_e32 v29, vcc, v10, v29, vcc
	global_load_dword v1, v[26:27], off
	v_lshlrev_b64 v[26:27], 2, v[4:5]
	v_add_u32_e32 v4, 0x100, v2
	v_add_co_u32_e32 v26, vcc, s19, v26
	v_addc_co_u32_e32 v27, vcc, v10, v27, vcc
	v_lshlrev_b64 v[30:31], 2, v[4:5]
	v_add_u32_e32 v4, 0x180, v2
	global_load_dword v11, v[28:29], off
	global_load_dword v32, v[26:27], off
	;; [unrolled: 1-line block ×3, first 2 shown]
	v_add_co_u32_e32 v12, vcc, s19, v30
	v_addc_co_u32_e32 v13, vcc, v10, v31, vcc
	v_lshlrev_b64 v[26:27], 2, v[4:5]
	v_add_u32_e32 v4, 0x200, v2
	v_add_co_u32_e32 v26, vcc, s19, v26
	v_addc_co_u32_e32 v27, vcc, v10, v27, vcc
	v_lshlrev_b64 v[28:29], 2, v[4:5]
	v_add_u32_e32 v4, 0x280, v2
	global_load_dword v30, v[12:13], off
	global_load_dword v31, v[14:15], off
	;; [unrolled: 1-line block ×4, first 2 shown]
	v_add_co_u32_e32 v12, vcc, s19, v28
	v_addc_co_u32_e32 v13, vcc, v10, v29, vcc
	v_lshlrev_b64 v[14:15], 2, v[4:5]
	v_add_u32_e32 v4, 0x300, v2
	v_add_co_u32_e32 v14, vcc, s19, v14
	v_addc_co_u32_e32 v15, vcc, v10, v15, vcc
	v_lshlrev_b64 v[16:17], 2, v[4:5]
	v_add_u32_e32 v4, 0x380, v2
	global_load_dword v26, v[12:13], off
	global_load_dword v27, v[18:19], off
	;; [unrolled: 1-line block ×4, first 2 shown]
	v_add_co_u32_e32 v12, vcc, s19, v16
	v_addc_co_u32_e32 v13, vcc, v10, v17, vcc
	v_lshlrev_b64 v[14:15], 2, v[4:5]
	v_add_co_u32_e32 v14, vcc, s19, v14
	v_addc_co_u32_e32 v15, vcc, v10, v15, vcc
	global_load_dword v16, v[12:13], off
	global_load_dword v17, v[22:23], off
	;; [unrolled: 1-line block ×4, first 2 shown]
	v_add_u32_e32 v8, -8, v8
	s_add_i32 s21, s21, 16
	v_cmp_eq_u32_e32 vcc, 0, v8
	v_add_u32_e32 v3, 0x400, v3
	v_mov_b32_e32 v4, s21
	s_or_b64 s[12:13], vcc, s[12:13]
	v_add_u32_e32 v2, 0x400, v2
	s_waitcnt vmcnt(14)
	ds_write2st64_b32 v9, v1, v11 offset1:1
	s_waitcnt vmcnt(12)
	ds_write2st64_b32 v9, v32, v33 offset0:2 offset1:3
	s_waitcnt vmcnt(10)
	ds_write2st64_b32 v9, v30, v31 offset0:4 offset1:5
	;; [unrolled: 2-line block ×7, first 2 shown]
	v_add_u32_e32 v9, 0x1000, v9
	s_andn2_b64 exec, exec, s[12:13]
	s_cbranch_execnz .LBB8_4
; %bb.5:
	s_or_b64 exec, exec, s[12:13]
.LBB8_6:
	s_or_b64 exec, exec, s[10:11]
	v_and_b32_e32 v1, 7, v7
	v_cmp_ne_u32_e32 vcc, 0, v1
	s_and_saveexec_b64 s[10:11], vcc
	s_cbranch_execz .LBB8_9
; %bb.7:
	v_lshlrev_b32_e32 v5, 2, v0
	v_lshl_or_b32 v4, v4, 8, v5
	v_add_u32_e32 v7, 0, v4
	s_mov_b64 s[12:13], 0
	v_mov_b32_e32 v8, s20
	v_mov_b32_e32 v5, 0
.LBB8_8:                                ; =>This Inner Loop Header: Depth=1
	v_mov_b32_e32 v4, v2
	v_lshlrev_b64 v[10:11], 2, v[4:5]
	v_mov_b32_e32 v4, v3
	v_add_co_u32_e32 v10, vcc, s19, v10
	v_addc_co_u32_e32 v11, vcc, v8, v11, vcc
	v_lshlrev_b64 v[12:13], 2, v[4:5]
	v_add_co_u32_e32 v12, vcc, s19, v12
	v_addc_co_u32_e32 v13, vcc, v8, v13, vcc
	global_load_dword v4, v[10:11], off
	global_load_dword v9, v[12:13], off
	v_add_u32_e32 v1, -1, v1
	v_cmp_eq_u32_e32 vcc, 0, v1
	v_add_u32_e32 v2, 0x80, v2
	v_add_u32_e32 v3, 0x80, v3
	s_or_b64 s[12:13], vcc, s[12:13]
	s_waitcnt vmcnt(0)
	ds_write2st64_b32 v7, v4, v9 offset1:1
	v_add_u32_e32 v7, 0x200, v7
	s_andn2_b64 exec, exec, s[12:13]
	s_cbranch_execnz .LBB8_8
.LBB8_9:
	s_or_b64 exec, exec, s[10:11]
	v_add_u32_e32 v1, 1, v6
	v_and_b32_e32 v3, 0x7fffffe, v1
	v_cmp_ne_u32_e32 vcc, v1, v3
	v_lshl_or_b32 v2, v3, 6, v0
	s_orn2_b64 s[10:11], vcc, exec
.LBB8_10:
	s_or_b64 exec, exec, s[8:9]
	s_and_b64 exec, exec, s[10:11]
	s_cbranch_execz .LBB8_13
; %bb.11:
	s_lshl_b64 s[8:9], s[4:5], 3
	v_mov_b32_e32 v3, 0
	s_add_u32 s2, s2, s8
	v_lshlrev_b64 v[4:5], 2, v[2:3]
	s_addc_u32 s3, s3, s9
	v_mov_b32_e32 v1, s3
	v_add_co_u32_e32 v4, vcc, s2, v4
	v_addc_co_u32_e32 v5, vcc, v1, v5, vcc
	v_lshl_add_u32 v1, v2, 2, 0
	s_mov_b64 s[2:3], 0
.LBB8_12:                               ; =>This Inner Loop Header: Depth=1
	global_load_dword v3, v[4:5], off
	v_add_co_u32_e32 v4, vcc, 0x100, v4
	v_add_u32_e32 v2, 64, v2
	v_addc_co_u32_e32 v5, vcc, 0, v5, vcc
	v_cmp_le_i32_e32 vcc, s18, v2
	s_or_b64 s[2:3], vcc, s[2:3]
	s_waitcnt vmcnt(0)
	ds_write_b32 v1, v3
	v_add_u32_e32 v1, 0x100, v1
	s_andn2_b64 exec, exec, s[2:3]
	s_cbranch_execnz .LBB8_12
.LBB8_13:
	s_or_b64 exec, exec, s[6:7]
	v_mov_b32_e32 v1, 0
	s_waitcnt lgkmcnt(0)
	; wave barrier
	s_waitcnt lgkmcnt(0)
	ds_read_b32 v1, v1
	s_cmp_lt_i32 s17, 2
	s_cbranch_scc1 .LBB8_21
; %bb.14:
	s_add_i32 s2, s17, -1
	s_add_i32 s3, s17, -2
	s_cmp_lt_u32 s3, 7
	s_cbranch_scc1 .LBB8_18
; %bb.15:
	s_mov_b32 s6, 0
	s_add_i32 s3, 0, 8
	s_and_b32 s5, s2, -8
.LBB8_16:                               ; =>This Inner Loop Header: Depth=1
	v_mov_b32_e32 v8, s3
	ds_read2_b32 v[2:3], v8 offset1:2
	ds_read2_b32 v[4:5], v8 offset0:4 offset1:6
	ds_read2_b32 v[6:7], v8 offset0:8 offset1:10
	;; [unrolled: 1-line block ×3, first 2 shown]
	s_mov_b32 s7, s6
	s_waitcnt lgkmcnt(3)
	v_max3_f32 v1, v1, v2, v3
	s_waitcnt lgkmcnt(2)
	v_max3_f32 v1, v1, v4, v5
	s_add_i32 s3, s3, 64
	s_add_i32 s6, s6, 8
	s_waitcnt lgkmcnt(1)
	v_max3_f32 v1, v1, v6, v7
	s_cmp_eq_u32 s5, s6
	s_waitcnt lgkmcnt(0)
	v_max3_f32 v1, v1, v8, v9
	s_cbranch_scc0 .LBB8_16
; %bb.17:
	s_add_i32 s3, s7, 9
	s_and_b32 s2, s2, 7
	s_cmp_eq_u32 s2, 0
	s_cbranch_scc0 .LBB8_19
	s_branch .LBB8_21
.LBB8_18:
	s_mov_b32 s3, 1
	s_and_b32 s2, s2, 7
	s_cmp_eq_u32 s2, 0
	s_cbranch_scc1 .LBB8_21
.LBB8_19:
	s_lshl_b32 s3, s3, 3
	s_add_i32 s3, s3, 0
.LBB8_20:                               ; =>This Inner Loop Header: Depth=1
	v_mov_b32_e32 v2, s3
	ds_read_b32 v2, v2
	s_waitcnt lgkmcnt(1)
	v_max_f32_e32 v1, v1, v1
	s_add_i32 s3, s3, 8
	s_add_i32 s2, s2, -1
	s_cmp_lg_u32 s2, 0
	s_waitcnt lgkmcnt(0)
	v_max_f32_e32 v2, v2, v2
	v_max_f32_e32 v1, v1, v2
	s_cbranch_scc1 .LBB8_20
.LBB8_21:
	s_cmp_lt_i32 s17, 1
	s_cbranch_scc1 .LBB8_26
; %bb.22:
	s_lshl_b32 s2, s4, 6
	s_ashr_i32 s3, s2, 31
	s_lshl_b64 s[2:3], s[2:3], 2
	s_add_u32 s18, s0, s2
	s_addc_u32 s19, s1, s3
	s_cmp_lt_u32 s17, 8
	v_mov_b32_e32 v6, 0
	s_cbranch_scc1 .LBB8_27
; %bb.23:
	s_and_b32 s20, s17, 0x7ffffff8
	v_or_b32_e32 v2, 0x1c0, v0
	s_mov_b32 s21, 0
	v_mov_b32_e32 v5, 0
	s_mov_b32 s22, 0x3fb8aa3b
	s_mov_b32 s23, 0xc2ce8ed0
	;; [unrolled: 1-line block ×3, first 2 shown]
	v_mov_b32_e32 v8, 0x7f800000
	v_mov_b32_e32 v9, s19
	s_mov_b32 s25, 0
	v_mov_b32_e32 v7, 0
	v_mov_b32_e32 v6, 0
.LBB8_24:                               ; =>This Inner Loop Header: Depth=1
	v_add_u32_e32 v4, 0xfffffe40, v2
	v_lshlrev_b64 v[26:27], 2, v[4:5]
	v_mov_b32_e32 v3, v5
	v_add_co_u32_e32 v26, vcc, s18, v26
	v_lshlrev_b64 v[28:29], 2, v[2:3]
	v_addc_co_u32_e32 v27, vcc, v9, v27, vcc
	v_add_u32_e32 v4, 0xfffffe80, v2
	v_add_co_u32_e32 v28, vcc, s18, v28
	v_mov_b32_e32 v22, s21
	v_lshlrev_b64 v[30:31], 2, v[4:5]
	v_addc_co_u32_e32 v29, vcc, v9, v29, vcc
	ds_read2_b64 v[10:13], v22 offset1:1
	ds_read2_b64 v[14:17], v22 offset0:2 offset1:3
	ds_read2_b64 v[18:21], v22 offset0:4 offset1:5
	;; [unrolled: 1-line block ×3, first 2 shown]
	v_add_u32_e32 v4, 0xfffffec0, v2
	global_load_dword v3, v[26:27], off
	v_add_co_u32_e32 v26, vcc, s18, v30
	v_addc_co_u32_e32 v27, vcc, v9, v31, vcc
	v_lshlrev_b64 v[30:31], 2, v[4:5]
	v_add_u32_e32 v4, 0xffffff00, v2
	v_add_co_u32_e32 v30, vcc, s18, v30
	v_addc_co_u32_e32 v31, vcc, v9, v31, vcc
	v_lshlrev_b64 v[32:33], 2, v[4:5]
	v_add_u32_e32 v4, 0xffffff40, v2
	global_load_dword v34, v[26:27], off
	global_load_dword v35, v[30:31], off
	v_add_co_u32_e32 v26, vcc, s18, v32
	v_addc_co_u32_e32 v27, vcc, v9, v33, vcc
	v_lshlrev_b64 v[30:31], 2, v[4:5]
	v_add_u32_e32 v4, 0xffffff80, v2
	v_add_co_u32_e32 v30, vcc, s18, v30
	v_addc_co_u32_e32 v31, vcc, v9, v31, vcc
	v_lshlrev_b64 v[32:33], 2, v[4:5]
	global_load_dword v36, v[26:27], off
	v_subrev_u32_e32 v4, 64, v2
	global_load_dword v28, v[28:29], off
	v_add_co_u32_e32 v26, vcc, s18, v32
	v_addc_co_u32_e32 v27, vcc, v9, v33, vcc
	global_load_dword v42, v[30:31], off
	s_waitcnt lgkmcnt(3)
	v_sub_f32_e32 v12, v12, v1
	global_load_dword v26, v[26:27], off
	v_lshlrev_b64 v[30:31], 2, v[4:5]
	v_add_co_u32_e32 v30, vcc, s18, v30
	v_addc_co_u32_e32 v31, vcc, v9, v31, vcc
	global_load_dword v30, v[30:31], off
	s_waitcnt lgkmcnt(2)
	v_sub_f32_e32 v14, v14, v1
	v_sub_f32_e32 v10, v10, v1
	v_mul_f32_e32 v38, 0x3fb8aa3b, v12
	v_mul_f32_e32 v39, 0x3fb8aa3b, v14
	s_waitcnt lgkmcnt(1)
	v_sub_f32_e32 v18, v18, v1
	s_waitcnt lgkmcnt(0)
	v_sub_f32_e32 v22, v22, v1
	v_mul_f32_e32 v37, 0x3fb8aa3b, v10
	v_fma_f32 v45, v12, s22, -v38
	v_rndne_f32_e32 v46, v38
	v_fma_f32 v47, v14, s22, -v39
	v_rndne_f32_e32 v48, v39
	v_sub_f32_e32 v16, v16, v1
	v_sub_f32_e32 v20, v20, v1
	v_mul_f32_e32 v41, 0x3fb8aa3b, v18
	v_mul_f32_e32 v32, 0x3fb8aa3b, v22
	v_fma_f32 v33, v10, s22, -v37
	v_rndne_f32_e32 v44, v37
	v_fmac_f32_e32 v45, 0x32a5705f, v12
	v_sub_f32_e32 v38, v38, v46
	v_fmac_f32_e32 v47, 0x32a5705f, v14
	v_sub_f32_e32 v39, v39, v48
	v_mul_f32_e32 v40, 0x3fb8aa3b, v16
	v_mul_f32_e32 v43, 0x3fb8aa3b, v20
	v_fma_f32 v27, v18, s22, -v41
	v_rndne_f32_e32 v31, v41
	v_fmac_f32_e32 v33, 0x32a5705f, v10
	v_sub_f32_e32 v37, v37, v44
	v_add_f32_e32 v38, v38, v45
	v_fma_f32 v45, v22, s22, -v32
	v_add_f32_e32 v39, v39, v47
	v_rndne_f32_e32 v47, v32
	v_fma_f32 v49, v16, s22, -v40
	v_rndne_f32_e32 v50, v40
	v_fma_f32 v29, v20, s22, -v43
	v_add_f32_e32 v33, v37, v33
	v_rndne_f32_e32 v37, v43
	v_fmac_f32_e32 v27, 0x32a5705f, v18
	v_sub_f32_e32 v41, v41, v31
	v_fmac_f32_e32 v45, 0x32a5705f, v22
	v_sub_f32_e32 v32, v32, v47
	;; [unrolled: 2-line block ×3, first 2 shown]
	v_add_f32_e32 v27, v41, v27
	v_cvt_i32_f32_e32 v44, v44
	v_fmac_f32_e32 v29, 0x32a5705f, v20
	v_sub_f32_e32 v43, v43, v37
	v_add_f32_e32 v32, v32, v45
	v_exp_f32_e32 v33, v33
	v_add_f32_e32 v40, v40, v49
	v_cvt_i32_f32_e32 v46, v46
	v_cvt_i32_f32_e32 v31, v31
	;; [unrolled: 1-line block ×3, first 2 shown]
	v_add_f32_e32 v29, v43, v29
	v_exp_f32_e32 v38, v38
	v_exp_f32_e32 v27, v27
	;; [unrolled: 1-line block ×3, first 2 shown]
	v_sub_f32_e32 v24, v24, v1
	v_cvt_i32_f32_e32 v48, v48
	v_cvt_i32_f32_e32 v50, v50
	;; [unrolled: 1-line block ×3, first 2 shown]
	v_exp_f32_e32 v39, v39
	v_exp_f32_e32 v40, v40
	v_exp_f32_e32 v29, v29
	v_mul_f32_e32 v4, 0x3fb8aa3b, v24
	v_fma_f32 v49, v24, s22, -v4
	v_rndne_f32_e32 v41, v4
	v_ldexp_f32 v33, v33, v44
	v_cmp_ngt_f32_e64 s[12:13], s23, v10
	v_fmac_f32_e32 v49, 0x32a5705f, v24
	v_sub_f32_e32 v4, v4, v41
	v_ldexp_f32 v38, v38, v46
	v_cmp_ngt_f32_e32 vcc, s23, v12
	v_ldexp_f32 v27, v27, v31
	v_ldexp_f32 v31, v32, v47
	v_cndmask_b32_e64 v32, 0, v33, s[12:13]
	v_cmp_nlt_f32_e64 s[12:13], s24, v10
	v_add_f32_e32 v4, v4, v49
	v_ldexp_f32 v39, v39, v48
	v_cmp_ngt_f32_e64 s[0:1], s23, v14
	v_ldexp_f32 v40, v40, v50
	v_cmp_ngt_f32_e64 s[2:3], s23, v16
	v_cmp_ngt_f32_e64 s[4:5], s23, v18
	v_ldexp_f32 v29, v29, v37
	v_cmp_ngt_f32_e64 s[6:7], s23, v20
	v_cmp_ngt_f32_e64 s[8:9], s23, v22
	v_cndmask_b32_e32 v33, 0, v38, vcc
	v_cmp_nlt_f32_e32 vcc, s24, v12
	v_cndmask_b32_e64 v10, v8, v32, s[12:13]
	v_cvt_i32_f32_e32 v41, v41
	v_exp_f32_e32 v4, v4
	v_cndmask_b32_e64 v12, 0, v39, s[0:1]
	v_cmp_nlt_f32_e64 s[0:1], s24, v14
	v_cndmask_b32_e64 v14, 0, v40, s[2:3]
	v_cmp_nlt_f32_e64 s[2:3], s24, v16
	;; [unrolled: 2-line block ×5, first 2 shown]
	v_cndmask_b32_e32 v22, v8, v33, vcc
	v_fmac_f32_e32 v7, v10, v11
	s_waitcnt vmcnt(7)
	v_fmac_f32_e32 v6, v3, v10
	v_cndmask_b32_e64 v12, v8, v12, s[0:1]
	v_fmac_f32_e32 v7, v22, v13
	s_waitcnt vmcnt(6)
	v_fmac_f32_e32 v6, v34, v22
	v_cndmask_b32_e64 v14, v8, v14, s[2:3]
	;; [unrolled: 4-line block ×3, first 2 shown]
	v_fmac_f32_e32 v7, v14, v17
	s_waitcnt vmcnt(4)
	v_fmac_f32_e32 v6, v36, v14
	v_ldexp_f32 v4, v4, v41
	v_cmp_ngt_f32_e64 s[10:11], s23, v24
	v_cndmask_b32_e64 v18, v8, v18, s[6:7]
	v_fmac_f32_e32 v7, v16, v19
	s_waitcnt vmcnt(2)
	v_fmac_f32_e32 v6, v42, v16
	v_cndmask_b32_e64 v4, 0, v4, s[10:11]
	v_cmp_nlt_f32_e64 s[10:11], s24, v24
	v_cndmask_b32_e64 v20, v8, v20, s[8:9]
	v_fmac_f32_e32 v7, v18, v21
	s_waitcnt vmcnt(1)
	v_fmac_f32_e32 v6, v26, v18
	s_add_i32 s25, s25, 8
	s_add_i32 s21, s21, 64
	v_cndmask_b32_e64 v4, v8, v4, s[10:11]
	v_fmac_f32_e32 v7, v20, v23
	s_waitcnt vmcnt(0)
	v_fmac_f32_e32 v6, v30, v20
	s_cmp_eq_u32 s20, s25
	v_add_u32_e32 v2, 0x200, v2
	v_fmac_f32_e32 v7, v4, v25
	v_fmac_f32_e32 v6, v28, v4
	s_cbranch_scc0 .LBB8_24
; %bb.25:
	s_and_b32 s0, s17, 7
	s_cmp_eq_u32 s0, 0
	s_cbranch_scc0 .LBB8_28
	s_branch .LBB8_30
.LBB8_26:
	s_waitcnt lgkmcnt(0)
	v_mov_b32_e32 v1, 0x7fc00000
	s_branch .LBB8_31
.LBB8_27:
	s_mov_b32 s20, 0
	v_mov_b32_e32 v7, 0
	s_and_b32 s0, s17, 7
	s_cmp_eq_u32 s0, 0
	s_cbranch_scc1 .LBB8_30
.LBB8_28:
	s_lshl_b32 s1, s20, 3
	v_lshl_or_b32 v2, s20, 6, v0
	s_add_i32 s1, s1, 0
	s_mov_b32 s2, 0x3fb8aa3b
	s_mov_b32 s3, 0xc2ce8ed0
	;; [unrolled: 1-line block ×3, first 2 shown]
	v_mov_b32_e32 v4, 0x7f800000
	v_mov_b32_e32 v3, 0
	;; [unrolled: 1-line block ×3, first 2 shown]
.LBB8_29:                               ; =>This Inner Loop Header: Depth=1
	v_lshlrev_b64 v[8:9], 2, v[2:3]
	v_add_co_u32_e32 v8, vcc, s18, v8
	v_addc_co_u32_e32 v9, vcc, v5, v9, vcc
	global_load_dword v10, v[8:9], off
	v_mov_b32_e32 v8, s1
	ds_read_b64 v[8:9], v8
	s_add_i32 s1, s1, 8
	s_add_i32 s0, s0, -1
	v_add_u32_e32 v2, 64, v2
	s_cmp_lg_u32 s0, 0
	s_waitcnt lgkmcnt(0)
	v_sub_f32_e32 v8, v8, v1
	v_mul_f32_e32 v11, 0x3fb8aa3b, v8
	v_fma_f32 v12, v8, s2, -v11
	v_rndne_f32_e32 v13, v11
	v_fmac_f32_e32 v12, 0x32a5705f, v8
	v_sub_f32_e32 v11, v11, v13
	v_add_f32_e32 v11, v11, v12
	v_cvt_i32_f32_e32 v13, v13
	v_exp_f32_e32 v11, v11
	v_cmp_ngt_f32_e32 vcc, s3, v8
	v_ldexp_f32 v11, v11, v13
	v_cndmask_b32_e32 v11, 0, v11, vcc
	v_cmp_nlt_f32_e32 vcc, s4, v8
	v_cndmask_b32_e32 v8, v4, v11, vcc
	v_fmac_f32_e32 v7, v8, v9
	s_waitcnt vmcnt(0)
	v_fmac_f32_e32 v6, v10, v8
	s_cbranch_scc1 .LBB8_29
.LBB8_30:
	s_waitcnt lgkmcnt(0)
	v_div_scale_f32 v1, s[0:1], v7, v7, v6
	v_rcp_f32_e32 v2, v1
	v_div_scale_f32 v3, vcc, v6, v7, v6
	v_fma_f32 v4, -v1, v2, 1.0
	v_fmac_f32_e32 v2, v4, v2
	v_mul_f32_e32 v4, v3, v2
	v_fma_f32 v5, -v1, v4, v3
	v_fmac_f32_e32 v4, v5, v2
	v_fma_f32 v1, -v1, v4, v3
	v_div_fmas_f32 v1, v1, v2, v4
	v_div_fixup_f32 v1, v1, v7, v6
.LBB8_31:
	s_lshl_b32 s0, s16, 6
	s_ashr_i32 s1, s0, 31
	s_lshl_b64 s[0:1], s[0:1], 2
	s_add_u32 s0, s14, s0
	s_addc_u32 s1, s15, s1
	v_lshlrev_b32_e32 v0, 2, v0
	global_store_dword v0, v1, s[0:1]
	s_endpgm
	.section	.rodata,"a",@progbits
	.p2align	6, 0x0
	.amdhsa_kernel _ZL26flash_attn_combine_resultsILi64EEvPKfPK15HIP_vector_typeIfLj2EEPfi
		.amdhsa_group_segment_fixed_size 0
		.amdhsa_private_segment_fixed_size 0
		.amdhsa_kernarg_size 288
		.amdhsa_user_sgpr_count 6
		.amdhsa_user_sgpr_private_segment_buffer 1
		.amdhsa_user_sgpr_dispatch_ptr 0
		.amdhsa_user_sgpr_queue_ptr 0
		.amdhsa_user_sgpr_kernarg_segment_ptr 1
		.amdhsa_user_sgpr_dispatch_id 0
		.amdhsa_user_sgpr_flat_scratch_init 0
		.amdhsa_user_sgpr_kernarg_preload_length 0
		.amdhsa_user_sgpr_kernarg_preload_offset 0
		.amdhsa_user_sgpr_private_segment_size 0
		.amdhsa_uses_dynamic_stack 0
		.amdhsa_system_sgpr_private_segment_wavefront_offset 0
		.amdhsa_system_sgpr_workgroup_id_x 1
		.amdhsa_system_sgpr_workgroup_id_y 1
		.amdhsa_system_sgpr_workgroup_id_z 1
		.amdhsa_system_sgpr_workgroup_info 0
		.amdhsa_system_vgpr_workitem_id 0
		.amdhsa_next_free_vgpr 51
		.amdhsa_next_free_sgpr 26
		.amdhsa_accum_offset 52
		.amdhsa_reserve_vcc 1
		.amdhsa_reserve_flat_scratch 0
		.amdhsa_float_round_mode_32 0
		.amdhsa_float_round_mode_16_64 0
		.amdhsa_float_denorm_mode_32 3
		.amdhsa_float_denorm_mode_16_64 3
		.amdhsa_dx10_clamp 1
		.amdhsa_ieee_mode 1
		.amdhsa_fp16_overflow 0
		.amdhsa_tg_split 0
		.amdhsa_exception_fp_ieee_invalid_op 0
		.amdhsa_exception_fp_denorm_src 0
		.amdhsa_exception_fp_ieee_div_zero 0
		.amdhsa_exception_fp_ieee_overflow 0
		.amdhsa_exception_fp_ieee_underflow 0
		.amdhsa_exception_fp_ieee_inexact 0
		.amdhsa_exception_int_div_zero 0
	.end_amdhsa_kernel
	.section	.text._ZL26flash_attn_combine_resultsILi64EEvPKfPK15HIP_vector_typeIfLj2EEPfi,"axG",@progbits,_ZL26flash_attn_combine_resultsILi64EEvPKfPK15HIP_vector_typeIfLj2EEPfi,comdat
.Lfunc_end8:
	.size	_ZL26flash_attn_combine_resultsILi64EEvPKfPK15HIP_vector_typeIfLj2EEPfi, .Lfunc_end8-_ZL26flash_attn_combine_resultsILi64EEvPKfPK15HIP_vector_typeIfLj2EEPfi
                                        ; -- End function
	.section	.AMDGPU.csdata,"",@progbits
; Kernel info:
; codeLenInByte = 3028
; NumSgprs: 30
; NumVgprs: 51
; NumAgprs: 0
; TotalNumVgprs: 51
; ScratchSize: 0
; MemoryBound: 0
; FloatMode: 240
; IeeeMode: 1
; LDSByteSize: 0 bytes/workgroup (compile time only)
; SGPRBlocks: 3
; VGPRBlocks: 6
; NumSGPRsForWavesPerEU: 30
; NumVGPRsForWavesPerEU: 51
; AccumOffset: 52
; Occupancy: 8
; WaveLimiterHint : 0
; COMPUTE_PGM_RSRC2:SCRATCH_EN: 0
; COMPUTE_PGM_RSRC2:USER_SGPR: 6
; COMPUTE_PGM_RSRC2:TRAP_HANDLER: 0
; COMPUTE_PGM_RSRC2:TGID_X_EN: 1
; COMPUTE_PGM_RSRC2:TGID_Y_EN: 1
; COMPUTE_PGM_RSRC2:TGID_Z_EN: 1
; COMPUTE_PGM_RSRC2:TIDIG_COMP_CNT: 0
; COMPUTE_PGM_RSRC3_GFX90A:ACCUM_OFFSET: 12
; COMPUTE_PGM_RSRC3_GFX90A:TG_SPLIT: 0
	.section	.text._ZL18flash_attn_ext_f16ILi80ELi80ELi32ELi1ELb0ELb0EEvPKcS1_S1_S1_S1_PKiPfP15HIP_vector_typeIfLj2EEffffjfiS5_IjLj3EEiiiiiiiiiiiliiliiiiil,"axG",@progbits,_ZL18flash_attn_ext_f16ILi80ELi80ELi32ELi1ELb0ELb0EEvPKcS1_S1_S1_S1_PKiPfP15HIP_vector_typeIfLj2EEffffjfiS5_IjLj3EEiiiiiiiiiiiliiliiiiil,comdat
	.globl	_ZL18flash_attn_ext_f16ILi80ELi80ELi32ELi1ELb0ELb0EEvPKcS1_S1_S1_S1_PKiPfP15HIP_vector_typeIfLj2EEffffjfiS5_IjLj3EEiiiiiiiiiiiliiliiiiil ; -- Begin function _ZL18flash_attn_ext_f16ILi80ELi80ELi32ELi1ELb0ELb0EEvPKcS1_S1_S1_S1_PKiPfP15HIP_vector_typeIfLj2EEffffjfiS5_IjLj3EEiiiiiiiiiiiliiliiiiil
	.p2align	8
	.type	_ZL18flash_attn_ext_f16ILi80ELi80ELi32ELi1ELb0ELb0EEvPKcS1_S1_S1_S1_PKiPfP15HIP_vector_typeIfLj2EEffffjfiS5_IjLj3EEiiiiiiiiiiiliiliiiiil,@function
_ZL18flash_attn_ext_f16ILi80ELi80ELi32ELi1ELb0ELb0EEvPKcS1_S1_S1_S1_PKiPfP15HIP_vector_typeIfLj2EEffffjfiS5_IjLj3EEiiiiiiiiiiiliiliiiiil: ; @_ZL18flash_attn_ext_f16ILi80ELi80ELi32ELi1ELb0ELb0EEvPKcS1_S1_S1_S1_PKiPfP15HIP_vector_typeIfLj2EEffffjfiS5_IjLj3EEiiiiiiiiiiiliiliiiiil
; %bb.0:
	s_load_dwordx2 s[14:15], s[4:5], 0x80
	s_load_dwordx4 s[76:79], s[4:5], 0x64
	s_add_u32 flat_scratch_lo, s6, s9
	s_addc_u32 flat_scratch_hi, s7, 0
	s_add_u32 s0, s0, s9
	s_addc_u32 s1, s1, 0
	s_waitcnt lgkmcnt(0)
	s_abs_i32 s6, s15
	v_cvt_f32_u32_e32 v1, s6
	s_sub_i32 s10, 0, s6
	s_abs_i32 s9, s77
	s_xor_b32 s7, s77, s15
	v_rcp_iflag_f32_e32 v1, v1
	s_ashr_i32 s7, s7, 31
                                        ; implicit-def: $vgpr215 : SGPR spill to VGPR lane
	s_load_dword s65, s[4:5], 0xd0
	s_mov_b32 s64, s8
	v_mul_f32_e32 v1, 0x4f7ffffe, v1
	v_cvt_u32_f32_e32 v1, v1
	s_mov_b32 s8, 0
	s_waitcnt lgkmcnt(0)
	v_cvt_f32_u32_e32 v2, s65
	v_cvt_f32_ubyte0_e32 v3, 0
	v_readfirstlane_b32 s11, v1
	s_mul_i32 s10, s10, s11
	s_mul_hi_u32 s10, s11, s10
	s_add_i32 s11, s11, s10
	s_mul_hi_u32 s10, s9, s11
	s_mul_i32 s11, s10, s6
	s_sub_i32 s9, s9, s11
	s_add_i32 s12, s10, 1
	s_sub_i32 s11, s9, s6
	s_cmp_ge_u32 s9, s6
	s_cselect_b32 s10, s12, s10
	s_cselect_b32 s9, s11, s9
	s_add_i32 s11, s10, 1
	s_cmp_ge_u32 s9, s6
	s_cselect_b32 s6, s11, s10
	s_add_i32 s9, s14, 63
	s_xor_b32 s6, s6, s7
	s_ashr_i32 s10, s9, 31
	s_sub_i32 s7, s6, s7
	s_lshr_b32 s6, s10, 26
	s_add_i32 s9, s9, s6
	s_add_i32 s6, s76, 31
	s_lshr_b32 s6, s6, 5
	s_ashr_i32 s9, s9, 6
	v_writelane_b32 v215, s6, 0
	v_writelane_b32 v215, s9, 1
	s_mul_i32 s6, s6, s9
	v_writelane_b32 v215, s7, 2
	v_writelane_b32 v215, s6, 3
	s_mul_i32 s7, s6, s7
	s_mov_b32 s6, s14
	v_writelane_b32 v215, s6, 4
	v_writelane_b32 v215, s7, 5
	s_mul_i32 s6, s7, s15
	s_mul_i32 s12, s6, s78
	v_writelane_b32 v215, s7, 6
	s_ashr_i32 s10, s12, 31
	v_writelane_b32 v215, s6, 7
	s_mul_i32 s6, s10, s64
	s_mul_hi_u32 s7, s12, s64
	s_add_i32 s9, s7, s6
	s_mul_i32 s11, s12, s64
	s_cmp_lg_u64 s[8:9], 0
	s_cbranch_scc0 .LBB9_2
; %bb.1:
	v_madmk_f32 v1, v3, 0x4f800000, v2
	v_rcp_f32_e32 v1, v1
	s_sub_u32 s8, 0, s65
	s_subb_u32 s13, 0, 0
	s_mov_b64 s[6:7], 0
	v_mul_f32_e32 v1, 0x5f7ffffc, v1
	v_mul_f32_e32 v4, 0x2f800000, v1
	v_trunc_f32_e32 v4, v4
	v_madmk_f32 v1, v4, 0xcf800000, v1
	v_cvt_u32_f32_e32 v4, v4
	v_cvt_u32_f32_e32 v1, v1
	v_readfirstlane_b32 s14, v4
	v_readfirstlane_b32 s15, v1
	s_mul_hi_u32 s17, s8, s15
	s_mul_i32 s18, s8, s14
	s_mul_i32 s16, s13, s15
	s_add_i32 s17, s17, s18
	s_add_i32 s17, s17, s16
	s_mul_i32 s19, s8, s15
	s_mul_hi_u32 s16, s15, s17
	s_mul_i32 s18, s15, s17
	s_mul_hi_u32 s15, s15, s19
	s_add_u32 s15, s15, s18
	s_addc_u32 s16, 0, s16
	s_mul_hi_u32 s20, s14, s19
	s_mul_i32 s19, s14, s19
	s_add_u32 s15, s15, s19
	s_mul_hi_u32 s18, s14, s17
	s_addc_u32 s15, s16, s20
	s_addc_u32 s16, s18, 0
	s_mul_i32 s17, s14, s17
	s_add_u32 s15, s15, s17
	s_addc_u32 s16, 0, s16
	v_add_co_u32_e32 v1, vcc, s15, v1
	s_cmp_lg_u64 vcc, 0
	s_addc_u32 s14, s14, s16
	v_readfirstlane_b32 s16, v1
	s_mul_i32 s15, s8, s14
	s_mul_hi_u32 s17, s8, s16
	s_add_i32 s15, s17, s15
	s_mul_i32 s13, s13, s16
	s_add_i32 s15, s15, s13
	s_mul_i32 s8, s8, s16
	s_mul_hi_u32 s17, s14, s8
	s_mul_i32 s18, s14, s8
	s_mul_i32 s20, s16, s15
	s_mul_hi_u32 s8, s16, s8
	s_mul_hi_u32 s19, s16, s15
	s_add_u32 s8, s8, s20
	s_addc_u32 s16, 0, s19
	s_add_u32 s8, s8, s18
	s_mul_hi_u32 s13, s14, s15
	s_addc_u32 s8, s16, s17
	s_addc_u32 s13, s13, 0
	s_mul_i32 s15, s14, s15
	s_add_u32 s8, s8, s15
	s_addc_u32 s13, 0, s13
	v_add_co_u32_e32 v1, vcc, s8, v1
	s_cmp_lg_u64 vcc, 0
	s_addc_u32 s13, s14, s13
	s_ashr_i32 s14, s9, 31
	s_add_u32 s8, s11, s14
	s_mov_b32 s15, s14
	s_addc_u32 s9, s9, s14
	s_xor_b64 s[8:9], s[8:9], s[14:15]
	v_readfirstlane_b32 s18, v1
	s_mul_i32 s17, s8, s13
	s_mul_hi_u32 s19, s8, s18
	s_mul_hi_u32 s16, s8, s13
	s_add_u32 s17, s19, s17
	s_addc_u32 s16, 0, s16
	s_mul_hi_u32 s20, s9, s18
	s_mul_i32 s18, s9, s18
	s_add_u32 s17, s17, s18
	s_mul_hi_u32 s19, s9, s13
	s_addc_u32 s16, s16, s20
	s_addc_u32 s17, s19, 0
	s_mul_i32 s13, s9, s13
	s_add_u32 s13, s16, s13
	s_addc_u32 s16, 0, s17
	s_add_u32 s17, s13, 1
	s_addc_u32 s18, s16, 0
	s_add_u32 s19, s13, 2
	s_mul_i32 s21, s65, s16
	s_mul_hi_u32 s22, s65, s13
	s_addc_u32 s20, s16, 0
	s_add_i32 s22, s22, s21
	s_mul_i32 s21, s65, s13
	v_mov_b32_e32 v1, s21
	v_sub_co_u32_e32 v1, vcc, s8, v1
	s_cmp_lg_u64 vcc, 0
	s_subb_u32 s8, s9, s22
	v_subrev_co_u32_e32 v4, vcc, s65, v1
	s_cmp_lg_u64 vcc, 0
	s_subb_u32 s9, s8, 0
	v_readfirstlane_b32 s21, v4
	s_cmp_ge_u32 s21, s65
	s_cselect_b32 s21, -1, 0
	s_cmp_eq_u32 s9, 0
	s_cselect_b32 s9, s21, -1
	s_cmp_lg_u32 s9, 0
	s_cselect_b32 s9, s20, s18
	v_readfirstlane_b32 s18, v1
	s_cselect_b32 s17, s19, s17
	s_cmp_ge_u32 s18, s65
	s_cselect_b32 s18, -1, 0
	s_cmp_eq_u32 s8, 0
	s_cselect_b32 s8, s18, -1
	s_cmp_lg_u32 s8, 0
	s_cselect_b32 s9, s9, s16
	s_cselect_b32 s8, s17, s13
	s_xor_b64 s[8:9], s[8:9], s[14:15]
	s_sub_u32 s8, s8, s14
	s_branch .LBB9_3
.LBB9_2:
	s_mov_b64 s[6:7], -1
                                        ; implicit-def: $sgpr8_sgpr9
.LBB9_3:
	s_load_dwordx2 s[14:15], s[4:5], 0x74
	v_cvt_f32_u32_e32 v1, s65
	s_andn2_b64 vcc, exec, s[6:7]
	s_waitcnt lgkmcnt(0)
	v_writelane_b32 v215, s14, 8
	v_writelane_b32 v215, s15, 9
	s_cbranch_vccnz .LBB9_5
; %bb.4:
	v_rcp_iflag_f32_e32 v4, v1
	s_sub_i32 s6, 0, s65
	v_mul_f32_e32 v4, 0x4f7ffffe, v4
	v_cvt_u32_f32_e32 v4, v4
	v_readfirstlane_b32 s7, v4
	s_mul_i32 s6, s6, s7
	s_mul_hi_u32 s6, s7, s6
	s_add_i32 s7, s7, s6
	s_mul_hi_u32 s6, s11, s7
	s_mul_i32 s8, s6, s65
	s_sub_i32 s8, s11, s8
	s_add_i32 s7, s6, 1
	s_sub_i32 s9, s8, s65
	s_cmp_ge_u32 s8, s65
	s_cselect_b32 s6, s7, s6
	s_cselect_b32 s8, s9, s8
	s_add_i32 s7, s6, 1
	s_cmp_ge_u32 s8, s65
	s_cselect_b32 s8, s7, s6
.LBB9_5:
	s_add_i32 s6, s64, 1
	s_mul_i32 s7, s10, s6
	s_mul_hi_u32 s9, s12, s6
	s_add_i32 s11, s9, s7
	s_mov_b32 s10, 0
	s_cmp_lg_u64 s[10:11], 0
	s_mul_i32 s9, s12, s6
	s_cbranch_scc0 .LBB9_280
; %bb.6:
	v_madmk_f32 v2, v3, 0x4f800000, v2
	v_rcp_f32_e32 v2, v2
	s_sub_u32 s10, 0, s65
	s_subb_u32 s12, 0, 0
	v_mul_f32_e32 v2, 0x5f7ffffc, v2
	v_mul_f32_e32 v3, 0x2f800000, v2
	v_trunc_f32_e32 v3, v3
	v_madmk_f32 v2, v3, 0xcf800000, v2
	v_cvt_u32_f32_e32 v3, v3
	v_cvt_u32_f32_e32 v2, v2
	v_readfirstlane_b32 s13, v3
	v_readfirstlane_b32 s14, v2
	s_mul_hi_u32 s16, s10, s14
	s_mul_i32 s17, s10, s13
	s_mul_i32 s15, s12, s14
	s_add_i32 s16, s16, s17
	s_add_i32 s16, s16, s15
	s_mul_i32 s18, s10, s14
	s_mul_hi_u32 s15, s14, s16
	s_mul_i32 s17, s14, s16
	s_mul_hi_u32 s14, s14, s18
	s_add_u32 s14, s14, s17
	s_addc_u32 s15, 0, s15
	s_mul_hi_u32 s19, s13, s18
	s_mul_i32 s18, s13, s18
	s_add_u32 s14, s14, s18
	s_mul_hi_u32 s17, s13, s16
	s_addc_u32 s14, s15, s19
	s_addc_u32 s15, s17, 0
	s_mul_i32 s16, s13, s16
	s_add_u32 s14, s14, s16
	s_addc_u32 s15, 0, s15
	v_add_co_u32_e32 v2, vcc, s14, v2
	s_cmp_lg_u64 vcc, 0
	s_addc_u32 s13, s13, s15
	v_readfirstlane_b32 s15, v2
	s_mul_i32 s14, s10, s13
	s_mul_hi_u32 s16, s10, s15
	s_add_i32 s14, s16, s14
	s_mul_i32 s12, s12, s15
	s_add_i32 s14, s14, s12
	s_mul_i32 s10, s10, s15
	s_mul_hi_u32 s16, s13, s10
	s_mul_i32 s17, s13, s10
	s_mul_i32 s19, s15, s14
	s_mul_hi_u32 s10, s15, s10
	s_mul_hi_u32 s18, s15, s14
	s_add_u32 s10, s10, s19
	s_addc_u32 s15, 0, s18
	s_add_u32 s10, s10, s17
	s_mul_hi_u32 s12, s13, s14
	s_addc_u32 s10, s15, s16
	s_addc_u32 s12, s12, 0
	s_mul_i32 s14, s13, s14
	s_add_u32 s10, s10, s14
	s_addc_u32 s12, 0, s12
	v_add_co_u32_e32 v2, vcc, s10, v2
	s_cmp_lg_u64 vcc, 0
	s_addc_u32 s14, s13, s12
	s_ashr_i32 s12, s11, 31
	s_add_u32 s10, s9, s12
	s_mov_b32 s13, s12
	s_addc_u32 s11, s11, s12
	s_xor_b64 s[10:11], s[10:11], s[12:13]
	v_readfirstlane_b32 s17, v2
	s_mul_i32 s16, s10, s14
	s_mul_hi_u32 s18, s10, s17
	s_mul_hi_u32 s15, s10, s14
	s_add_u32 s16, s18, s16
	s_addc_u32 s15, 0, s15
	s_mul_hi_u32 s19, s11, s17
	s_mul_i32 s17, s11, s17
	s_add_u32 s16, s16, s17
	s_mul_hi_u32 s18, s11, s14
	s_addc_u32 s15, s15, s19
	s_addc_u32 s16, s18, 0
	s_mul_i32 s14, s11, s14
	s_add_u32 s14, s15, s14
	s_addc_u32 s15, 0, s16
	s_add_u32 s16, s14, 1
	s_addc_u32 s17, s15, 0
	s_add_u32 s18, s14, 2
	s_mul_i32 s20, s65, s15
	s_mul_hi_u32 s21, s65, s14
	s_addc_u32 s19, s15, 0
	s_add_i32 s21, s21, s20
	s_mul_i32 s20, s65, s14
	v_mov_b32_e32 v2, s20
	v_sub_co_u32_e32 v2, vcc, s10, v2
	s_cmp_lg_u64 vcc, 0
	s_subb_u32 s10, s11, s21
	v_subrev_co_u32_e32 v3, vcc, s65, v2
	s_cmp_lg_u64 vcc, 0
	s_subb_u32 s11, s10, 0
	v_readfirstlane_b32 s20, v3
	s_cmp_ge_u32 s20, s65
	s_cselect_b32 s20, -1, 0
	s_cmp_eq_u32 s11, 0
	s_cselect_b32 s11, s20, -1
	s_cmp_lg_u32 s11, 0
	s_cselect_b32 s11, s19, s17
	v_readfirstlane_b32 s17, v2
	s_cselect_b32 s16, s18, s16
	s_cmp_ge_u32 s17, s65
	s_cselect_b32 s17, -1, 0
	s_cmp_eq_u32 s10, 0
	s_cselect_b32 s10, s17, -1
	s_cmp_lg_u32 s10, 0
	s_cselect_b32 s11, s11, s15
	s_cselect_b32 s10, s16, s14
	s_xor_b64 s[10:11], s[10:11], s[12:13]
	s_sub_u32 s10, s10, s12
	v_writelane_b32 v215, s10, 10
	v_writelane_b32 v215, s11, 11
	s_load_dwordx2 s[90:91], s[4:5], 0x5c
	s_cbranch_execnz .LBB9_8
.LBB9_7:
	v_rcp_iflag_f32_e32 v1, v1
	s_sub_i32 s6, 0, s65
	v_mul_f32_e32 v1, 0x4f7ffffe, v1
	v_cvt_u32_f32_e32 v1, v1
	v_readfirstlane_b32 s7, v1
	s_mul_i32 s6, s6, s7
	s_mul_hi_u32 s6, s7, s6
	s_add_i32 s7, s7, s6
	s_mul_hi_u32 s6, s9, s7
	s_mul_i32 s10, s6, s65
	s_sub_i32 s9, s9, s10
	s_add_i32 s7, s6, 1
	s_sub_i32 s10, s9, s65
	s_cmp_ge_u32 s9, s65
	s_cselect_b32 s6, s7, s6
	s_cselect_b32 s9, s10, s9
	s_add_i32 s7, s6, 1
	s_cmp_ge_u32 s9, s65
	s_cselect_b32 s6, s7, s6
	v_writelane_b32 v215, s6, 10
	v_writelane_b32 v215, s7, 11
.LBB9_8:
	s_load_dwordx16 s[48:63], s[4:5], 0x0
	s_load_dwordx4 s[20:23], s[4:5], 0x40
	s_load_dword s6, s[4:5], 0x50
	s_ashr_i32 s68, s79, 3
	v_bfe_u32 v82, v0, 10, 10
	s_mov_b32 s37, 0
	v_lshlrev_b32_e32 v84, 3, v82
	s_waitcnt lgkmcnt(0)
	v_writelane_b32 v215, s6, 12
	s_load_dwordx2 s[6:7], s[4:5], 0x8c
	s_load_dwordx4 s[12:15], s[4:5], 0x98
	s_load_dwordx2 s[10:11], s[4:5], 0xa8
	s_load_dwordx2 s[24:25], s[4:5], 0xb8
	s_nop 0
	s_load_dwordx2 s[4:5], s[4:5], 0xc8
	v_lshlrev_b32_e32 v83, 4, v82
	s_waitcnt lgkmcnt(0)
	s_ashr_i32 s92, s6, 2
	s_ashr_i32 s78, s14, 2
	v_writelane_b32 v215, s10, 13
	v_writelane_b32 v215, s11, 14
	;; [unrolled: 1-line block ×4, first 2 shown]
	v_readlane_b32 s9, v215, 1
	s_abs_i32 s33, s9
	v_cvt_f32_u32_e32 v1, s33
	s_mov_b32 s5, s7
	v_writelane_b32 v215, s4, 17
	v_writelane_b32 v215, s5, 18
	v_rcp_iflag_f32_e32 v1, v1
	s_mov_b64 s[4:5], s[12:13]
	s_mov_b32 s7, s15
	v_writelane_b32 v215, s4, 19
	v_mul_f32_e32 v1, 0x4f7ffffe, v1
	v_cvt_u32_f32_e32 v1, v1
	v_writelane_b32 v215, s5, 20
	v_writelane_b32 v215, s6, 21
	v_writelane_b32 v215, s7, 22
	s_sub_i32 s6, 0, s33
	v_readfirstlane_b32 s7, v1
	s_mul_i32 s6, s6, s7
	s_ashr_i32 s5, s9, 31
	s_mul_hi_u32 s6, s7, s6
	v_writelane_b32 v215, s5, 23
	s_abs_i32 s5, s8
	s_add_i32 s45, s7, s6
	s_mul_hi_u32 s6, s5, s45
	s_mul_i32 s6, s6, s33
	s_sub_i32 s5, s5, s6
	s_ashr_i32 s66, s25, 1
	s_ashr_i32 s4, s8, 31
	s_sub_i32 s6, s5, s33
	s_cmp_ge_u32 s5, s33
	s_cselect_b32 s5, s6, s5
	s_sub_i32 s6, s5, s33
	s_cmp_ge_u32 s5, s33
	s_cselect_b32 s5, s6, s5
	s_xor_b32 s5, s5, s4
	s_sub_i32 s46, s5, s4
	v_readlane_b32 s4, v215, 10
	v_readlane_b32 s5, v215, 11
	v_writelane_b32 v215, s48, 24
	v_writelane_b32 v215, s49, 25
	;; [unrolled: 1-line block ×6, first 2 shown]
	s_mov_b32 s10, s4
	s_sub_i32 s4, s4, s8
	v_writelane_b32 v215, s54, 30
	s_add_i32 s6, s4, s46
	v_writelane_b32 v215, s55, 31
	s_min_i32 s82, s9, s6
	v_writelane_b32 v215, s56, 32
	s_cmp_gt_i32 s10, s8
	v_writelane_b32 v215, s57, 33
	s_cselect_b64 s[34:35], -1, 0
	s_cmp_le_i32 s10, s8
	v_cvt_f16_f32_e32 v1, s20
	v_writelane_b32 v215, s58, 34
	s_cselect_b64 s[4:5], -1, 0
	s_cmp_gt_i32 s9, s6
	v_writelane_b32 v215, s59, 35
	s_cselect_b64 s[6:7], -1, 0
	v_writelane_b32 v215, s60, 36
	s_or_b64 s[4:5], s[6:7], s[4:5]
	v_writelane_b32 v215, s61, 37
	s_and_b64 vcc, exec, s[4:5]
	v_pack_b32_f16 v31, v1, v1
	v_and_b32_e32 v85, 1, v82
	v_mbcnt_lo_u32_b32 v86, -1, 0
	v_writelane_b32 v215, s62, 38
	v_writelane_b32 v215, s63, 39
	s_cbranch_vccz .LBB9_11
; %bb.9:
	s_andn2_b64 vcc, exec, s[34:35]
	s_cbranch_vccz .LBB9_238
.LBB9_10:
	s_endpgm
.LBB9_11:
	s_cmp_lg_u64 s[54:55], 0
	v_writelane_b32 v215, s65, 40
	s_cselect_b64 s[4:5], -1, 0
	v_writelane_b32 v215, s4, 41
	s_cmp_eq_u64 s[56:57], 0
	v_and_b32_e32 v18, 0x3ff, v0
	v_writelane_b32 v215, s5, 42
	s_cselect_b64 s[4:5], -1, 0
	v_lshrrev_b32_e32 v2, 3, v18
	v_writelane_b32 v215, s4, 43
	s_cmp_lg_u64 s[58:59], 0
	v_and_b32_e32 v4, 15, v18
	v_and_b32_e32 v5, 30, v2
	v_writelane_b32 v215, s5, 44
	s_cselect_b64 s[4:5], -1, 0
	v_mul_u32_u24_e32 v3, 0xb0, v4
	v_lshlrev_b32_e32 v6, 2, v5
	v_writelane_b32 v215, s4, 45
	v_add3_u32 v35, 0, v3, v6
	v_lshrrev_b32_e32 v3, 1, v18
	v_lshlrev_b32_e32 v6, 2, v18
	v_writelane_b32 v215, s5, 46
	s_movk_i32 s4, 0xb0
	v_lshl_add_u32 v45, v82, 5, v3
	v_and_b32_e32 v20, 4, v6
	v_mad_u32_u24 v3, v45, s4, 0
	v_lshlrev_b32_e32 v7, 2, v20
	s_movk_i32 s85, 0x80
	v_add3_u32 v87, v3, v7, s85
	v_lshrrev_b32_e32 v7, 2, v18
	v_and_b32_e32 v8, 60, v7
	v_mul_u32_u24_e32 v9, 0x58, v8
	v_and_b32_e32 v11, 8, v84
	s_movk_i32 s5, 0x160
	v_or_b32_e32 v7, 3, v7
	v_mul_u32_u24_e32 v10, 0xb0, v8
	v_or_b32_e32 v9, v9, v4
	v_mul_u32_u24_e32 v12, 0x160, v11
	v_mad_u32_u24 v13, v11, s5, 0
	v_lshlrev_b32_e32 v14, 1, v4
	v_mul_u32_u24_e32 v7, 0xb0, v7
	v_lshlrev_b32_e32 v9, 1, v9
	v_add3_u32 v89, v13, v10, v14
	v_add3_u32 v10, 0, 32, v12
	v_add_u32_e32 v88, v13, v9
	v_add3_u32 v90, v13, v7, v14
	v_add_u32_e32 v91, v10, v9
	v_mad_u32_u24 v13, v8, s4, v10
	v_add3_u32 v93, v10, v7, v14
	v_add3_u32 v10, 0, 64, v12
	s_add_i32 s7, 0, 0x60
	v_add_u32_e32 v94, v10, v9
	v_mad_u32_u24 v12, v8, s4, v10
	v_add3_u32 v96, v10, v7, v14
	v_mov_b32_e32 v10, s7
	s_movk_i32 s6, 0x1600
	v_mad_u32_u24 v10, v11, s5, v10
	s_add_i32 s7, 0, 0x80
	v_add3_u32 v95, v12, v14, s6
	v_add_u32_e32 v97, v10, v9
	v_mad_u32_u24 v12, v8, s4, v10
	v_add3_u32 v99, v10, v7, v14
	v_mov_b32_e32 v10, s7
	v_add_u32_e32 v33, v84, v2
	v_mad_u32_u24 v10, v11, s5, v10
	v_and_b32_e32 v22, 28, v6
	v_mul_u32_u24_e32 v3, 0xb0, v33
	v_add_u32_e32 v100, v10, v9
	v_mad_u32_u24 v9, v8, s4, v10
	v_lshlrev_b32_e32 v6, 2, v22
	s_lshl_b32 s36, s64, 5
	s_ashr_i32 s67, s66, 31
	s_ashr_i32 s93, s92, 31
	;; [unrolled: 1-line block ×3, first 2 shown]
	v_add3_u32 v92, v13, v14, s6
	v_add3_u32 v98, v12, v14, s6
	;; [unrolled: 1-line block ×4, first 2 shown]
	s_lshl_b64 s[6:7], s[36:37], 3
	v_or_b32_e32 v3, v84, v18
	v_lshrrev_b32_e32 v1, 5, v18
	s_add_u32 s5, s62, s6
	v_lshlrev_b32_e32 v3, 3, v3
	v_add_co_u32_e32 v24, vcc, s5, v3
	v_or_b32_e32 v3, v83, v4
	v_add_u32_e32 v104, v1, v82
	v_add3_u32 v102, v10, v7, v14
	v_mad_u32_u24 v10, v3, 44, v5
	v_lshl_add_u32 v105, v82, 2, v2
	v_lshlrev_b32_e32 v2, 1, v104
	v_and_b32_e32 v3, 15, v104
	s_movk_i32 s5, 0x3e0
	v_add_u32_e32 v106, 4, v104
	v_and_or_b32 v11, v2, s5, v3
	v_lshlrev_b32_e32 v2, 1, v106
	v_and_b32_e32 v5, 15, v106
	s_movk_i32 s5, 0x7e0
	v_add_u32_e32 v107, 8, v104
	v_and_or_b32 v12, v2, s5, v5
	v_lshlrev_b32_e32 v2, 1, v107
	v_and_b32_e32 v5, 15, v107
	v_add_u32_e32 v108, 12, v104
	v_and_or_b32 v13, v2, s5, v5
	v_lshlrev_b32_e32 v2, 1, v108
	v_and_b32_e32 v5, 15, v108
	v_add_u32_e32 v109, 16, v104
	v_and_or_b32 v14, v2, s5, v5
	v_lshlrev_b32_e32 v2, 1, v109
	v_add_u32_e32 v110, 20, v104
	v_and_or_b32 v15, v2, s5, v3
	v_lshlrev_b32_e32 v2, 1, v110
	v_and_b32_e32 v3, 15, v110
	v_add_u32_e32 v111, 24, v104
	v_writelane_b32 v215, s64, 47
	v_and_or_b32 v16, v2, s5, v3
	v_lshlrev_b32_e32 v2, 1, v111
	v_and_b32_e32 v3, 15, v111
	v_add_u32_e32 v112, 28, v104
	v_and_or_b32 v17, v2, s5, v3
	v_lshlrev_b32_e32 v2, 1, v112
	v_and_b32_e32 v3, 15, v112
	v_readlane_b32 s18, v215, 7
	s_addc_u32 s6, s63, s7
	v_and_or_b32 v19, v2, s5, v3
	v_lshlrev_b32_e32 v2, 1, v105
	v_and_b32_e32 v3, 15, v105
	s_movk_i32 s5, 0xfe0
	s_abs_i32 s25, s18
	v_readlane_b32 s20, v215, 6
	v_mov_b32_e32 v6, s6
	v_and_or_b32 v21, v2, s5, v3
	v_cvt_f32_u32_e32 v2, s25
	s_abs_i32 s26, s20
	v_addc_co_u32_e32 v25, vcc, 0, v6, vcc
	v_cvt_f32_u32_e32 v6, s26
	v_add_u32_e32 v113, 16, v105
	v_lshlrev_b32_e32 v5, 1, v113
	s_movk_i32 s5, 0x1fe0
	v_readlane_b32 s19, v215, 3
	v_rcp_iflag_f32_e32 v2, v2
	v_and_or_b32 v23, v5, s5, v3
	s_abs_i32 s27, s19
	s_abs_i32 s5, s24
	v_rcp_iflag_f32_e32 v3, v6
	v_cvt_f32_u32_e32 v5, s27
	v_cvt_f32_u32_e32 v6, s5
	v_mul_f32_e32 v2, 0x4f7ffffe, v2
	v_cvt_u32_f32_e32 v2, v2
	v_rcp_iflag_f32_e32 v5, v5
	v_rcp_iflag_f32_e32 v6, v6
	s_mov_b32 s6, s24
	v_readfirstlane_b32 s9, v2
	v_mul_f32_e32 v2, 0x4f7ffffe, v5
	v_mul_f32_e32 v5, 0x4f7ffffe, v6
	v_cvt_u32_f32_e32 v2, v2
	v_cvt_u32_f32_e32 v5, v5
	v_writelane_b32 v215, s6, 48
	v_writelane_b32 v215, s7, 49
	v_mul_f32_e32 v3, 0x4f7ffffe, v3
	v_cvt_u32_f32_e32 v3, v3
	v_writelane_b32 v215, s5, 50
	s_sub_i32 s5, 0, s5
	v_readfirstlane_b32 s17, v2
	v_mul_lo_u32 v2, s5, v5
	v_mul_hi_u32 v2, v5, v2
	s_mul_i32 s5, s76, s77
	v_add_u32_e32 v114, v5, v2
	v_mul_lo_u32 v2, s78, v45
	v_writelane_b32 v215, s5, 51
	s_mov_b64 s[6:7], s[22:23]
	s_mov_b32 s5, s21
	v_readfirstlane_b32 s16, v3
	v_ashrrev_i32_e32 v3, 31, v2
	v_and_b32_e32 v5, 1, v18
	v_writelane_b32 v215, s4, 52
	v_lshlrev_b32_e32 v5, 4, v5
	v_lshlrev_b64 v[26:27], 2, v[2:3]
	v_writelane_b32 v215, s5, 53
	v_add_co_u32_e32 v2, vcc, v5, v26
	v_writelane_b32 v215, s6, 54
	v_and_b32_e32 v30, 7, v18
	v_addc_co_u32_e32 v3, vcc, 0, v27, vcc
	v_writelane_b32 v215, s7, 55
	v_cmp_nle_f32_e64 s[6:7], s21, 0
	v_lshl_add_u32 v115, v82, 1, v1
	v_mad_u32_u24 v1, v33, 44, v30
	v_mov_b32_e32 v6, s53
	v_add_co_u32_e32 v36, vcc, s52, v2
	v_writelane_b32 v215, s6, 56
	v_lshl_add_u32 v116, v1, 2, 0
	v_and_b32_e32 v1, 0x7f0, v84
	v_addc_co_u32_e32 v37, vcc, v3, v6, vcc
	v_writelane_b32 v215, s7, 57
	v_or_b32_e32 v6, v1, v4
	v_mad_u32_u24 v117, v1, s4, v35
	v_mul_u32_u24_e32 v1, 0x90, v82
	v_lshlrev_b32_e32 v32, 1, v18
	s_mul_i32 s21, s77, 40
	v_add3_u32 v118, 0, v1, v32
	v_and_b32_e32 v1, 16, v83
	v_writelane_b32 v215, s21, 58
	s_ashr_i32 s18, s18, 31
	s_movk_i32 s12, 0x90
	v_add_u32_e32 v119, v1, v8
	v_add_u16_e32 v7, v1, v8
	v_writelane_b32 v215, s18, 59
	s_sub_i32 s18, 0, s25
	v_mul_u32_u24_e32 v120, 0xb0, v1
	v_mad_u32_u24 v1, v6, s12, 0
	v_lshrrev_b16_e32 v6, 1, v7
	v_add_u32_e32 v122, 32, v119
	v_add_u32_e32 v124, 34, v119
	s_mul_i32 s18, s18, s9
	v_lshl_add_u32 v121, v6, 2, v1
	v_lshl_add_u32 v123, v122, 1, v1
	;; [unrolled: 1-line block ×3, first 2 shown]
	v_add_u32_e32 v1, v83, v18
	v_and_b32_e32 v34, 31, v18
	s_mul_hi_u32 s18, s9, s18
	v_mul_u32_u24_e32 v127, 0xb0, v1
	v_add_u32_e32 v1, v83, v34
	v_writelane_b32 v215, s25, 60
	s_add_i32 s9, s9, s18
	v_mul_u32_u24_e32 v128, 0xb0, v1
	v_mad_u32_u24 v1, v115, 44, v34
	v_writelane_b32 v215, s9, 61
	s_ashr_i32 s9, s20, 31
	v_lshl_add_u32 v130, v1, 2, 0
	v_mad_u32_u24 v1, v11, 44, v34
	v_writelane_b32 v215, s9, 62
	s_sub_i32 s9, 0, s26
	v_mul_lo_u32 v2, s92, v45
	v_lshl_add_u32 v132, v1, 2, 0
	v_mad_u32_u24 v1, v12, 44, v34
	s_mul_i32 s9, s9, s16
	v_ashrrev_i32_e32 v3, 31, v2
	v_lshl_add_u32 v134, v1, 2, 0
	v_mad_u32_u24 v1, v13, 44, v34
	s_mul_hi_u32 s9, s16, s9
	v_lshlrev_b64 v[28:29], 2, v[2:3]
	v_lshl_add_u32 v136, v1, 2, 0
	v_mad_u32_u24 v1, v14, 44, v34
	s_add_i32 s9, s16, s9
                                        ; implicit-def: $vgpr214 : SGPR spill to VGPR lane
	v_add_co_u32_e32 v2, vcc, v5, v28
	v_lshl_add_u32 v138, v1, 2, 0
	v_mad_u32_u24 v1, v15, 44, v34
	v_writelane_b32 v214, s9, 0
	s_ashr_i32 s9, s19, 31
	v_addc_co_u32_e32 v3, vcc, 0, v29, vcc
	v_lshl_add_u32 v140, v1, 2, 0
	v_mad_u32_u24 v1, v16, 44, v34
	v_writelane_b32 v214, s9, 1
	s_sub_i32 s9, 0, s27
	v_mov_b32_e32 v5, s51
	v_add_co_u32_e32 v40, vcc, s50, v2
	v_lshl_add_u32 v142, v1, 2, 0
	v_mad_u32_u24 v1, v17, 44, v34
	s_mul_i32 s9, s9, s17
	v_addc_co_u32_e32 v41, vcc, v3, v5, vcc
	v_mul_lo_u32 v8, s78, v33
	v_lshl_add_u32 v144, v1, 2, 0
	v_mad_u32_u24 v1, v19, 44, v34
	s_mul_hi_u32 s9, s17, s9
	v_add_u32_e32 v126, 32, v33
	v_ashrrev_i32_e32 v9, 31, v8
	v_lshl_add_u32 v146, v1, 2, 0
	v_mad_u32_u24 v1, v21, 44, v30
	v_writelane_b32 v214, s27, 2
	s_add_i32 s9, s17, s9
	v_add_co_u32_e32 v151, vcc, s85, v36
	v_mul_lo_u32 v6, s78, v126
	v_lshl_add_u32 v148, v1, 2, 0
	v_mad_u32_u24 v1, v23, 44, v30
	v_writelane_b32 v214, s9, 3
	v_addc_co_u32_e32 v152, vcc, 0, v37, vcc
	v_lshlrev_b64 v[36:37], 2, v[8:9]
	v_cmp_eq_u32_e64 s[30:31], 0, v85
	v_ashrrev_i32_e32 v7, 31, v6
	v_lshl_add_u32 v150, v1, 2, 0
	v_mov_b32_e32 v1, s53
	v_add_co_u32_e32 v153, vcc, s52, v36
	v_writelane_b32 v214, s30, 4
	v_addc_co_u32_e32 v154, vcc, v1, v37, vcc
	v_lshlrev_b64 v[38:39], 2, v[6:7]
	v_writelane_b32 v214, s31, 5
	v_cmp_eq_u32_e64 s[30:31], 1, v85
	v_add_co_u32_e32 v155, vcc, s52, v38
	v_writelane_b32 v214, s30, 6
	v_mul_lo_u32 v2, s92, v33
	v_addc_co_u32_e32 v156, vcc, v1, v39, vcc
	v_writelane_b32 v214, s31, 7
	v_cmp_gt_u32_e64 s[30:31], 16, v18
	v_ashrrev_i32_e32 v3, 31, v2
	v_add_co_u32_e32 v157, vcc, s85, v40
	v_writelane_b32 v214, s30, 8
	v_lshl_add_u32 v4, s92, 5, v2
	v_addc_co_u32_e32 v158, vcc, 0, v41, vcc
	v_lshlrev_b64 v[40:41], 2, v[2:3]
	v_writelane_b32 v214, s31, 9
	v_cmp_gt_u32_e64 s[30:31], 32, v18
	v_ashrrev_i32_e32 v5, 31, v4
	v_mov_b32_e32 v1, s51
	v_add_co_u32_e32 v159, vcc, s50, v40
	v_writelane_b32 v214, s30, 10
	v_addc_co_u32_e32 v160, vcc, v1, v41, vcc
	v_lshlrev_b64 v[42:43], 2, v[4:5]
	v_writelane_b32 v214, s31, 11
	s_lshl_b64 s[34:35], s[66:67], 1
	s_mov_b64 s[88:89], src_private_base
	v_add_co_u32_e32 v161, vcc, s50, v42
	v_writelane_b32 v214, s34, 12
	v_cmp_lt_u32_e64 s[4:5], 63, v18
	s_mov_b32 s88, 0
	v_cmp_gt_u32_e64 s[6:7], 64, v45
	v_cmp_gt_u32_e64 s[58:59], 64, v33
	;; [unrolled: 1-line block ×5, first 2 shown]
	v_lshl_add_u32 v129, v10, 2, 0
	v_mul_u32_u24_e32 v131, 0xb0, v11
	v_mul_u32_u24_e32 v133, 0xb0, v12
	;; [unrolled: 1-line block ×10, first 2 shown]
	v_writelane_b32 v215, s26, 63
	v_addc_co_u32_e32 v162, vcc, v1, v43, vcc
	s_mov_b32 s77, 0x42b17218
	s_mov_b32 s29, 0x3fb8aa3b
	;; [unrolled: 1-line block ×5, first 2 shown]
	v_mov_b32_e32 v163, 0
	v_add_u32_e32 v164, 4, v82
	v_add_u32_e32 v165, 0x240, v118
	;; [unrolled: 1-line block ×20, first 2 shown]
	v_or_b32_e32 v184, 1, v119
	v_or_b32_e32 v185, 2, v119
	;; [unrolled: 1-line block ×3, first 2 shown]
	v_add_u32_e32 v187, 33, v119
	v_add_u32_e32 v188, 35, v119
	;; [unrolled: 1-line block ×5, first 2 shown]
	v_mov_b32_e32 v192, 0x3ecccdef
	v_mov_b32_e32 v193, 0x37000000
	;; [unrolled: 1-line block ×4, first 2 shown]
	v_mbcnt_hi_u32_b32 v196, -1, v86
	v_lshlrev_b32_e32 v44, 4, v30
	v_cmp_gt_u32_e64 s[16:17], 62, v119
	v_cmp_gt_u32_e64 s[18:19], 61, v119
	;; [unrolled: 1-line block ×6, first 2 shown]
	s_lshl_b64 s[96:97], s[78:79], 8
	s_lshl_b64 s[30:31], s[92:93], 8
	v_writelane_b32 v214, s35, 13
	v_writelane_b32 v214, s45, 14
	s_branch .LBB9_14
.LBB9_12:                               ;   in Loop: Header=BB9_14 Depth=1
	s_or_b64 exec, exec, s[34:35]
	s_barrier
.LBB9_13:                               ;   in Loop: Header=BB9_14 Depth=1
	v_readlane_b32 s36, v215, 1
	s_add_i32 s8, s8, s36
	s_abs_i32 s28, s8
	v_readlane_b32 s45, v214, 14
	s_mul_hi_u32 s34, s28, s45
	s_mul_i32 s34, s34, s33
	s_sub_i32 s28, s28, s34
	s_ashr_i32 s9, s8, 31
	s_sub_i32 s34, s28, s33
	s_cmp_ge_u32 s28, s33
	s_cselect_b32 s28, s34, s28
	s_sub_i32 s34, s28, s33
	s_cmp_ge_u32 s28, s33
	s_cselect_b32 s28, s34, s28
	s_xor_b32 s28, s28, s9
	s_sub_i32 s9, s9, s28
	s_add_i32 s8, s8, s9
	v_readlane_b32 s34, v215, 10
	s_sub_i32 s9, s34, s8
	s_min_i32 s82, s36, s9
	v_readlane_b32 s35, v215, 11
	s_cmp_gt_i32 s34, s8
	s_cselect_b64 s[34:35], -1, 0
	s_cmp_le_i32 s36, s9
	s_cselect_b64 s[38:39], -1, 0
	s_and_b64 s[38:39], s[38:39], s[34:35]
	s_mov_b32 s46, 0
	s_and_b64 vcc, exec, s[38:39]
	s_cbranch_vccz .LBB9_237
.LBB9_14:                               ; =>This Loop Header: Depth=1
                                        ;     Child Loop BB9_158 Depth 2
                                        ;     Child Loop BB9_43 Depth 2
	s_ashr_i32 s9, s8, 31
	v_readlane_b32 s28, v215, 59
	s_xor_b32 s9, s9, s28
	s_abs_i32 s28, s8
	v_readlane_b32 s34, v215, 61
	s_mul_hi_u32 s34, s28, s34
	v_readlane_b32 s38, v215, 60
	s_mul_i32 s35, s34, s38
	s_sub_i32 s28, s28, s35
	s_add_i32 s35, s34, 1
	s_sub_i32 s36, s28, s38
	s_cmp_ge_u32 s28, s38
	s_cselect_b32 s34, s35, s34
	s_cselect_b32 s28, s36, s28
	s_add_i32 s35, s34, 1
	s_cmp_ge_u32 s28, s38
	s_cselect_b32 s28, s35, s34
	s_xor_b32 s28, s28, s9
	v_readlane_b32 s34, v215, 41
	s_sub_i32 s28, s28, s9
	v_readlane_b32 s35, v215, 42
	s_mov_b32 s49, s68
	s_mov_b32 s50, s66
	s_andn2_b64 vcc, exec, s[34:35]
	s_ashr_i32 s47, s28, 31
	s_cbranch_vccnz .LBB9_16
; %bb.15:                               ;   in Loop: Header=BB9_14 Depth=1
	s_abs_i32 s9, s28
	v_mul_hi_u32 v1, s9, v114
	v_readlane_b32 s34, v215, 50
	v_mul_lo_u32 v1, v1, s34
	v_sub_u32_e32 v1, s9, v1
	v_subrev_u32_e32 v2, s34, v1
	v_cmp_le_u32_e32 vcc, s34, v1
	v_cndmask_b32_e32 v1, v1, v2, vcc
	v_subrev_u32_e32 v2, s34, v1
	v_cmp_le_u32_e32 vcc, s34, v1
	v_cndmask_b32_e32 v1, v1, v2, vcc
	v_xor_b32_e32 v1, s47, v1
	v_readlane_b32 s34, v215, 15
	v_subrev_u32_e32 v1, s47, v1
	v_readlane_b32 s35, v215, 16
	v_ashrrev_i32_e32 v2, 31, v1
	v_mul_lo_u32 v3, v1, s35
	v_mul_hi_u32 v4, v1, s34
	v_readlane_b32 s60, v215, 24
	v_add_u32_e32 v3, v4, v3
	v_mul_lo_u32 v2, v2, s34
	v_mul_lo_u32 v1, v1, s34
	v_readlane_b32 s66, v215, 30
	v_readlane_b32 s67, v215, 31
	v_add_u32_e32 v2, v3, v2
	v_mov_b32_e32 v3, s67
	v_add_co_u32_e32 v48, vcc, s66, v1
	v_addc_co_u32_e32 v49, vcc, v3, v2, vcc
	v_readlane_b32 s61, v215, 25
	v_readlane_b32 s62, v215, 26
	v_readlane_b32 s63, v215, 27
	v_readlane_b32 s64, v215, 28
	v_readlane_b32 s65, v215, 29
	v_readlane_b32 s68, v215, 32
	v_readlane_b32 s69, v215, 33
	v_readlane_b32 s70, v215, 34
	v_readlane_b32 s71, v215, 35
	v_readlane_b32 s72, v215, 36
	v_readlane_b32 s73, v215, 37
	v_readlane_b32 s74, v215, 38
	v_readlane_b32 s75, v215, 39
	s_branch .LBB9_17
.LBB9_16:                               ;   in Loop: Header=BB9_14 Depth=1
	v_pk_mov_b32 v[48:49], 0, 0
.LBB9_17:                               ;   in Loop: Header=BB9_14 Depth=1
	v_readlane_b32 s9, v215, 7
	s_mul_i32 s9, s28, s9
	s_sub_i32 s9, s8, s9
	s_ashr_i32 s34, s9, 31
	v_readlane_b32 s35, v215, 62
	s_xor_b32 s34, s34, s35
	s_abs_i32 s35, s9
	v_readlane_b32 s36, v214, 0
	s_mul_hi_u32 s36, s35, s36
	v_readlane_b32 s40, v215, 63
	s_mul_i32 s38, s36, s40
	s_sub_i32 s35, s35, s38
	s_add_i32 s38, s36, 1
	s_sub_i32 s39, s35, s40
	s_cmp_ge_u32 s35, s40
	s_cselect_b32 s36, s38, s36
	s_cselect_b32 s35, s39, s35
	s_add_i32 s38, s36, 1
	s_cmp_ge_u32 s35, s40
	s_cselect_b32 s35, s38, s36
	s_xor_b32 s35, s35, s34
	s_sub_i32 s48, s35, s34
	v_readlane_b32 s34, v215, 6
	s_mul_i32 s34, s48, s34
	s_sub_i32 s9, s9, s34
	s_ashr_i32 s34, s9, 31
	v_readlane_b32 s35, v214, 1
	s_xor_b32 s34, s34, s35
	s_abs_i32 s35, s9
	v_readlane_b32 s36, v214, 3
	s_mul_hi_u32 s36, s35, s36
	v_readlane_b32 s40, v214, 2
	s_mul_i32 s38, s36, s40
	s_sub_i32 s35, s35, s38
	s_add_i32 s38, s36, 1
	s_sub_i32 s39, s35, s40
	s_cmp_ge_u32 s35, s40
	s_cselect_b32 s36, s38, s36
	s_cselect_b32 s35, s39, s35
	s_add_i32 s38, s36, 1
	s_cmp_ge_u32 s35, s40
	s_cselect_b32 s35, s38, s36
	s_xor_b32 s35, s35, s34
	s_sub_i32 s34, s35, s34
	v_readlane_b32 s35, v215, 2
	v_readlane_b32 s38, v215, 56
	s_mul_i32 s35, s48, s35
	v_readlane_b32 s39, v215, 57
	s_add_i32 s44, s35, s34
	s_andn2_b64 vcc, exec, s[38:39]
	v_mov_b32_e32 v46, 1.0
	s_cbranch_vccnz .LBB9_19
; %bb.18:                               ;   in Loop: Header=BB9_14 Depth=1
	v_readlane_b32 s38, v215, 12
	s_sub_i32 s36, s44, s38
	s_lshl_b32 s36, s36, 1
	s_add_i32 s35, s44, 1
	s_or_b32 s36, s36, 1
	s_cmp_lt_u32 s44, s38
	v_readlane_b32 s40, v215, 52
	s_cselect_b64 vcc, -1, 0
	v_readlane_b32 s42, v215, 54
	v_readlane_b32 s43, v215, 55
	s_and_b64 s[38:39], vcc, exec
	v_mov_b32_e32 v1, s43
	v_mov_b32_e32 v2, s42
	s_cselect_b32 s35, s35, s36
	v_cndmask_b32_e32 v19, v1, v2, vcc
	v_cvt_f32_i32_e32 v1, s35
	v_cmp_neq_f32_e32 vcc, 1.0, v19
	s_mov_b32 s35, 0x3f2aaaab
	s_mov_b32 s36, 0x7f800000
	v_cndmask_b32_e32 v21, 1.0, v1, vcc
	v_cmp_eq_f32_e32 vcc, 0, v21
	v_cndmask_b32_e64 v23, |v19|, 1.0, vcc
	v_frexp_mant_f32_e32 v1, v23
	v_cmp_gt_f32_e64 s[38:39], s35, v1
	v_cndmask_b32_e64 v2, 1.0, 2.0, s[38:39]
	v_mul_f32_e32 v1, v1, v2
	v_add_f32_e32 v2, 1.0, v1
	v_rcp_f32_e32 v10, v2
	v_add_f32_e32 v3, -1.0, v2
	v_sub_f32_e32 v5, v1, v3
	v_add_f32_e32 v3, -1.0, v1
	v_mul_f32_e32 v1, v3, v10
	v_mul_f32_e32 v4, v2, v1
	v_fma_f32 v6, v1, v2, -v4
	v_fmac_f32_e32 v6, v1, v5
	v_add_f32_e32 v2, v4, v6
	v_sub_f32_e32 v5, v3, v2
	v_pk_add_f32 v[8:9], v[2:3], v[4:5] neg_lo:[0,1] neg_hi:[0,1]
	v_mov_b32_e32 v7, v2
	v_pk_add_f32 v[2:3], v[8:9], v[6:7] neg_lo:[0,1] neg_hi:[0,1]
	v_add_f32_e32 v2, v2, v3
	v_add_f32_e32 v2, v5, v2
	v_mul_f32_e32 v3, v10, v2
	v_add_f32_e32 v2, v1, v3
	v_sub_f32_e32 v1, v2, v1
	v_sub_f32_e32 v1, v3, v1
	v_mul_f32_e32 v3, v2, v2
	v_fma_f32 v5, v2, v2, -v3
	v_add_f32_e32 v4, v1, v1
	v_fmac_f32_e32 v5, v2, v4
	v_add_f32_e32 v4, v3, v5
	v_mov_b32_e32 v6, 0x3e91f4c4
	v_fmac_f32_e32 v6, 0x3e76c4e1, v4
	v_fma_f32 v6, v4, v6, v192
	v_sub_f32_e32 v3, v4, v3
	v_sub_f32_e32 v12, v5, v3
	v_mul_f32_e32 v3, v4, v6
	v_fma_f32 v5, v4, v6, -v3
	v_fmac_f32_e32 v5, v12, v6
	v_add_f32_e32 v6, v3, v5
	v_add_f32_e32 v7, 0x3f2aaaaa, v6
	v_sub_f32_e32 v3, v6, v3
	v_sub_f32_e32 v3, v5, v3
	v_add_f32_e32 v5, 0xbf2aaaaa, v7
	v_add_f32_e32 v3, 0x31739010, v3
	v_sub_f32_e32 v5, v6, v5
	v_pk_mul_f32 v[8:9], v[2:3], v[4:5]
	v_fma_f32 v6, v4, v2, -v8
	v_pk_add_f32 v[10:11], v[2:3], v[4:5]
	v_fmac_f32_e32 v6, v4, v1
	v_mov_b32_e32 v9, v11
	v_fmac_f32_e32 v6, v12, v2
	v_pk_add_f32 v[4:5], v[8:9], v[6:7]
	v_sub_f32_e32 v3, v4, v8
	v_sub_f32_e32 v3, v6, v3
	;; [unrolled: 1-line block ×3, first 2 shown]
	v_add_f32_e32 v10, v11, v6
	v_mov_b32_e32 v6, v5
	v_pk_mul_f32 v[6:7], v[4:5], v[6:7]
	v_cvt_f64_f32_e32 v[8:9], v23
	v_frexp_exp_i32_f64_e32 v7, v[8:9]
	v_subbrev_co_u32_e64 v7, s[38:39], 0, v7, s[38:39]
	v_cvt_f32_i32_e32 v7, v7
	v_fma_f32 v8, v4, v5, -v6
	v_fmac_f32_e32 v8, v4, v10
	s_mov_b32 s35, 0x3f317218
	v_mul_f32_e32 v4, 0x3f317218, v7
	v_fmac_f32_e32 v8, v3, v5
	v_fma_f32 v10, v7, s35, -v4
	v_fmac_f32_e32 v10, 0xb102e308, v7
	v_ldexp_f32 v11, v2, 1
	v_add_f32_e32 v5, v6, v8
	v_pk_add_f32 v[2:3], v[4:5], v[10:11]
	v_mov_b32_e32 v12, v5
	v_mov_b32_e32 v13, v3
	;; [unrolled: 1-line block ×3, first 2 shown]
	v_pk_add_f32 v[6:7], v[12:13], v[6:7] neg_lo:[0,1] neg_hi:[0,1]
	v_mov_b32_e32 v9, v5
	v_ldexp_f32 v1, v1, 1
	v_pk_add_f32 v[6:7], v[8:9], v[6:7] neg_lo:[0,1] neg_hi:[0,1]
	v_add_f32_e32 v1, v1, v6
	v_add_f32_e32 v5, v1, v7
	v_pk_add_f32 v[6:7], v[2:3], v[4:5] neg_lo:[0,1] neg_hi:[0,1]
	v_pk_add_f32 v[8:9], v[2:3], v[4:5]
	v_mov_b32_e32 v12, v6
	v_mov_b32_e32 v13, v9
	;; [unrolled: 1-line block ×3, first 2 shown]
	v_pk_add_f32 v[12:13], v[10:11], v[12:13]
	v_mov_b32_e32 v4, v13
	v_pk_add_f32 v[14:15], v[4:5], v[2:3] neg_lo:[0,1] neg_hi:[0,1]
	v_mov_b32_e32 v1, v14
	v_mov_b32_e32 v12, v9
	v_mov_b32_e32 v2, v3
	v_mov_b32_e32 v3, v14
	v_pk_add_f32 v[6:7], v[10:11], v[6:7] neg_lo:[0,1] neg_hi:[0,1]
	v_pk_add_f32 v[16:17], v[8:9], v[0:1] neg_lo:[0,1] neg_hi:[0,1]
	;; [unrolled: 1-line block ×3, first 2 shown]
	v_mov_b32_e32 v10, v5
	v_pk_add_f32 v[2:3], v[10:11], v[2:3] neg_lo:[0,1] neg_hi:[0,1]
	v_mov_b32_e32 v16, v6
	v_pk_add_f32 v[8:9], v[16:17], v[2:3]
	v_mov_b32_e32 v10, v9
	v_pk_add_f32 v[10:11], v[8:9], v[10:11]
	v_pk_add_f32 v[4:5], v[4:5], v[10:11]
	v_mov_b32_e32 v7, v13
	v_mov_b32_e32 v9, v4
	v_pk_add_f32 v[12:13], v[8:9], v[6:7] neg_lo:[0,1] neg_hi:[0,1]
	v_mov_b32_e32 v3, v10
	v_sub_f32_e32 v1, v8, v12
	v_pk_add_f32 v[2:3], v[2:3], v[12:13] neg_lo:[0,1] neg_hi:[0,1]
	v_sub_f32_e32 v1, v6, v1
	v_add_f32_e32 v1, v2, v1
	v_add_f32_e32 v1, v1, v3
	;; [unrolled: 1-line block ×3, first 2 shown]
	v_sub_f32_e32 v3, v2, v4
	v_sub_f32_e32 v1, v1, v3
	v_mul_f32_e32 v3, v21, v2
	v_fma_f32 v2, v21, v2, -v3
	v_fmac_f32_e32 v2, v21, v1
	s_movk_i32 s35, 0x204
	v_add_f32_e32 v1, v3, v2
	v_cmp_class_f32_e64 s[38:39], v3, s35
	v_sub_f32_e32 v4, v1, v3
	v_cndmask_b32_e64 v1, v1, v3, s[38:39]
	v_cmp_eq_f32_e64 s[38:39], s77, v1
	v_cndmask_b32_e64 v3, 0, v193, s[38:39]
	v_sub_f32_e32 v2, v2, v4
	v_sub_f32_e32 v4, v1, v3
	v_mul_f32_e32 v5, 0x3fb8aa3b, v4
	v_fma_f32 v6, v4, s29, -v5
	v_rndne_f32_e32 v7, v5
	v_fmac_f32_e32 v6, 0x32a5705f, v4
	v_sub_f32_e32 v5, v5, v7
	v_add_f32_e32 v5, v5, v6
	v_exp_f32_e32 v5, v5
	v_cvt_i32_f32_e32 v6, v7
	v_cmp_neq_f32_e64 s[38:39], |v1|, s36
	v_cndmask_b32_e64 v1, 0, v2, s[38:39]
	v_cmp_ngt_f32_e64 s[38:39], s80, v4
	v_ldexp_f32 v2, v5, v6
	v_cndmask_b32_e64 v2, 0, v2, s[38:39]
	v_cmp_nlt_f32_e64 s[38:39], s77, v4
	v_add_f32_e32 v1, v3, v1
	v_cndmask_b32_e64 v2, v194, v2, s[38:39]
	v_fma_f32 v1, v2, v1, v2
	v_cmp_class_f32_e64 s[38:39], v2, s35
	v_trunc_f32_e32 v3, v21
	v_cndmask_b32_e64 v1, v1, v2, s[38:39]
	v_cndmask_b32_e64 v2, v19, 1.0, vcc
	v_cmp_eq_f32_e32 vcc, v3, v21
	v_mul_f32_e32 v3, 0.5, v21
	v_trunc_f32_e32 v4, v3
	v_cmp_neq_f32_e64 s[38:39], v4, v3
	s_and_b64 s[38:39], vcc, s[38:39]
	v_readlane_b32 s41, v215, 53
	v_cndmask_b32_e64 v3, 1.0, v2, s[38:39]
	s_brev_b32 s35, -2
	v_bfi_b32 v1, s35, v1, v3
	v_cmp_eq_f32_e64 s[40:41], 0, v2
	v_cmp_gt_f32_e64 s[42:43], 0, v21
	v_cndmask_b32_e32 v3, v195, v1, vcc
	v_cmp_gt_f32_e32 vcc, 0, v2
	s_xor_b64 s[42:43], s[42:43], s[40:41]
	v_cndmask_b32_e32 v1, v1, v3, vcc
	v_cmp_eq_f32_e32 vcc, s36, v23
	v_cndmask_b32_e64 v3, v194, 0, s[42:43]
	v_cndmask_b32_e64 v4, 0, v2, s[38:39]
	v_bfi_b32 v3, s35, v3, v4
	s_or_b64 vcc, vcc, s[40:41]
	v_cndmask_b32_e32 v1, v1, v3, vcc
	v_cmp_o_f32_e32 vcc, v2, v2
	v_cndmask_b32_e32 v46, v195, v1, vcc
.LBB9_19:                               ;   in Loop: Header=BB9_14 Depth=1
	v_readlane_b32 s35, v215, 3
	s_mul_i32 s34, s34, s35
	s_sub_i32 s9, s9, s34
	s_ashr_i32 s34, s9, 31
	v_readlane_b32 s35, v215, 23
	s_abs_i32 s9, s9
	s_xor_b32 s34, s34, s35
	s_mul_hi_u32 s35, s9, s45
	s_mul_i32 s36, s35, s33
	s_sub_i32 s9, s9, s36
	s_add_i32 s36, s35, 1
	s_sub_i32 s38, s9, s33
	s_cmp_ge_u32 s9, s33
	s_cselect_b32 s35, s36, s35
	s_cselect_b32 s9, s38, s9
	s_add_i32 s36, s35, 1
	s_cmp_ge_u32 s9, s33
	s_cselect_b32 s9, s36, s35
	v_readlane_b32 s38, v215, 45
	s_xor_b32 s9, s9, s34
	v_readlane_b32 s39, v215, 46
	s_andn2_b64 vcc, exec, s[38:39]
	s_sub_i32 s9, s9, s34
	s_cbranch_vccnz .LBB9_21
; %bb.20:                               ;   in Loop: Header=BB9_14 Depth=1
	v_readlane_b32 s34, v215, 0
	s_mul_i32 s34, s28, s34
	s_add_i32 s34, s9, s34
	s_ashr_i32 s35, s34, 31
	v_readlane_b32 s60, v215, 24
	s_lshl_b64 s[34:35], s[34:35], 2
	v_readlane_b32 s70, v215, 34
	v_readlane_b32 s71, v215, 35
	s_add_u32 s34, s70, s34
	s_addc_u32 s35, s71, s35
	global_load_dword v1, v163, s[34:35]
	v_readlane_b32 s61, v215, 25
	v_readlane_b32 s62, v215, 26
	;; [unrolled: 1-line block ×13, first 2 shown]
	s_waitcnt vmcnt(0)
	v_readfirstlane_b32 s34, v1
	s_ashr_i32 s35, s34, 31
	s_lshr_b32 s35, s35, 26
	s_add_i32 s34, s34, s35
	s_ashr_i32 s34, s34, 6
	s_min_i32 s82, s82, s34
	s_branch .LBB9_22
.LBB9_21:                               ;   in Loop: Header=BB9_14 Depth=1
	v_readlane_b32 s60, v215, 24
	v_readlane_b32 s61, v215, 25
	;; [unrolled: 1-line block ×16, first 2 shown]
.LBB9_22:                               ;   in Loop: Header=BB9_14 Depth=1
	v_readlane_b32 s34, v215, 51
	s_mul_i32 s34, s34, s28
	s_add_i32 s34, s44, s34
	s_mul_i32 s36, s34, 40
	s_lshl_b64 s[34:35], s[36:37], 3
	v_readlane_b32 s38, v215, 13
	s_add_u32 s34, s72, s34
	v_readlane_b32 s39, v215, 14
	v_writelane_b32 v214, s34, 15
	s_addc_u32 s70, s73, s35
	s_mul_i32 s34, s28, s39
	s_mul_hi_u32 s35, s28, s38
	s_add_i32 s34, s35, s34
	s_mul_i32 s35, s47, s38
	v_readlane_b32 s40, v215, 19
	s_add_i32 s71, s34, s35
	s_mul_i32 s72, s28, s38
	v_readlane_b32 s43, v215, 22
	s_add_u32 s34, s64, s72
	s_mul_i32 s73, s48, s43
	s_addc_u32 s35, s65, s71
	s_ashr_i32 s74, s73, 31
	s_add_u32 s95, s34, s73
	s_addc_u32 s87, s35, s74
	s_ashr_i32 s45, s44, 31
	s_lshl_b64 s[34:35], s[44:45], 2
	s_add_u32 s36, s68, s34
	v_readlane_b32 s41, v215, 20
	s_addc_u32 s38, s69, s35
	v_readlane_b32 s34, v215, 43
	s_mov_b64 s[52:53], s[40:41]
	v_readlane_b32 s35, v215, 44
	v_readlane_b32 s40, v215, 8
	s_and_b64 s[34:35], s[34:35], exec
	v_readlane_b32 s41, v215, 9
	s_cselect_b32 s34, 0, s36
	s_mul_i32 s36, s28, s41
	s_cselect_b32 s35, 0, s38
	s_ashr_i32 s38, s36, 31
	s_add_u32 s36, s60, s36
	s_mul_i32 s39, s44, s40
	s_addc_u32 s38, s61, s38
	s_ashr_i32 s40, s39, 31
	s_add_u32 s36, s36, s39
	s_addc_u32 s86, s38, s40
	s_mul_i32 s38, s28, s53
	s_mul_hi_u32 s39, s28, s52
	s_add_i32 s38, s39, s38
	s_mul_i32 s47, s47, s52
	s_add_i32 s69, s38, s47
	s_mul_i32 s75, s28, s52
	v_readlane_b32 s40, v215, 17
	s_add_u32 s28, s62, s75
	v_readlane_b32 s41, v215, 18
	s_addc_u32 s38, s63, s69
	s_mul_i32 s63, s48, s41
	s_ashr_i32 s39, s63, 31
	s_add_u32 s84, s28, s63
	s_addc_u32 s28, s38, s39
	s_mov_b32 s67, s39
	s_cmp_lg_u32 s46, 0
	v_readlane_b32 s42, v215, 21
	s_cbranch_scc0 .LBB9_57
; %bb.23:                               ;   in Loop: Header=BB9_14 Depth=1
	s_lshl_b32 s94, s9, 5
	v_add_u32_e32 v1, s94, v115
	v_cmp_le_i32_e32 vcc, s76, v1
	s_and_saveexec_b64 s[38:39], vcc
	s_xor_b64 s[38:39], exec, s[38:39]
	s_mov_b32 s66, s50
	s_cbranch_execz .LBB9_25
; %bb.24:                               ;   in Loop: Header=BB9_14 Depth=1
	ds_write_b32 v130, v163
                                        ; implicit-def: $vgpr1
.LBB9_25:                               ;   in Loop: Header=BB9_14 Depth=1
	s_or_saveexec_b64 s[38:39], s[38:39]
	s_mov_b32 s68, s49
	s_xor_b64 exec, exec, s[38:39]
	s_cbranch_execz .LBB9_27
; %bb.26:                               ;   in Loop: Header=BB9_14 Depth=1
	v_mad_u64_u32 v[2:3], s[40:41], v1, s68, v[34:35]
	v_ashrrev_i32_e32 v3, 31, v2
	v_lshlrev_b64 v[2:3], 3, v[2:3]
	v_mov_b32_e32 v1, s86
	v_add_co_u32_e32 v2, vcc, s36, v2
	v_addc_co_u32_e32 v3, vcc, v1, v3, vcc
	global_load_dwordx2 v[2:3], v[2:3], off
	s_waitcnt vmcnt(0)
	v_cvt_f16_f32_e32 v1, v2
	v_cvt_f16_f32_e32 v2, v3
	v_pack_b32_f16 v1, v1, v2
	v_pk_mul_f16 v1, v31, v1
	ds_write_b32 v130, v1
.LBB9_27:                               ;   in Loop: Header=BB9_14 Depth=1
	s_or_b64 exec, exec, s[38:39]
	v_add_u32_e32 v1, s94, v189
	v_cmp_le_i32_e32 vcc, s76, v1
	s_and_saveexec_b64 s[38:39], vcc
	s_xor_b64 s[38:39], exec, s[38:39]
	s_cbranch_execz .LBB9_29
; %bb.28:                               ;   in Loop: Header=BB9_14 Depth=1
	ds_write_b32 v130, v163 offset:1408
                                        ; implicit-def: $vgpr1
.LBB9_29:                               ;   in Loop: Header=BB9_14 Depth=1
	s_andn2_saveexec_b64 s[38:39], s[38:39]
	s_cbranch_execz .LBB9_31
; %bb.30:                               ;   in Loop: Header=BB9_14 Depth=1
	v_mad_u64_u32 v[2:3], s[40:41], v1, s68, v[34:35]
	v_ashrrev_i32_e32 v3, 31, v2
	v_lshlrev_b64 v[2:3], 3, v[2:3]
	v_mov_b32_e32 v1, s86
	v_add_co_u32_e32 v2, vcc, s36, v2
	v_addc_co_u32_e32 v3, vcc, v1, v3, vcc
	global_load_dwordx2 v[2:3], v[2:3], off
	s_waitcnt vmcnt(0)
	v_cvt_f16_f32_e32 v1, v2
	v_cvt_f16_f32_e32 v2, v3
	v_pack_b32_f16 v1, v1, v2
	v_pk_mul_f16 v1, v31, v1
	ds_write_b32 v130, v1 offset:1408
.LBB9_31:                               ;   in Loop: Header=BB9_14 Depth=1
	s_or_b64 exec, exec, s[38:39]
	v_add_u32_e32 v1, s94, v190
	v_cmp_le_i32_e32 vcc, s76, v1
	s_and_saveexec_b64 s[38:39], vcc
	s_xor_b64 s[38:39], exec, s[38:39]
	s_cbranch_execz .LBB9_33
; %bb.32:                               ;   in Loop: Header=BB9_14 Depth=1
	ds_write_b32 v130, v163 offset:2816
                                        ; implicit-def: $vgpr1
.LBB9_33:                               ;   in Loop: Header=BB9_14 Depth=1
	s_andn2_saveexec_b64 s[38:39], s[38:39]
	s_cbranch_execz .LBB9_35
; %bb.34:                               ;   in Loop: Header=BB9_14 Depth=1
	v_mad_u64_u32 v[2:3], s[40:41], v1, s68, v[34:35]
	v_ashrrev_i32_e32 v3, 31, v2
	v_lshlrev_b64 v[2:3], 3, v[2:3]
	v_mov_b32_e32 v1, s86
	v_add_co_u32_e32 v2, vcc, s36, v2
	v_addc_co_u32_e32 v3, vcc, v1, v3, vcc
	global_load_dwordx2 v[2:3], v[2:3], off
	s_waitcnt vmcnt(0)
	v_cvt_f16_f32_e32 v1, v2
	v_cvt_f16_f32_e32 v2, v3
	v_pack_b32_f16 v1, v1, v2
	v_pk_mul_f16 v1, v31, v1
	ds_write_b32 v130, v1 offset:2816
.LBB9_35:                               ;   in Loop: Header=BB9_14 Depth=1
	;; [unrolled: 27-line block ×3, first 2 shown]
	s_or_b64 exec, exec, s[38:39]
	v_add_u32_e32 v2, s94, v33
	v_cmp_gt_i32_e32 vcc, s76, v2
	v_mov_b32_e32 v79, 0
	v_mov_b32_e32 v1, 0
	s_and_saveexec_b64 s[38:39], vcc
	s_cbranch_execz .LBB9_41
; %bb.40:                               ;   in Loop: Header=BB9_14 Depth=1
	v_mul_lo_u32 v1, v2, s68
	v_ashrrev_i32_e32 v3, 31, v1
	v_add_co_u32_e32 v2, vcc, v1, v30
	v_addc_co_u32_e32 v3, vcc, 0, v3, vcc
	v_lshlrev_b64 v[2:3], 3, v[2:3]
	v_mov_b32_e32 v1, s86
	v_add_co_u32_e32 v2, vcc, s36, v2
	v_addc_co_u32_e32 v3, vcc, v1, v3, vcc
	global_load_dwordx2 v[2:3], v[2:3], off offset:256
	s_waitcnt vmcnt(0)
	v_cvt_f16_f32_e32 v1, v2
	v_cvt_f16_f32_e32 v2, v3
	v_pack_b32_f16 v1, v1, v2
	v_pk_mul_f16 v1, v31, v1
.LBB9_41:                               ;   in Loop: Header=BB9_14 Depth=1
	s_or_b64 exec, exec, s[38:39]
	ds_write_b32 v116, v1 offset:128
	s_waitcnt lgkmcnt(0)
	s_barrier
	ds_read2_b64 v[6:9], v117 offset1:4
	ds_read2_b64 v[2:5], v117 offset0:8 offset1:12
	ds_read_b64 v[50:51], v117 offset:128
	s_add_i32 s47, s82, -1
	s_cmp_le_i32 s47, s46
	v_mov_b32_e32 v1, 0xfeffffff
	s_waitcnt lgkmcnt(0)
	s_barrier
	s_cbranch_scc1 .LBB9_58
; %bb.42:                               ;   in Loop: Header=BB9_14 Depth=1
	v_lshlrev_b32_e32 v1, 1, v18
	v_add_co_u32_e32 v19, vcc, v48, v1
	v_add_u32_e32 v1, s94, v82
	v_mul_hi_u32 v10, s90, v1
	v_add_u32_e32 v10, v1, v10
	v_lshrrev_b32_e32 v10, s91, v10
	v_mul_lo_u32 v10, v10, s76
	v_sub_u32_e32 v1, v1, v10
	v_mad_i64_i32 v[10:11], s[40:41], v1, s66, 0
	v_add_u32_e32 v1, s94, v164
	v_mul_hi_u32 v12, s90, v1
	v_add_u32_e32 v12, v1, v12
	v_lshrrev_b32_e32 v12, s91, v12
	v_mul_lo_u32 v12, v12, s76
	v_sub_u32_e32 v1, v1, v12
	v_mad_i64_i32 v[12:13], s[40:41], v1, s66, 0
	;; [unrolled: 7-line block ×8, first 2 shown]
	v_and_b32_e32 v1, 64, v196
	v_addc_co_u32_e32 v21, vcc, 0, v49, vcc
	v_add_u32_e32 v1, 64, v1
	v_xor_b32_e32 v23, 32, v196
	v_cmp_lt_i32_e32 vcc, v23, v1
	v_xor_b32_e32 v47, 16, v196
	v_cndmask_b32_e32 v23, v196, v23, vcc
	v_cmp_lt_i32_e32 vcc, v47, v1
	v_cndmask_b32_e32 v1, v196, v47, vcc
	v_cmp_ne_u64_e64 s[38:39], 0, v[48:49]
	v_mov_b32_e32 v71, 0
	v_lshlrev_b32_e32 v23, 2, v23
	v_lshlrev_b32_e32 v70, 2, v1
	v_mov_b32_e32 v52, v46
	v_mov_b32_e32 v53, v46
	s_lshl_b32 s42, s46, 6
	v_mov_b32_e32 v197, 0
	v_mov_b32_e32 v198, 0xfeffffff
	v_lshlrev_b64 v[54:55], 1, v[10:11]
	v_lshlrev_b64 v[56:57], 1, v[12:13]
	;; [unrolled: 1-line block ×8, first 2 shown]
	v_mov_b32_e32 v74, 0
	v_mov_b32_e32 v73, 0
	;; [unrolled: 1-line block ×9, first 2 shown]
.LBB9_43:                               ;   Parent Loop BB9_14 Depth=1
                                        ; =>  This Inner Loop Header: Depth=2
	v_cndmask_b32_e64 v1, 0, 1, s[38:39]
	v_cmp_ne_u32_e64 s[40:41], 1, v1
	s_andn2_b64 vcc, exec, s[38:39]
	s_ashr_i32 s43, s42, 31
	s_cbranch_vccnz .LBB9_49
; %bb.44:                               ;   in Loop: Header=BB9_43 Depth=2
                                        ; implicit-def: $sgpr48
	s_and_saveexec_b64 s[44:45], s[4:5]
	s_xor_b64 s[44:45], exec, s[44:45]
	s_cbranch_execz .LBB9_46
; %bb.45:                               ;   in Loop: Header=BB9_43 Depth=2
	ds_write_b16 v118, v163 offset:11264
	ds_write_b16 v165, v163 offset:11264
	;; [unrolled: 1-line block ×4, first 2 shown]
	s_mov_b32 s48, 0
.LBB9_46:                               ;   in Loop: Header=BB9_43 Depth=2
	s_or_saveexec_b64 s[44:45], s[44:45]
	v_mov_b32_e32 v1, s48
	v_mov_b32_e32 v10, s48
	;; [unrolled: 1-line block ×4, first 2 shown]
	s_xor_b64 exec, exec, s[44:45]
	s_cbranch_execz .LBB9_48
; %bb.47:                               ;   in Loop: Header=BB9_43 Depth=2
	s_lshl_b64 s[48:49], s[42:43], 1
	v_add_co_u32_e32 v14, vcc, s48, v19
	v_mov_b32_e32 v1, s49
	v_addc_co_u32_e32 v15, vcc, v21, v1, vcc
	v_add_co_u32_e32 v10, vcc, v14, v54
	v_addc_co_u32_e32 v11, vcc, v15, v55, vcc
	flat_load_ushort v1, v[10:11]
	v_add_co_u32_e32 v10, vcc, v14, v56
	v_addc_co_u32_e32 v11, vcc, v15, v57, vcc
	flat_load_ushort v12, v[10:11]
	v_add_co_u32_e32 v10, vcc, v14, v58
	v_addc_co_u32_e32 v11, vcc, v15, v59, vcc
	flat_load_ushort v13, v[10:11]
	v_add_co_u32_e32 v10, vcc, v14, v60
	v_addc_co_u32_e32 v11, vcc, v15, v61, vcc
	flat_load_ushort v10, v[10:11]
	s_waitcnt vmcnt(0) lgkmcnt(0)
	ds_write_b16 v118, v1 offset:11264
	ds_write_b16 v165, v12 offset:11264
	;; [unrolled: 1-line block ×4, first 2 shown]
	v_add_co_u32_e32 v10, vcc, v14, v62
	v_addc_co_u32_e32 v11, vcc, v15, v63, vcc
	flat_load_ushort v1, v[10:11]
	v_add_co_u32_e32 v10, vcc, v14, v64
	v_addc_co_u32_e32 v11, vcc, v15, v65, vcc
	v_add_co_u32_e32 v12, vcc, v14, v66
	v_addc_co_u32_e32 v13, vcc, v15, v67, vcc
	flat_load_ushort v10, v[10:11]
	s_nop 0
	flat_load_ushort v11, v[12:13]
	v_add_co_u32_e32 v12, vcc, v14, v68
	v_addc_co_u32_e32 v13, vcc, v15, v69, vcc
	flat_load_ushort v12, v[12:13]
.LBB9_48:                               ;   in Loop: Header=BB9_43 Depth=2
	s_or_b64 exec, exec, s[44:45]
	s_waitcnt vmcnt(0) lgkmcnt(0)
	ds_write_b16 v171, v1 offset:11264
	ds_write_b16 v173, v10 offset:11264
	;; [unrolled: 1-line block ×4, first 2 shown]
.LBB9_49:                               ;   in Loop: Header=BB9_43 Depth=2
	s_mul_hi_i32 s45, s42, s92
	s_mul_i32 s44, s42, s92
	s_lshl_b64 s[44:45], s[44:45], 2
	s_add_u32 s48, s84, s44
	s_addc_u32 s43, s28, s45
	buffer_store_dword v163, off, s[0:3], 0
	buffer_store_dword v163, off, s[0:3], 0 offset:4
	buffer_store_dword v163, off, s[0:3], 0 offset:8
	;; [unrolled: 1-line block ×3, first 2 shown]
	s_and_saveexec_b64 s[44:45], s[6:7]
	s_cbranch_execz .LBB9_51
; %bb.50:                               ;   in Loop: Header=BB9_43 Depth=2
	v_mov_b32_e32 v1, s43
	v_add_co_u32_e32 v10, vcc, s48, v28
	v_addc_co_u32_e32 v1, vcc, v1, v29, vcc
	v_lshlrev_b32_e32 v11, 2, v20
	v_add_co_u32_e32 v10, vcc, v10, v11
	v_addc_co_u32_e32 v11, vcc, 0, v1, vcc
	global_load_dwordx4 v[10:13], v[10:11], off offset:128
	s_waitcnt vmcnt(0)
	ds_write_b128 v87, v[10:13]
.LBB9_51:                               ;   in Loop: Header=BB9_43 Depth=2
	s_or_b64 exec, exec, s[44:45]
	v_add_co_u32_e32 v1, vcc, s48, v40
	v_mov_b32_e32 v10, s43
	v_addc_co_u32_e32 v10, vcc, v10, v41, vcc
	v_lshlrev_b32_e32 v81, 2, v22
	v_add_co_u32_e32 v1, vcc, v1, v81
	v_addc_co_u32_e32 v10, vcc, 0, v10, vcc
	v_mov_b32_e32 v14, s89
	v_mov_b32_e32 v15, s88
	v_cndmask_b32_e64 v11, v14, v10, s[58:59]
	v_cndmask_b32_e64 v10, v15, v1, s[58:59]
	flat_load_dwordx4 v[10:13], v[10:11]
	v_add_co_u32_e32 v1, vcc, s48, v42
	s_waitcnt vmcnt(0) lgkmcnt(0)
	ds_write_b128 v103, v[10:13]
	v_mov_b32_e32 v10, s43
	v_addc_co_u32_e32 v10, vcc, v10, v43, vcc
	v_add_co_u32_e32 v1, vcc, v1, v81
	v_addc_co_u32_e32 v10, vcc, 0, v10, vcc
	v_cndmask_b32_e64 v11, v14, v10, s[10:11]
	v_cndmask_b32_e64 v10, v15, v1, s[10:11]
	flat_load_dwordx4 v[10:13], v[10:11]
	v_add_u32_e32 v1, v35, v120
	v_add_u32_e32 v47, 0x1000, v1
	s_and_b64 vcc, exec, s[40:41]
	s_waitcnt vmcnt(0) lgkmcnt(0)
	ds_write_b128 v183, v[10:13]
	s_waitcnt lgkmcnt(0)
	s_barrier
	ds_read2_b64 v[10:13], v1 offset1:4
	s_waitcnt lgkmcnt(0)
	v_mfma_f32_16x16x16f16 v[14:17], v[10:11], v[6:7], 0
	v_mfma_f32_16x16x16f16 v[10:13], v[12:13], v[8:9], v[14:17]
	s_nop 7
	s_nop 1
	ds_read2_b64 v[14:17], v1 offset0:8 offset1:12
	s_waitcnt lgkmcnt(0)
	v_mfma_f32_16x16x16f16 v[10:13], v[14:15], v[2:3], v[10:13]
	ds_read_b64 v[14:15], v1 offset:128
	v_mfma_f32_16x16x16f16 v[10:13], v[16:17], v[4:5], v[10:13]
	s_waitcnt lgkmcnt(0)
	v_mfma_f32_16x16x16f16 v[14:17], v[14:15], v[50:51], v[10:13]
	s_nop 7
	s_nop 0
	ds_read2_b64 v[10:13], v47 offset0:192 offset1:196
	s_waitcnt lgkmcnt(0)
	v_mfma_f32_16x16x16f16 v[200:203], v[10:11], v[6:7], 0
	v_mfma_f32_16x16x16f16 v[10:13], v[12:13], v[8:9], v[200:203]
	s_nop 7
	s_nop 1
	ds_read2_b64 v[200:203], v47 offset0:200 offset1:204
	s_waitcnt lgkmcnt(0)
	v_mfma_f32_16x16x16f16 v[10:13], v[200:201], v[2:3], v[10:13]
	ds_read_b64 v[200:201], v1 offset:5760
	s_waitcnt lgkmcnt(0)
	s_barrier
	v_mfma_f32_16x16x16f16 v[10:13], v[202:203], v[4:5], v[10:13]
	v_mfma_f32_16x16x16f16 v[10:13], v[200:201], v[50:51], v[10:13]
	s_cbranch_vccnz .LBB9_53
; %bb.52:                               ;   in Loop: Header=BB9_43 Depth=2
	v_add_u32_e32 v1, 0x2c00, v121
	ds_read2_b32 v[200:201], v1 offset1:1
	ds_read_b32 v1, v123 offset:11264
	v_mov_b32_e32 v47, v46
	s_waitcnt lgkmcnt(1)
	v_cvt_f32_f16_e32 v202, v200
	v_cvt_f32_f16_sdwa v203, v200 dst_sel:DWORD dst_unused:UNUSED_PAD src0_sel:WORD_1
	v_cvt_f32_f16_e32 v200, v201
	v_cvt_f32_f16_sdwa v201, v201 dst_sel:DWORD dst_unused:UNUSED_PAD src0_sel:WORD_1
	v_pk_fma_f32 v[14:15], v[52:53], v[202:203], v[14:15]
	v_pk_fma_f32 v[16:17], v[46:47], v[200:201], v[16:17]
	s_waitcnt lgkmcnt(0)
	v_cvt_f32_f16_sdwa v201, v1 dst_sel:DWORD dst_unused:UNUSED_PAD src0_sel:WORD_1
	v_cvt_f32_f16_e32 v200, v1
	ds_read_b32 v1, v125 offset:11264
	v_pk_fma_f32 v[10:11], v[52:53], v[200:201], v[10:11]
	s_waitcnt lgkmcnt(0)
	v_cvt_f32_f16_sdwa v203, v1 dst_sel:DWORD dst_unused:UNUSED_PAD src0_sel:WORD_1
	v_cvt_f32_f16_e32 v202, v1
	v_pk_fma_f32 v[12:13], v[46:47], v[202:203], v[12:13]
.LBB9_53:                               ;   in Loop: Header=BB9_43 Depth=2
	v_add_f32_e32 v1, 0x40051340, v14
	v_max_f32_e32 v47, v198, v198
	v_max_f32_e32 v1, v47, v1
	v_cndmask_b32_e64 v1, v198, v1, s[12:13]
	v_add_f32_e32 v47, 0x40051340, v15
	v_max_f32_e32 v199, v1, v1
	v_max_f32_e32 v47, v199, v47
	v_cndmask_b32_e64 v1, v1, v47, s[14:15]
	v_add_f32_e32 v47, 0x40051340, v16
	v_max_f32_e32 v199, v1, v1
	v_max_f32_e32 v47, v199, v47
	v_cndmask_b32_e64 v1, v1, v47, s[16:17]
	v_add_f32_e32 v47, 0x40051340, v17
	v_max_f32_e32 v199, v1, v1
	v_max_f32_e32 v47, v199, v47
	v_cndmask_b32_e64 v1, v1, v47, s[18:19]
	v_add_f32_e32 v47, 0x40051340, v10
	v_max_f32_e32 v199, v1, v1
	v_max_f32_e32 v47, v199, v47
	v_cndmask_b32_e64 v1, v1, v47, s[20:21]
	v_add_f32_e32 v47, 0x40051340, v11
	v_max_f32_e32 v199, v1, v1
	v_max_f32_e32 v47, v199, v47
	v_cndmask_b32_e64 v1, v1, v47, s[22:23]
	v_add_f32_e32 v47, 0x40051340, v12
	v_max_f32_e32 v199, v1, v1
	v_max_f32_e32 v47, v199, v47
	v_cndmask_b32_e64 v1, v1, v47, s[24:25]
	v_add_f32_e32 v47, 0x40051340, v13
	v_max_f32_e32 v199, v1, v1
	v_max_f32_e32 v47, v199, v47
	v_cndmask_b32_e64 v1, v1, v47, s[26:27]
	ds_bpermute_b32 v47, v23, v1
	v_max_f32_e32 v1, v1, v1
	s_mul_hi_i32 s41, s42, s78
	s_mul_i32 s40, s42, s78
	s_lshl_b64 s[40:41], s[40:41], 2
	s_waitcnt lgkmcnt(0)
	v_max_f32_e32 v47, v47, v47
	v_max_f32_e32 v1, v1, v47
	ds_bpermute_b32 v47, v70, v1
	s_add_u32 s44, s95, s40
	s_addc_u32 s43, s87, s41
	buffer_store_dword v163, off, s[0:3], 0
	buffer_store_dword v163, off, s[0:3], 0 offset:4
	buffer_store_dword v163, off, s[0:3], 0 offset:8
	;; [unrolled: 1-line block ×3, first 2 shown]
	s_and_saveexec_b64 s[40:41], s[6:7]
	s_cbranch_execz .LBB9_55
; %bb.54:                               ;   in Loop: Header=BB9_43 Depth=2
	v_mov_b32_e32 v199, s43
	v_add_co_u32_e32 v200, vcc, s44, v26
	v_addc_co_u32_e32 v199, vcc, v199, v27, vcc
	v_lshlrev_b32_e32 v201, 2, v20
	v_add_co_u32_e32 v200, vcc, v200, v201
	v_addc_co_u32_e32 v201, vcc, 0, v199, vcc
	global_load_dwordx4 v[200:203], v[200:201], off offset:128
	s_waitcnt vmcnt(0)
	ds_write_b128 v87, v[200:203]
.LBB9_55:                               ;   in Loop: Header=BB9_43 Depth=2
	s_or_b64 exec, exec, s[40:41]
	s_waitcnt lgkmcnt(0)
	v_max_f32_e32 v47, v47, v47
	v_max_f32_e32 v1, v1, v1
	;; [unrolled: 1-line block ×3, first 2 shown]
	v_sub_f32_e32 v14, v14, v1
	v_mul_f32_e32 v47, 0x3fb8aa3b, v14
	v_fma_f32 v199, v14, s29, -v47
	v_rndne_f32_e32 v200, v47
	v_fmac_f32_e32 v199, 0x32a5705f, v14
	v_sub_f32_e32 v47, v47, v200
	v_add_f32_e32 v47, v47, v199
	v_exp_f32_e32 v47, v47
	v_cvt_i32_f32_e32 v199, v200
	v_cmp_ngt_f32_e32 vcc, s80, v14
	v_cndmask_b32_e64 v16, v16, v16, s[14:15]
	v_cndmask_b32_e64 v17, v17, v17, s[14:15]
	v_ldexp_f32 v47, v47, v199
	v_cndmask_b32_e32 v47, 0, v47, vcc
	v_cmp_nlt_f32_e32 vcc, s77, v14
	v_cndmask_b32_e32 v14, v194, v47, vcc
	v_cndmask_b32_e64 v200, 0, v14, s[12:13]
	v_sub_f32_e32 v14, v15, v1
	v_mul_f32_e32 v15, 0x3fb8aa3b, v14
	v_fma_f32 v47, v14, s29, -v15
	v_rndne_f32_e32 v199, v15
	v_fmac_f32_e32 v47, 0x32a5705f, v14
	v_sub_f32_e32 v15, v15, v199
	v_add_f32_e32 v15, v15, v47
	v_exp_f32_e32 v15, v15
	v_cvt_i32_f32_e32 v47, v199
	v_cmp_ngt_f32_e32 vcc, s80, v14
	v_sub_f32_e32 v10, v10, v1
	v_cndmask_b32_e64 v11, v11, v11, s[20:21]
	v_ldexp_f32 v15, v15, v47
	v_cndmask_b32_e32 v15, 0, v15, vcc
	v_cmp_nlt_f32_e32 vcc, s77, v14
	v_cndmask_b32_e32 v14, v194, v15, vcc
	v_mov_b32_e32 v15, s37
	v_add_f32_e32 v47, v14, v200
	v_cndmask_b32_e64 v199, v15, v14, s[14:15]
	v_sub_f32_e32 v14, v16, v1
	v_mul_f32_e32 v16, 0x3fb8aa3b, v14
	v_cndmask_b32_e64 v15, v200, v47, s[14:15]
	v_fma_f32 v47, v14, s29, -v16
	v_rndne_f32_e32 v201, v16
	v_fmac_f32_e32 v47, 0x32a5705f, v14
	v_sub_f32_e32 v16, v16, v201
	v_add_f32_e32 v16, v16, v47
	v_exp_f32_e32 v16, v16
	v_cvt_i32_f32_e32 v47, v201
	v_cmp_ngt_f32_e32 vcc, s80, v14
	v_sub_f32_e32 v11, v11, v1
	v_cndmask_b32_e64 v12, v12, v12, s[20:21]
	v_ldexp_f32 v16, v16, v47
	v_cndmask_b32_e32 v16, 0, v16, vcc
	v_cmp_nlt_f32_e32 vcc, s77, v14
	v_cndmask_b32_e32 v16, v194, v16, vcc
	v_add_f32_e32 v47, v15, v16
	v_mov_b32_e32 v14, s37
	v_cndmask_b32_e64 v201, v14, v16, s[16:17]
	v_cndmask_b32_e64 v14, v15, v47, s[16:17]
	v_sub_f32_e32 v15, v17, v1
	v_mul_f32_e32 v16, 0x3fb8aa3b, v15
	v_fma_f32 v17, v15, s29, -v16
	v_rndne_f32_e32 v47, v16
	v_fmac_f32_e32 v17, 0x32a5705f, v15
	v_sub_f32_e32 v16, v16, v47
	v_add_f32_e32 v16, v16, v17
	v_exp_f32_e32 v16, v16
	v_cvt_i32_f32_e32 v17, v47
	v_cmp_ngt_f32_e32 vcc, s80, v15
	v_cndmask_b32_e64 v13, v13, v13, s[20:21]
	s_add_i32 s46, s46, 1
	v_ldexp_f32 v16, v16, v17
	v_cndmask_b32_e32 v16, 0, v16, vcc
	v_cmp_nlt_f32_e32 vcc, s77, v15
	v_cndmask_b32_e32 v202, v194, v16, vcc
	v_add_f32_e32 v15, v14, v202
	v_cndmask_b32_e64 v14, v14, v15, s[18:19]
	v_mul_f32_e32 v15, 0x3fb8aa3b, v10
	v_fma_f32 v16, v10, s29, -v15
	v_rndne_f32_e32 v17, v15
	v_fmac_f32_e32 v16, 0x32a5705f, v10
	v_sub_f32_e32 v15, v15, v17
	v_add_f32_e32 v15, v15, v16
	v_exp_f32_e32 v15, v15
	v_cvt_i32_f32_e32 v16, v17
	v_cmp_ngt_f32_e32 vcc, s80, v10
	s_add_i32 s42, s42, 64
	s_cmp_lt_i32 s46, s47
	v_ldexp_f32 v15, v15, v16
	v_cndmask_b32_e32 v15, 0, v15, vcc
	v_cmp_nlt_f32_e32 vcc, s77, v10
	v_cndmask_b32_e32 v15, v194, v15, vcc
	v_add_f32_e32 v16, v15, v14
	v_mov_b32_e32 v10, s37
	v_cndmask_b32_e64 v203, v10, v15, s[20:21]
	v_cndmask_b32_e64 v10, v14, v16, s[20:21]
	v_mul_f32_e32 v14, 0x3fb8aa3b, v11
	v_fma_f32 v15, v11, s29, -v14
	v_rndne_f32_e32 v16, v14
	v_fmac_f32_e32 v15, 0x32a5705f, v11
	v_sub_f32_e32 v14, v14, v16
	v_add_f32_e32 v14, v14, v15
	v_exp_f32_e32 v14, v14
	v_cvt_i32_f32_e32 v15, v16
	v_cmp_ngt_f32_e32 vcc, s80, v11
	v_ldexp_f32 v14, v14, v15
	v_cndmask_b32_e32 v14, 0, v14, vcc
	v_cmp_nlt_f32_e32 vcc, s77, v11
	v_cndmask_b32_e32 v14, v194, v14, vcc
	v_add_f32_e32 v15, v14, v10
	v_mov_b32_e32 v11, s37
	v_cndmask_b32_e64 v204, v11, v14, s[22:23]
	v_cndmask_b32_e64 v11, v10, v15, s[22:23]
	v_sub_f32_e32 v10, v12, v1
	v_mul_f32_e32 v12, 0x3fb8aa3b, v10
	v_fma_f32 v14, v10, s29, -v12
	v_rndne_f32_e32 v15, v12
	v_fmac_f32_e32 v14, 0x32a5705f, v10
	v_sub_f32_e32 v12, v12, v15
	v_add_f32_e32 v12, v12, v14
	v_exp_f32_e32 v12, v12
	v_cvt_i32_f32_e32 v14, v15
	v_cmp_ngt_f32_e32 vcc, s80, v10
	v_ldexp_f32 v12, v12, v14
	v_cndmask_b32_e32 v12, 0, v12, vcc
	v_cmp_nlt_f32_e32 vcc, s77, v10
	v_cndmask_b32_e32 v12, v194, v12, vcc
	v_add_f32_e32 v14, v12, v11
	v_mov_b32_e32 v10, s37
	v_cndmask_b32_e64 v12, v10, v12, s[24:25]
	v_cndmask_b32_e64 v10, v11, v14, s[24:25]
	v_sub_f32_e32 v11, v13, v1
	v_mul_f32_e32 v13, 0x3fb8aa3b, v11
	v_fma_f32 v14, v11, s29, -v13
	v_rndne_f32_e32 v15, v13
	v_fmac_f32_e32 v14, 0x32a5705f, v11
	v_sub_f32_e32 v13, v13, v15
	v_add_f32_e32 v13, v13, v14
	v_exp_f32_e32 v13, v13
	v_cvt_i32_f32_e32 v14, v15
	v_cmp_ngt_f32_e32 vcc, s80, v11
	v_ldexp_f32 v13, v13, v14
	v_cndmask_b32_e32 v13, 0, v13, vcc
	v_cmp_nlt_f32_e32 vcc, s77, v11
	v_cndmask_b32_e32 v13, v194, v13, vcc
	v_add_f32_e32 v11, v13, v10
	v_cndmask_b32_e64 v14, v10, v11, s[26:27]
	v_sub_f32_e32 v10, v198, v1
	v_mul_f32_e32 v11, 0x3fb8aa3b, v10
	v_fma_f32 v15, v10, s29, -v11
	v_rndne_f32_e32 v16, v11
	v_fmac_f32_e32 v15, 0x32a5705f, v10
	v_sub_f32_e32 v11, v11, v16
	v_add_f32_e32 v11, v11, v15
	v_exp_f32_e32 v11, v11
	v_cvt_i32_f32_e32 v15, v16
	v_cmp_ngt_f32_e32 vcc, s80, v10
	v_ldexp_f32 v11, v11, v15
	v_cndmask_b32_e32 v11, 0, v11, vcc
	v_cmp_nlt_f32_e32 vcc, s77, v10
	v_cndmask_b32_e32 v11, v194, v11, vcc
	v_cmp_le_f32_e32 vcc, s83, v10
	v_cndmask_b32_e32 v10, 0, v11, vcc
	v_fmac_f32_e32 v14, v197, v10
	v_cvt_f16_f32_e32 v10, v10
	v_mov_b32_e32 v11, s37
	v_cndmask_b32_e64 v13, v11, v13, s[26:27]
	v_pk_mul_f16 v73, v10, v73 op_sel_hi:[0,1]
	v_pk_mul_f16 v72, v10, v72 op_sel_hi:[0,1]
	v_pk_mul_f16 v197, v10, v71 op_sel_hi:[0,1]
	v_pk_mul_f16 v71, v10, v74 op_sel_hi:[0,1]
	v_pk_mul_f16 v76, v10, v76 op_sel_hi:[0,1]
	v_pk_mul_f16 v75, v10, v75 op_sel_hi:[0,1]
	v_pk_mul_f16 v47, v10, v78 op_sel_hi:[0,1]
	v_pk_mul_f16 v17, v10, v77 op_sel_hi:[0,1]
	v_pk_mul_f16 v16, v10, v80 op_sel_hi:[0,1]
	v_pk_mul_f16 v15, v10, v79 op_sel_hi:[0,1]
	v_cndmask_b32_e64 v74, v11, v202, s[18:19]
	v_cvt_f16_f32_e32 v10, v203
	v_cvt_f16_f32_e32 v11, v204
	v_cvt_f16_f32_e32 v74, v74
	v_mov_b32_e32 v77, s43
	v_mov_b32_e32 v80, s89
	v_pack_b32_f16 v10, v10, v11
	v_cvt_f16_f32_e32 v11, v12
	v_cvt_f16_f32_e32 v12, v13
	;; [unrolled: 1-line block ×3, first 2 shown]
	v_pack_b32_f16 v11, v11, v12
	v_cvt_f16_f32_e32 v12, v200
	v_pack_b32_f16 v12, v12, v13
	v_cvt_f16_f32_e32 v13, v201
	v_pack_b32_f16 v13, v13, v74
	v_add_co_u32_e32 v74, vcc, s44, v36
	v_addc_co_u32_e32 v77, vcc, v77, v37, vcc
	v_add_co_u32_e32 v74, vcc, v74, v81
	v_addc_co_u32_e32 v77, vcc, 0, v77, vcc
	v_cndmask_b32_e64 v79, v80, v77, s[58:59]
	v_mov_b32_e32 v77, s88
	v_cndmask_b32_e64 v78, v77, v74, s[58:59]
	flat_load_dwordx4 v[198:201], v[78:79]
	v_add_co_u32_e32 v74, vcc, s44, v38
	v_mov_b32_e32 v78, s43
	v_addc_co_u32_e32 v78, vcc, v78, v39, vcc
	v_add_co_u32_e32 v74, vcc, v74, v81
	v_addc_co_u32_e32 v78, vcc, 0, v78, vcc
	v_cndmask_b32_e64 v79, v80, v78, s[10:11]
	v_cndmask_b32_e64 v78, v77, v74, s[10:11]
	s_waitcnt vmcnt(0) lgkmcnt(0)
	ds_write_b128 v103, v[198:201]
	flat_load_dwordx4 v[78:81], v[78:79]
	s_waitcnt vmcnt(0) lgkmcnt(0)
	ds_write_b128 v183, v[78:81]
	s_waitcnt lgkmcnt(0)
	s_barrier
	ds_read_u16 v74, v89 offset:176
	ds_read_u16 v77, v89 offset:352
	v_cvt_f32_f16_e32 v80, v72
	v_cvt_f32_f16_sdwa v81, v72 dst_sel:DWORD dst_unused:UNUSED_PAD src0_sel:WORD_1
	ds_read_u16 v72, v90
	ds_read_u16 v198, v90 offset:32
	v_cvt_f32_f16_e32 v78, v73
	v_cvt_f32_f16_sdwa v79, v73 dst_sel:DWORD dst_unused:UNUSED_PAD src0_sel:WORD_1
	s_waitcnt lgkmcnt(1)
	v_perm_b32 v73, v72, v77, s81
	ds_read_u16 v72, v88
	ds_read_u16 v77, v88 offset:32
	ds_read_u16 v199, v88 offset:5632
	;; [unrolled: 1-line block ×5, first 2 shown]
	s_waitcnt lgkmcnt(5)
	v_perm_b32 v72, v74, v72, s81
	s_nop 1
	v_mfma_f32_16x16x16f16 v[78:81], v[72:73], v[12:13], v[78:81]
	s_nop 7
	s_nop 2
	v_cvt_f16_f32_e32 v72, v78
	v_cvt_f16_f32_e32 v73, v79
	v_cvt_f16_f32_e32 v74, v80
	v_cvt_f16_f32_e32 v81, v81
	v_cvt_f32_f16_e32 v78, v72
	v_cvt_f32_f16_e32 v79, v73
	s_waitcnt lgkmcnt(0)
	v_perm_b32 v73, v202, v201, s81
	v_perm_b32 v72, v200, v199, s81
	v_cvt_f32_f16_e32 v80, v74
	v_cvt_f32_f16_e32 v81, v81
	v_cvt_f32_f16_sdwa v201, v15 dst_sel:DWORD dst_unused:UNUSED_PAD src0_sel:WORD_1
	s_nop 0
	v_mfma_f32_16x16x16f16 v[78:81], v[72:73], v[10:11], v[78:81]
	s_nop 7
	s_nop 2
	v_cvt_f16_f32_e32 v72, v78
	v_cvt_f16_f32_e32 v73, v79
	;; [unrolled: 1-line block ×4, first 2 shown]
	v_cvt_f32_f16_sdwa v79, v197 dst_sel:DWORD dst_unused:UNUSED_PAD src0_sel:WORD_1
	v_pack_b32_f16 v73, v72, v73
	v_cvt_f32_f16_e32 v80, v71
	v_pack_b32_f16 v72, v74, v78
	ds_read_u16 v74, v179 offset:176
	ds_read_u16 v199, v179 offset:352
	v_cvt_f32_f16_e32 v78, v197
	v_cvt_f32_f16_sdwa v81, v71 dst_sel:DWORD dst_unused:UNUSED_PAD src0_sel:WORD_1
	s_waitcnt lgkmcnt(0)
	v_perm_b32 v199, v198, v199, s81
	v_perm_b32 v198, v74, v77, s81
	s_nop 1
	v_mfma_f32_16x16x16f16 v[78:81], v[198:199], v[12:13], v[78:81]
	ds_read_u16 v197, v91 offset:5632
	ds_read_u16 v198, v92 offset:176
	;; [unrolled: 1-line block ×4, first 2 shown]
	s_waitcnt lgkmcnt(2)
	v_perm_b32 v198, v198, v197, s81
	s_waitcnt lgkmcnt(0)
	v_perm_b32 v199, v200, v199, s81
	s_nop 2
	v_cvt_f16_f32_e32 v71, v78
	v_cvt_f16_f32_e32 v74, v79
	;; [unrolled: 1-line block ×4, first 2 shown]
	v_cvt_f32_f16_e32 v78, v71
	v_cvt_f32_f16_e32 v79, v74
	;; [unrolled: 1-line block ×4, first 2 shown]
	s_nop 1
	v_mfma_f32_16x16x16f16 v[78:81], v[198:199], v[10:11], v[78:81]
	s_nop 7
	s_nop 2
	v_cvt_f16_f32_e32 v71, v78
	v_cvt_f16_f32_e32 v74, v79
	;; [unrolled: 1-line block ×4, first 2 shown]
	v_cvt_f32_f16_sdwa v79, v76 dst_sel:DWORD dst_unused:UNUSED_PAD src0_sel:WORD_1
	v_pack_b32_f16 v71, v71, v74
	v_cvt_f32_f16_e32 v80, v75
	v_pack_b32_f16 v74, v77, v78
	ds_read_u16 v197, v88 offset:64
	ds_read_u16 v198, v180 offset:176
	;; [unrolled: 1-line block ×4, first 2 shown]
	v_cvt_f32_f16_e32 v78, v76
	v_cvt_f32_f16_sdwa v81, v75 dst_sel:DWORD dst_unused:UNUSED_PAD src0_sel:WORD_1
	s_waitcnt lgkmcnt(2)
	v_perm_b32 v76, v198, v197, s81
	s_waitcnt lgkmcnt(0)
	v_perm_b32 v77, v199, v77, s81
	s_nop 1
	v_mfma_f32_16x16x16f16 v[76:79], v[76:77], v[12:13], v[78:81]
	s_nop 6
	ds_read_u16 v80, v94 offset:5632
	ds_read_u16 v197, v95 offset:176
	;; [unrolled: 1-line block ×4, first 2 shown]
	s_waitcnt lgkmcnt(2)
	v_perm_b32 v80, v197, v80, s81
	s_waitcnt lgkmcnt(0)
	v_perm_b32 v81, v198, v81, s81
	v_cvt_f16_f32_e32 v75, v76
	v_cvt_f16_f32_e32 v77, v77
	;; [unrolled: 1-line block ×4, first 2 shown]
	v_cvt_f32_f16_e32 v76, v75
	v_cvt_f32_f16_e32 v77, v77
	;; [unrolled: 1-line block ×4, first 2 shown]
	s_nop 1
	v_mfma_f32_16x16x16f16 v[76:79], v[80:81], v[10:11], v[76:79]
	v_cvt_f32_f16_e32 v80, v17
	v_cvt_f32_f16_sdwa v81, v17 dst_sel:DWORD dst_unused:UNUSED_PAD src0_sel:WORD_1
	s_nop 7
	s_nop 0
	v_cvt_f16_f32_e32 v75, v76
	v_cvt_f16_f32_e32 v76, v77
	;; [unrolled: 1-line block ×4, first 2 shown]
	v_cvt_f32_f16_sdwa v79, v47 dst_sel:DWORD dst_unused:UNUSED_PAD src0_sel:WORD_1
	v_pack_b32_f16 v76, v75, v76
	v_pack_b32_f16 v75, v77, v78
	ds_read_u16 v77, v88 offset:96
	ds_read_u16 v197, v181 offset:176
	;; [unrolled: 1-line block ×4, first 2 shown]
	v_cvt_f32_f16_e32 v78, v47
	s_waitcnt lgkmcnt(0)
	v_perm_b32 v199, v199, v198, s81
	v_perm_b32 v198, v197, v77, s81
	s_nop 1
	v_mfma_f32_16x16x16f16 v[78:81], v[198:199], v[12:13], v[78:81]
	ds_read_u16 v197, v97 offset:5632
	ds_read_u16 v198, v98 offset:176
	;; [unrolled: 1-line block ×4, first 2 shown]
	s_waitcnt lgkmcnt(2)
	v_perm_b32 v198, v198, v197, s81
	s_waitcnt lgkmcnt(0)
	v_perm_b32 v199, v200, v199, s81
	v_cvt_f32_f16_e32 v200, v15
	s_nop 1
	v_cvt_f16_f32_e32 v17, v78
	v_cvt_f16_f32_e32 v47, v79
	;; [unrolled: 1-line block ×4, first 2 shown]
	v_cvt_f32_f16_e32 v78, v17
	v_cvt_f32_f16_e32 v79, v47
	;; [unrolled: 1-line block ×4, first 2 shown]
	s_nop 1
	v_mfma_f32_16x16x16f16 v[78:81], v[198:199], v[10:11], v[78:81]
	v_cvt_f32_f16_e32 v198, v16
	v_cvt_f32_f16_sdwa v199, v16 dst_sel:DWORD dst_unused:UNUSED_PAD src0_sel:WORD_1
	s_nop 7
	s_nop 0
	v_cvt_f16_f32_e32 v17, v78
	v_cvt_f16_f32_e32 v47, v79
	;; [unrolled: 1-line block ×4, first 2 shown]
	v_pack_b32_f16 v78, v17, v47
	v_pack_b32_f16 v77, v77, v79
	ds_read_u16 v47, v88 offset:128
	ds_read_u16 v79, v182 offset:176
	ds_read_u16 v17, v182 offset:352
	ds_read_u16 v80, v90 offset:128
	s_waitcnt lgkmcnt(2)
	v_perm_b32 v16, v79, v47, s81
	s_waitcnt lgkmcnt(0)
	v_perm_b32 v17, v80, v17, s81
	s_nop 1
	v_mfma_f32_16x16x16f16 v[198:201], v[16:17], v[12:13], v[198:201]
	ds_read_u16 v17, v100 offset:5632
	ds_read_u16 v47, v101 offset:176
	;; [unrolled: 1-line block ×4, first 2 shown]
	s_waitcnt lgkmcnt(0)
	s_barrier
	s_nop 4
	v_cvt_f16_f32_e32 v12, v198
	v_cvt_f16_f32_e32 v13, v199
	v_cvt_f16_f32_e32 v15, v200
	v_cvt_f16_f32_e32 v16, v201
	v_cvt_f32_f16_e32 v198, v12
	v_cvt_f32_f16_e32 v199, v13
	v_perm_b32 v13, v80, v79, s81
	v_perm_b32 v12, v47, v17, s81
	v_cvt_f32_f16_e32 v200, v15
	v_cvt_f32_f16_e32 v201, v16
	s_nop 1
	v_mfma_f32_16x16x16f16 v[10:13], v[12:13], v[10:11], v[198:201]
	s_nop 7
	s_nop 2
	v_cvt_f16_f32_e32 v10, v10
	v_cvt_f16_f32_e32 v11, v11
	;; [unrolled: 1-line block ×4, first 2 shown]
	v_pack_b32_f16 v80, v10, v11
	v_pack_b32_f16 v79, v12, v13
	s_cbranch_scc0 .LBB9_59
; %bb.56:                               ;   in Loop: Header=BB9_43 Depth=2
	v_mov_b32_e32 v197, v14
	v_mov_b32_e32 v198, v1
	s_branch .LBB9_43
.LBB9_57:                               ;   in Loop: Header=BB9_14 Depth=1
	s_mov_b32 s66, s50
	s_mov_b32 s68, s49
	s_cbranch_execz .LBB9_13
	s_branch .LBB9_133
.LBB9_58:                               ;   in Loop: Header=BB9_14 Depth=1
	v_mov_b32_e32 v80, 0
	v_mov_b32_e32 v77, 0
	;; [unrolled: 1-line block ×10, first 2 shown]
.LBB9_59:                               ;   in Loop: Header=BB9_14 Depth=1
	s_lshl_b32 s98, s46, 6
	v_readlane_b32 s38, v215, 4
	v_cmp_eq_u64_e32 vcc, 0, v[48:49]
	s_sub_i32 s62, s38, s98
	v_cmp_ne_u64_e64 s[42:43], 0, v[48:49]
	s_ashr_i32 s99, s98, 31
	v_readlane_b32 s39, v215, 5
	s_cbranch_vccnz .LBB9_69
; %bb.60:                               ;   in Loop: Header=BB9_14 Depth=1
	v_cmp_le_i32_e32 vcc, s62, v18
                                        ; implicit-def: $sgpr44
	s_and_saveexec_b64 s[38:39], vcc
	s_xor_b64 s[38:39], exec, s[38:39]
	s_cbranch_execz .LBB9_62
; %bb.61:                               ;   in Loop: Header=BB9_14 Depth=1
	ds_write_b16 v118, v163 offset:11264
	ds_write_b16 v165, v163 offset:11264
	s_mov_b32 s44, 0
.LBB9_62:                               ;   in Loop: Header=BB9_14 Depth=1
	s_or_saveexec_b64 s[40:41], s[38:39]
	s_lshl_b64 s[38:39], s[98:99], 1
	v_mov_b32_e32 v10, s39
	v_add_co_u32_e64 v11, s[38:39], s38, v48
	v_addc_co_u32_e64 v12, s[38:39], v49, v10, s[38:39]
	v_lshlrev_b32_e32 v10, 1, v18
	v_add_co_u32_e64 v10, s[38:39], v11, v10
	v_addc_co_u32_e64 v11, s[38:39], 0, v12, s[38:39]
	v_mov_b32_e32 v12, s44
	v_mov_b32_e32 v13, s44
	s_xor_b64 exec, exec, s[40:41]
	s_cbranch_execz .LBB9_64
; %bb.63:                               ;   in Loop: Header=BB9_14 Depth=1
	v_add_u32_e32 v12, s94, v82
	v_mul_hi_u32 v13, s90, v12
	v_add_u32_e32 v13, v12, v13
	v_lshrrev_b32_e32 v13, s91, v13
	v_mul_lo_u32 v13, v13, s76
	v_sub_u32_e32 v12, v12, v13
	v_mad_i64_i32 v[12:13], s[38:39], v12, s66, 0
	v_lshlrev_b64 v[12:13], 1, v[12:13]
	v_add_co_u32_e64 v12, s[38:39], v10, v12
	v_addc_co_u32_e64 v13, s[38:39], v11, v13, s[38:39]
	flat_load_ushort v15, v[12:13]
	v_add_u32_e32 v12, s94, v164
	v_mul_hi_u32 v13, s90, v12
	v_add_u32_e32 v13, v12, v13
	v_lshrrev_b32_e32 v13, s91, v13
	v_mul_lo_u32 v13, v13, s76
	v_sub_u32_e32 v12, v12, v13
	v_mad_i64_i32 v[12:13], s[38:39], v12, s66, 0
	v_lshlrev_b64 v[12:13], 1, v[12:13]
	v_add_co_u32_e64 v12, s[38:39], v10, v12
	v_addc_co_u32_e64 v13, s[38:39], v11, v13, s[38:39]
	flat_load_ushort v12, v[12:13]
	s_waitcnt vmcnt(0) lgkmcnt(0)
	ds_write_b16 v118, v15 offset:11264
	ds_write_b16 v165, v12 offset:11264
	v_add_u32_e32 v12, s94, v166
	v_mul_hi_u32 v13, s90, v12
	v_add_u32_e32 v13, v12, v13
	v_lshrrev_b32_e32 v13, s91, v13
	v_mul_lo_u32 v13, v13, s76
	v_sub_u32_e32 v12, v12, v13
	v_mad_i64_i32 v[12:13], s[38:39], v12, s66, 0
	v_lshlrev_b64 v[12:13], 1, v[12:13]
	v_add_co_u32_e64 v12, s[38:39], v10, v12
	v_addc_co_u32_e64 v13, s[38:39], v11, v13, s[38:39]
	flat_load_ushort v12, v[12:13]
	v_add_u32_e32 v13, s94, v168
	v_mul_hi_u32 v15, s90, v13
	v_add_u32_e32 v15, v13, v15
	v_lshrrev_b32_e32 v15, s91, v15
	v_mul_lo_u32 v15, v15, s76
	v_sub_u32_e32 v13, v13, v15
	v_mad_i64_i32 v[16:17], s[38:39], v13, s66, 0
	v_lshlrev_b64 v[16:17], 1, v[16:17]
	v_add_co_u32_e64 v16, s[38:39], v10, v16
	v_addc_co_u32_e64 v17, s[38:39], v11, v17, s[38:39]
	flat_load_ushort v13, v[16:17]
.LBB9_64:                               ;   in Loop: Header=BB9_14 Depth=1
	s_or_b64 exec, exec, s[40:41]
	s_waitcnt vmcnt(0) lgkmcnt(0)
	ds_write_b16 v167, v12 offset:11264
	ds_write_b16 v169, v13 offset:11264
                                        ; implicit-def: $sgpr40
	s_and_saveexec_b64 s[38:39], vcc
	s_xor_b64 s[38:39], exec, s[38:39]
	s_cbranch_execz .LBB9_66
; %bb.65:                               ;   in Loop: Header=BB9_14 Depth=1
	ds_write_b16 v171, v163 offset:11264
	ds_write_b16 v173, v163 offset:11264
	s_mov_b32 s40, 0
                                        ; implicit-def: $vgpr10
                                        ; implicit-def: $vgpr11
.LBB9_66:                               ;   in Loop: Header=BB9_14 Depth=1
	s_or_saveexec_b64 s[38:39], s[38:39]
	v_mov_b32_e32 v12, s40
	v_mov_b32_e32 v13, s40
	s_xor_b64 exec, exec, s[38:39]
	s_cbranch_execz .LBB9_68
; %bb.67:                               ;   in Loop: Header=BB9_14 Depth=1
	v_add_u32_e32 v12, s94, v170
	v_mul_hi_u32 v13, s90, v12
	v_add_u32_e32 v13, v12, v13
	v_lshrrev_b32_e32 v13, s91, v13
	v_mul_lo_u32 v13, v13, s76
	v_sub_u32_e32 v12, v12, v13
	v_mad_i64_i32 v[12:13], s[40:41], v12, s66, 0
	v_lshlrev_b64 v[12:13], 1, v[12:13]
	v_add_co_u32_e32 v12, vcc, v10, v12
	v_addc_co_u32_e32 v13, vcc, v11, v13, vcc
	flat_load_ushort v15, v[12:13]
	v_add_u32_e32 v12, s94, v172
	v_mul_hi_u32 v13, s90, v12
	v_add_u32_e32 v13, v12, v13
	v_lshrrev_b32_e32 v13, s91, v13
	v_mul_lo_u32 v13, v13, s76
	v_sub_u32_e32 v12, v12, v13
	v_mad_i64_i32 v[12:13], s[40:41], v12, s66, 0
	v_lshlrev_b64 v[12:13], 1, v[12:13]
	v_add_co_u32_e32 v12, vcc, v10, v12
	v_addc_co_u32_e32 v13, vcc, v11, v13, vcc
	flat_load_ushort v12, v[12:13]
	s_waitcnt vmcnt(0) lgkmcnt(0)
	ds_write_b16 v171, v15 offset:11264
	ds_write_b16 v173, v12 offset:11264
	v_add_u32_e32 v12, s94, v174
	v_mul_hi_u32 v13, s90, v12
	v_add_u32_e32 v13, v12, v13
	v_lshrrev_b32_e32 v13, s91, v13
	v_mul_lo_u32 v13, v13, s76
	v_sub_u32_e32 v12, v12, v13
	v_mad_i64_i32 v[12:13], s[40:41], v12, s66, 0
	v_lshlrev_b64 v[12:13], 1, v[12:13]
	v_add_co_u32_e32 v12, vcc, v10, v12
	v_addc_co_u32_e32 v13, vcc, v11, v13, vcc
	flat_load_ushort v12, v[12:13]
	v_add_u32_e32 v13, s94, v176
	v_mul_hi_u32 v15, s90, v13
	v_add_u32_e32 v15, v13, v15
	v_lshrrev_b32_e32 v15, s91, v15
	v_mul_lo_u32 v15, v15, s76
	v_sub_u32_e32 v13, v13, v15
	v_mad_i64_i32 v[16:17], s[40:41], v13, s66, 0
	v_lshlrev_b64 v[16:17], 1, v[16:17]
	v_add_co_u32_e32 v10, vcc, v10, v16
	v_addc_co_u32_e32 v11, vcc, v11, v17, vcc
	flat_load_ushort v13, v[10:11]
.LBB9_68:                               ;   in Loop: Header=BB9_14 Depth=1
	s_or_b64 exec, exec, s[38:39]
	s_waitcnt vmcnt(0) lgkmcnt(0)
	ds_write_b16 v175, v12 offset:11264
	ds_write_b16 v177, v13 offset:11264
.LBB9_69:                               ;   in Loop: Header=BB9_14 Depth=1
	s_mul_hi_i32 s39, s98, s92
	s_mul_i32 s38, s98, s92
	s_lshl_b64 s[38:39], s[38:39], 2
	s_add_u32 s44, s84, s38
	s_addc_u32 s45, s28, s39
	buffer_store_dword v163, off, s[0:3], 0
	buffer_store_dword v163, off, s[0:3], 0 offset:4
	buffer_store_dword v163, off, s[0:3], 0 offset:8
	;; [unrolled: 1-line block ×3, first 2 shown]
	s_and_saveexec_b64 s[38:39], s[6:7]
	s_cbranch_execz .LBB9_71
; %bb.70:                               ;   in Loop: Header=BB9_14 Depth=1
	v_mov_b32_e32 v10, s45
	v_add_co_u32_e32 v11, vcc, s44, v28
	v_addc_co_u32_e32 v10, vcc, v10, v29, vcc
	v_lshlrev_b32_e32 v12, 2, v20
	v_add_co_u32_e32 v11, vcc, v11, v12
	v_addc_co_u32_e32 v10, vcc, 0, v10, vcc
	v_add_co_u32_e32 v12, vcc, 0x80, v11
	v_addc_co_u32_e32 v10, vcc, 0, v10, vcc
	v_mov_b32_e32 v11, s89
	v_cmp_gt_i32_e32 vcc, s62, v45
	v_cndmask_b32_e32 v11, v11, v10, vcc
	v_mov_b32_e32 v10, s88
	v_cndmask_b32_e32 v10, v10, v12, vcc
	flat_load_dwordx4 v[10:13], v[10:11]
	s_waitcnt vmcnt(0) lgkmcnt(0)
	ds_write_b128 v87, v[10:13]
.LBB9_71:                               ;   in Loop: Header=BB9_14 Depth=1
	s_or_b64 exec, exec, s[38:39]
	v_mov_b32_e32 v10, s45
	v_add_co_u32_e32 v11, vcc, s44, v40
	v_addc_co_u32_e32 v10, vcc, v10, v41, vcc
	v_lshlrev_b32_e32 v21, 2, v22
	v_add_co_u32_e32 v12, vcc, v11, v21
	v_addc_co_u32_e32 v10, vcc, 0, v10, vcc
	v_mov_b32_e32 v15, s89
	v_cmp_gt_i32_e64 s[40:41], s62, v33
	v_mov_b32_e32 v16, s88
	v_cndmask_b32_e64 v11, v15, v10, s[40:41]
	v_cndmask_b32_e64 v10, v16, v12, s[40:41]
	flat_load_dwordx4 v[10:13], v[10:11]
	v_mov_b32_e32 v17, s45
	v_add_co_u32_e32 v19, vcc, s44, v42
	v_addc_co_u32_e32 v17, vcc, v17, v43, vcc
	v_add_co_u32_e32 v19, vcc, v19, v21
	v_addc_co_u32_e32 v17, vcc, 0, v17, vcc
	v_cmp_gt_i32_e64 s[38:39], s62, v126
	v_cndmask_b32_e64 v17, v15, v17, s[38:39]
	v_cndmask_b32_e64 v16, v16, v19, s[38:39]
	v_add_u32_e32 v15, v35, v120
	s_andn2_b64 vcc, exec, s[42:43]
	s_waitcnt vmcnt(0) lgkmcnt(0)
	ds_write_b128 v103, v[10:13]
	flat_load_dwordx4 v[10:13], v[16:17]
	v_add_u32_e32 v16, 0x1000, v15
	s_waitcnt vmcnt(0) lgkmcnt(0)
	ds_write_b128 v183, v[10:13]
	s_waitcnt lgkmcnt(0)
	s_barrier
	ds_read2_b64 v[10:13], v15 offset1:4
	ds_read2_b64 v[56:59], v16 offset0:192 offset1:196
	s_waitcnt lgkmcnt(1)
	v_mfma_f32_16x16x16f16 v[52:55], v[10:11], v[6:7], 0
	s_waitcnt lgkmcnt(0)
	v_mfma_f32_16x16x16f16 v[60:63], v[56:57], v[6:7], 0
	v_mfma_f32_16x16x16f16 v[10:13], v[12:13], v[8:9], v[52:55]
	;; [unrolled: 1-line block ×3, first 2 shown]
	s_nop 6
	ds_read2_b64 v[52:55], v15 offset0:8 offset1:12
	ds_read2_b64 v[56:59], v16 offset0:200 offset1:204
	s_waitcnt lgkmcnt(1)
	v_mfma_f32_16x16x16f16 v[10:13], v[52:53], v[2:3], v[10:13]
	s_waitcnt lgkmcnt(0)
	v_mfma_f32_16x16x16f16 v[6:9], v[56:57], v[2:3], v[6:9]
	v_mfma_f32_16x16x16f16 v[10:13], v[54:55], v[4:5], v[10:13]
	;; [unrolled: 1-line block ×3, first 2 shown]
	s_nop 7
	s_nop 0
	ds_read_b64 v[6:7], v15 offset:128
	ds_read_b64 v[16:17], v15 offset:5760
	s_waitcnt lgkmcnt(0)
	s_barrier
	v_mfma_f32_16x16x16f16 v[6:9], v[6:7], v[50:51], v[10:13]
	v_mfma_f32_16x16x16f16 v[2:5], v[16:17], v[50:51], v[2:5]
	s_cbranch_vccnz .LBB9_73
; %bb.72:                               ;   in Loop: Header=BB9_14 Depth=1
	s_nop 4
	v_add_u32_e32 v10, 0x2c00, v121
	ds_read2_b32 v[10:11], v10 offset1:1
	s_waitcnt lgkmcnt(0)
	v_cvt_f32_f16_e32 v12, v10
	v_cvt_f32_f16_sdwa v13, v10 dst_sel:DWORD dst_unused:UNUSED_PAD src0_sel:WORD_1
	v_cvt_f32_f16_e32 v10, v11
	v_cvt_f32_f16_sdwa v11, v11 dst_sel:DWORD dst_unused:UNUSED_PAD src0_sel:WORD_1
	v_pk_fma_f32 v[6:7], v[46:47], v[12:13], v[6:7] op_sel_hi:[0,1,1]
	ds_read_b32 v12, v125 offset:11264
	v_pk_fma_f32 v[8:9], v[46:47], v[10:11], v[8:9] op_sel_hi:[0,1,1]
	ds_read_b32 v10, v123 offset:11264
	s_waitcnt lgkmcnt(1)
	v_cvt_f32_f16_sdwa v13, v12 dst_sel:DWORD dst_unused:UNUSED_PAD src0_sel:WORD_1
	v_cvt_f32_f16_e32 v12, v12
	s_waitcnt lgkmcnt(0)
	v_cvt_f32_f16_sdwa v11, v10 dst_sel:DWORD dst_unused:UNUSED_PAD src0_sel:WORD_1
	v_cvt_f32_f16_e32 v10, v10
	v_pk_fma_f32 v[4:5], v[46:47], v[12:13], v[4:5] op_sel_hi:[0,1,1]
	v_pk_fma_f32 v[2:3], v[46:47], v[10:11], v[2:3] op_sel_hi:[0,1,1]
.LBB9_73:                               ;   in Loop: Header=BB9_14 Depth=1
	s_nop 7
	s_nop 0
	v_add_f32_e32 v10, 0x40051340, v6
	v_max_f32_e32 v11, v1, v1
	v_max_f32_e32 v10, v11, v10
	v_cmp_gt_u32_e64 s[56:57], s62, v119
	v_cndmask_b32_e64 v10, v1, v10, s[56:57]
	v_add_f32_e32 v11, 0x40051340, v7
	v_max_f32_e32 v12, v10, v10
	v_max_f32_e32 v11, v12, v11
	v_cmp_gt_u32_e64 s[54:55], s62, v184
	v_cndmask_b32_e64 v10, v10, v11, s[54:55]
	;; [unrolled: 5-line block ×8, first 2 shown]
	v_and_b32_e32 v11, 64, v196
	v_add_u32_e32 v12, 64, v11
	v_xor_b32_e32 v11, 32, v196
	v_cmp_lt_i32_e32 vcc, v11, v12
	v_cndmask_b32_e32 v11, v196, v11, vcc
	v_lshlrev_b32_e32 v11, 2, v11
	ds_bpermute_b32 v13, v11, v10
	v_max_f32_e32 v10, v10, v10
	s_mul_hi_i32 s61, s98, s78
	s_mul_i32 s60, s98, s78
	s_lshl_b64 s[64:65], s[60:61], 2
	s_waitcnt lgkmcnt(0)
	v_max_f32_e32 v13, v13, v13
	v_max_f32_e32 v10, v10, v13
	v_xor_b32_e32 v13, 16, v196
	v_cmp_lt_i32_e32 vcc, v13, v12
	v_cndmask_b32_e32 v12, v196, v13, vcc
	v_lshlrev_b32_e32 v15, 2, v12
	ds_bpermute_b32 v12, v15, v10
	s_add_u32 s61, s95, s64
	s_addc_u32 s60, s87, s65
	buffer_store_dword v163, off, s[0:3], 0
	buffer_store_dword v163, off, s[0:3], 0 offset:4
	buffer_store_dword v163, off, s[0:3], 0 offset:8
	;; [unrolled: 1-line block ×3, first 2 shown]
	s_and_saveexec_b64 s[98:99], s[6:7]
	s_cbranch_execz .LBB9_75
; %bb.74:                               ;   in Loop: Header=BB9_14 Depth=1
	v_mov_b32_e32 v13, s60
	v_add_co_u32_e32 v16, vcc, s61, v26
	v_addc_co_u32_e32 v13, vcc, v13, v27, vcc
	v_lshlrev_b32_e32 v17, 2, v20
	v_add_co_u32_e32 v16, vcc, v16, v17
	v_addc_co_u32_e32 v13, vcc, 0, v13, vcc
	v_add_co_u32_e32 v16, vcc, 0x80, v16
	v_addc_co_u32_e32 v13, vcc, 0, v13, vcc
	v_mov_b32_e32 v17, s89
	v_cmp_gt_i32_e32 vcc, s62, v45
	v_cndmask_b32_e32 v17, v17, v13, vcc
	v_mov_b32_e32 v13, s88
	v_cndmask_b32_e32 v16, v13, v16, vcc
	flat_load_dwordx4 v[50:53], v[16:17]
	s_waitcnt vmcnt(0) lgkmcnt(0)
	ds_write_b128 v87, v[50:53]
.LBB9_75:                               ;   in Loop: Header=BB9_14 Depth=1
	s_or_b64 exec, exec, s[98:99]
	s_waitcnt lgkmcnt(0)
	v_max_f32_e32 v12, v12, v12
	v_max_f32_e32 v10, v10, v10
	;; [unrolled: 1-line block ×3, first 2 shown]
	v_sub_f32_e32 v6, v6, v10
	v_mul_f32_e32 v12, 0x3fb8aa3b, v6
	v_fma_f32 v13, v6, s29, -v12
	v_rndne_f32_e32 v16, v12
	v_fmac_f32_e32 v13, 0x32a5705f, v6
	v_sub_f32_e32 v12, v12, v16
	v_add_f32_e32 v12, v12, v13
	v_exp_f32_e32 v12, v12
	v_cvt_i32_f32_e32 v13, v16
	v_cmp_ngt_f32_e32 vcc, s80, v6
	v_cndmask_b32_e64 v8, v8, v8, s[54:55]
	v_cndmask_b32_e64 v9, v9, v9, s[54:55]
	v_ldexp_f32 v12, v12, v13
	v_cndmask_b32_e32 v12, 0, v12, vcc
	v_cmp_nlt_f32_e32 vcc, s77, v6
	v_cndmask_b32_e32 v6, v194, v12, vcc
	v_cndmask_b32_e64 v50, 0, v6, s[56:57]
	v_sub_f32_e32 v6, v7, v10
	v_mul_f32_e32 v7, 0x3fb8aa3b, v6
	v_fma_f32 v12, v6, s29, -v7
	v_rndne_f32_e32 v13, v7
	v_fmac_f32_e32 v12, 0x32a5705f, v6
	v_sub_f32_e32 v7, v7, v13
	v_add_f32_e32 v7, v7, v12
	v_exp_f32_e32 v7, v7
	v_cvt_i32_f32_e32 v12, v13
	v_cmp_ngt_f32_e32 vcc, s80, v6
	v_sub_f32_e32 v2, v2, v10
	v_cndmask_b32_e64 v3, v3, v3, s[50:51]
	v_ldexp_f32 v7, v7, v12
	v_cndmask_b32_e32 v7, 0, v7, vcc
	v_cmp_nlt_f32_e32 vcc, s77, v6
	v_cndmask_b32_e32 v6, v194, v7, vcc
	v_mov_b32_e32 v7, s37
	v_add_f32_e32 v12, v6, v50
	v_cndmask_b32_e64 v23, v7, v6, s[54:55]
	v_sub_f32_e32 v6, v8, v10
	v_mul_f32_e32 v8, 0x3fb8aa3b, v6
	v_cndmask_b32_e64 v7, v50, v12, s[54:55]
	v_fma_f32 v12, v6, s29, -v8
	v_rndne_f32_e32 v13, v8
	v_fmac_f32_e32 v12, 0x32a5705f, v6
	v_sub_f32_e32 v8, v8, v13
	v_add_f32_e32 v8, v8, v12
	v_exp_f32_e32 v8, v8
	v_cvt_i32_f32_e32 v12, v13
	v_cmp_ngt_f32_e32 vcc, s80, v6
	v_sub_f32_e32 v3, v3, v10
	v_cndmask_b32_e64 v4, v4, v4, s[50:51]
	v_ldexp_f32 v8, v8, v12
	v_cndmask_b32_e32 v8, 0, v8, vcc
	v_cmp_nlt_f32_e32 vcc, s77, v6
	v_cndmask_b32_e32 v8, v194, v8, vcc
	v_add_f32_e32 v12, v7, v8
	v_mov_b32_e32 v6, s37
	v_cndmask_b32_e64 v47, v6, v8, s[52:53]
	v_cndmask_b32_e64 v6, v7, v12, s[52:53]
	v_sub_f32_e32 v7, v9, v10
	v_mul_f32_e32 v8, 0x3fb8aa3b, v7
	v_fma_f32 v9, v7, s29, -v8
	v_rndne_f32_e32 v12, v8
	v_fmac_f32_e32 v9, 0x32a5705f, v7
	v_sub_f32_e32 v8, v8, v12
	v_add_f32_e32 v8, v8, v9
	v_exp_f32_e32 v8, v8
	v_cvt_i32_f32_e32 v9, v12
	v_cmp_ngt_f32_e32 vcc, s80, v7
	v_cndmask_b32_e64 v5, v5, v5, s[50:51]
	v_sub_f32_e32 v1, v1, v10
	v_ldexp_f32 v8, v8, v9
	v_cndmask_b32_e32 v8, 0, v8, vcc
	v_cmp_nlt_f32_e32 vcc, s77, v7
	v_cndmask_b32_e32 v51, v194, v8, vcc
	v_add_f32_e32 v7, v6, v51
	v_cndmask_b32_e64 v6, v6, v7, s[42:43]
	v_mul_f32_e32 v7, 0x3fb8aa3b, v2
	v_fma_f32 v8, v2, s29, -v7
	v_rndne_f32_e32 v9, v7
	v_fmac_f32_e32 v8, 0x32a5705f, v2
	v_sub_f32_e32 v7, v7, v9
	v_add_f32_e32 v7, v7, v8
	v_exp_f32_e32 v7, v7
	v_cvt_i32_f32_e32 v8, v9
	v_cmp_ngt_f32_e32 vcc, s80, v2
	v_mov_b32_e32 v54, s89
	s_cmp_eq_u64 s[34:35], 0
	v_ldexp_f32 v7, v7, v8
	v_cndmask_b32_e32 v7, 0, v7, vcc
	v_cmp_nlt_f32_e32 vcc, s77, v2
	v_cndmask_b32_e32 v7, v194, v7, vcc
	v_add_f32_e32 v8, v7, v6
	v_mov_b32_e32 v2, s37
	v_cndmask_b32_e64 v52, v2, v7, s[50:51]
	v_cndmask_b32_e64 v2, v6, v8, s[50:51]
	v_mul_f32_e32 v6, 0x3fb8aa3b, v3
	v_fma_f32 v7, v3, s29, -v6
	v_rndne_f32_e32 v8, v6
	v_fmac_f32_e32 v7, 0x32a5705f, v3
	v_sub_f32_e32 v6, v6, v8
	v_add_f32_e32 v6, v6, v7
	v_exp_f32_e32 v6, v6
	v_cvt_i32_f32_e32 v7, v8
	v_cmp_ngt_f32_e32 vcc, s80, v3
	v_ldexp_f32 v6, v6, v7
	v_cndmask_b32_e32 v6, 0, v6, vcc
	v_cmp_nlt_f32_e32 vcc, s77, v3
	v_cndmask_b32_e32 v6, v194, v6, vcc
	v_add_f32_e32 v7, v6, v2
	v_mov_b32_e32 v3, s37
	v_cndmask_b32_e64 v53, v3, v6, s[48:49]
	v_cndmask_b32_e64 v3, v2, v7, s[48:49]
	v_sub_f32_e32 v2, v4, v10
	v_mul_f32_e32 v4, 0x3fb8aa3b, v2
	v_fma_f32 v6, v2, s29, -v4
	v_rndne_f32_e32 v7, v4
	v_fmac_f32_e32 v6, 0x32a5705f, v2
	v_sub_f32_e32 v4, v4, v7
	v_add_f32_e32 v4, v4, v6
	v_exp_f32_e32 v4, v4
	v_cvt_i32_f32_e32 v6, v7
	v_cmp_ngt_f32_e32 vcc, s80, v2
	v_ldexp_f32 v4, v4, v6
	v_cndmask_b32_e32 v4, 0, v4, vcc
	v_cmp_nlt_f32_e32 vcc, s77, v2
	v_cndmask_b32_e32 v4, v194, v4, vcc
	v_add_f32_e32 v6, v4, v3
	v_mov_b32_e32 v2, s37
	v_cndmask_b32_e64 v4, v2, v4, s[46:47]
	v_cndmask_b32_e64 v2, v3, v6, s[46:47]
	v_sub_f32_e32 v3, v5, v10
	v_mul_f32_e32 v5, 0x3fb8aa3b, v3
	v_fma_f32 v6, v3, s29, -v5
	v_rndne_f32_e32 v7, v5
	v_fmac_f32_e32 v6, 0x32a5705f, v3
	v_sub_f32_e32 v5, v5, v7
	v_add_f32_e32 v5, v5, v6
	v_exp_f32_e32 v5, v5
	v_cvt_i32_f32_e32 v6, v7
	v_cmp_ngt_f32_e32 vcc, s80, v3
	v_ldexp_f32 v5, v5, v6
	v_cndmask_b32_e32 v5, 0, v5, vcc
	v_cmp_nlt_f32_e32 vcc, s77, v3
	v_cndmask_b32_e32 v5, v194, v5, vcc
	v_add_f32_e32 v3, v5, v2
	v_cndmask_b32_e64 v16, v2, v3, s[44:45]
	v_mul_f32_e32 v2, 0x3fb8aa3b, v1
	v_fma_f32 v3, v1, s29, -v2
	v_rndne_f32_e32 v6, v2
	v_fmac_f32_e32 v3, 0x32a5705f, v1
	v_sub_f32_e32 v2, v2, v6
	v_add_f32_e32 v2, v2, v3
	v_exp_f32_e32 v2, v2
	v_cvt_i32_f32_e32 v3, v6
	v_cmp_ngt_f32_e32 vcc, s80, v1
	v_ldexp_f32 v2, v2, v3
	v_cndmask_b32_e32 v2, 0, v2, vcc
	v_cmp_nlt_f32_e32 vcc, s77, v1
	v_cndmask_b32_e32 v2, v194, v2, vcc
	v_cmp_le_f32_e32 vcc, s83, v1
	v_cndmask_b32_e32 v1, 0, v2, vcc
	v_cvt_f16_f32_e32 v2, v1
	v_mov_b32_e32 v3, s37
	v_fmac_f32_e32 v16, v14, v1
	v_cndmask_b32_e64 v5, v3, v5, s[44:45]
	v_pk_mul_f16 v6, v2, v73 op_sel_hi:[0,1]
	v_pk_mul_f16 v1, v2, v72 op_sel_hi:[0,1]
	;; [unrolled: 1-line block ×10, first 2 shown]
	v_cndmask_b32_e64 v51, v3, v51, s[42:43]
	v_cvt_f16_f32_e32 v2, v52
	v_cvt_f16_f32_e32 v3, v53
	v_readlane_b32 s44, v214, 4
	v_readlane_b32 s45, v214, 5
	v_pack_b32_f16 v2, v2, v3
	v_cvt_f16_f32_e32 v3, v4
	v_cvt_f16_f32_e32 v4, v5
	v_cvt_f16_f32_e32 v5, v23
	v_cvt_f16_f32_e32 v23, v51
	v_pack_b32_f16 v3, v3, v4
	v_cvt_f16_f32_e32 v4, v50
	v_pack_b32_f16 v4, v4, v5
	v_cvt_f16_f32_e32 v5, v47
	v_mov_b32_e32 v47, s60
	v_pack_b32_f16 v5, v5, v23
	v_add_co_u32_e32 v23, vcc, s61, v36
	v_addc_co_u32_e32 v47, vcc, v47, v37, vcc
	v_add_co_u32_e32 v23, vcc, v23, v21
	v_addc_co_u32_e32 v47, vcc, 0, v47, vcc
	v_cndmask_b32_e64 v51, v54, v47, s[40:41]
	v_mov_b32_e32 v47, s88
	v_cndmask_b32_e64 v50, v47, v23, s[40:41]
	flat_load_dwordx4 v[50:53], v[50:51]
	v_add_co_u32_e32 v23, vcc, s61, v38
	s_waitcnt vmcnt(0) lgkmcnt(0)
	ds_write_b128 v103, v[50:53]
	v_mov_b32_e32 v50, s60
	v_addc_co_u32_e32 v50, vcc, v50, v39, vcc
	v_add_co_u32_e32 v21, vcc, v23, v21
	v_addc_co_u32_e32 v23, vcc, 0, v50, vcc
	v_cndmask_b32_e64 v51, v54, v23, s[38:39]
	v_cndmask_b32_e64 v50, v47, v21, s[38:39]
	flat_load_dwordx4 v[50:53], v[50:51]
	s_cselect_b64 s[38:39], -1, 0
	s_xor_b64 s[40:41], s[44:45], -1
	s_or_b64 s[38:39], s[40:41], s[38:39]
	s_waitcnt vmcnt(0) lgkmcnt(0)
	ds_write_b128 v183, v[50:53]
	s_waitcnt lgkmcnt(0)
	s_barrier
	ds_read_u16 v21, v89 offset:176
	ds_read_u16 v23, v89 offset:352
	v_cvt_f32_f16_e32 v52, v1
	v_cvt_f32_f16_sdwa v53, v1 dst_sel:DWORD dst_unused:UNUSED_PAD src0_sel:WORD_1
	ds_read_u16 v1, v90
	ds_read_u16 v47, v90 offset:32
	v_cvt_f32_f16_e32 v50, v6
	v_cvt_f32_f16_sdwa v51, v6 dst_sel:DWORD dst_unused:UNUSED_PAD src0_sel:WORD_1
	s_waitcnt lgkmcnt(1)
	v_perm_b32 v55, v1, v23, s81
	ds_read_u16 v1, v88
	ds_read_u16 v23, v88 offset:32
	s_waitcnt lgkmcnt(1)
	v_perm_b32 v54, v21, v1, s81
	s_nop 1
	v_mfma_f32_16x16x16f16 v[50:53], v[54:55], v[4:5], v[50:53]
	ds_read_u16 v54, v88 offset:5632
	ds_read_u16 v56, v178 offset:176
	;; [unrolled: 1-line block ×4, first 2 shown]
	s_waitcnt lgkmcnt(2)
	v_perm_b32 v54, v56, v54, s81
	s_waitcnt lgkmcnt(0)
	v_perm_b32 v55, v57, v55, s81
	s_nop 2
	v_cvt_f16_f32_e32 v1, v50
	v_cvt_f16_f32_e32 v6, v51
	;; [unrolled: 1-line block ×4, first 2 shown]
	v_cvt_f32_f16_e32 v50, v1
	v_cvt_f32_f16_e32 v51, v6
	v_cvt_f32_f16_e32 v52, v21
	v_cvt_f32_f16_e32 v53, v53
	s_nop 1
	v_mfma_f32_16x16x16f16 v[50:53], v[54:55], v[2:3], v[50:53]
	s_nop 7
	s_nop 2
	v_cvt_f16_f32_e32 v1, v50
	v_cvt_f16_f32_e32 v6, v51
	;; [unrolled: 1-line block ×4, first 2 shown]
	v_cvt_f32_f16_sdwa v51, v8 dst_sel:DWORD dst_unused:UNUSED_PAD src0_sel:WORD_1
	v_pack_b32_f16 v6, v1, v6
	v_cvt_f32_f16_e32 v52, v7
	v_pack_b32_f16 v1, v21, v50
	ds_read_u16 v21, v179 offset:176
	ds_read_u16 v54, v179 offset:352
	v_cvt_f32_f16_e32 v50, v8
	v_cvt_f32_f16_sdwa v53, v7 dst_sel:DWORD dst_unused:UNUSED_PAD src0_sel:WORD_1
	s_waitcnt lgkmcnt(0)
	v_perm_b32 v55, v47, v54, s81
	v_perm_b32 v54, v21, v23, s81
	s_nop 1
	v_mfma_f32_16x16x16f16 v[50:53], v[54:55], v[4:5], v[50:53]
	ds_read_u16 v47, v91 offset:5632
	ds_read_u16 v54, v92 offset:176
	ds_read_u16 v55, v92 offset:352
	ds_read_u16 v56, v93 offset:5632
	s_waitcnt lgkmcnt(2)
	v_perm_b32 v54, v54, v47, s81
	s_waitcnt lgkmcnt(0)
	v_perm_b32 v55, v56, v55, s81
	s_nop 2
	v_cvt_f16_f32_e32 v7, v50
	v_cvt_f16_f32_e32 v8, v51
	v_cvt_f16_f32_e32 v21, v52
	v_cvt_f16_f32_e32 v23, v53
	v_cvt_f32_f16_e32 v50, v7
	v_cvt_f32_f16_e32 v51, v8
	v_cvt_f32_f16_e32 v52, v21
	v_cvt_f32_f16_e32 v53, v23
	s_nop 1
	v_mfma_f32_16x16x16f16 v[50:53], v[54:55], v[2:3], v[50:53]
	s_nop 7
	s_nop 2
	v_cvt_f16_f32_e32 v7, v50
	v_cvt_f16_f32_e32 v8, v51
	v_cvt_f16_f32_e32 v21, v52
	v_cvt_f16_f32_e32 v23, v53
	v_cvt_f32_f16_e32 v50, v12
	v_pack_b32_f16 v8, v7, v8
	v_cvt_f32_f16_sdwa v51, v12 dst_sel:DWORD dst_unused:UNUSED_PAD src0_sel:WORD_1
	v_pack_b32_f16 v7, v21, v23
	ds_read_u16 v21, v88 offset:64
	ds_read_u16 v23, v180 offset:176
	ds_read_u16 v47, v180 offset:352
	ds_read_u16 v54, v90 offset:64
	v_cvt_f32_f16_e32 v52, v9
	v_cvt_f32_f16_sdwa v53, v9 dst_sel:DWORD dst_unused:UNUSED_PAD src0_sel:WORD_1
	s_waitcnt lgkmcnt(0)
	v_perm_b32 v55, v54, v47, s81
	v_perm_b32 v54, v23, v21, s81
	s_nop 1
	v_mfma_f32_16x16x16f16 v[50:53], v[54:55], v[4:5], v[50:53]
	ds_read_u16 v47, v94 offset:5632
	ds_read_u16 v54, v95 offset:176
	ds_read_u16 v55, v95 offset:352
	ds_read_u16 v56, v96 offset:5632
	s_waitcnt lgkmcnt(2)
	v_perm_b32 v54, v54, v47, s81
	s_waitcnt lgkmcnt(0)
	v_perm_b32 v55, v56, v55, s81
	s_nop 2
	v_cvt_f16_f32_e32 v9, v50
	v_cvt_f16_f32_e32 v12, v51
	v_cvt_f16_f32_e32 v21, v52
	v_cvt_f16_f32_e32 v23, v53
	v_cvt_f32_f16_e32 v50, v9
	v_cvt_f32_f16_e32 v51, v12
	v_cvt_f32_f16_e32 v52, v21
	v_cvt_f32_f16_e32 v53, v23
	s_nop 1
	v_mfma_f32_16x16x16f16 v[50:53], v[54:55], v[2:3], v[50:53]
	s_nop 7
	s_nop 2
	v_cvt_f16_f32_e32 v9, v50
	v_cvt_f16_f32_e32 v12, v51
	v_cvt_f16_f32_e32 v21, v52
	v_cvt_f16_f32_e32 v23, v53
	v_cvt_f32_f16_e32 v50, v14
	v_pack_b32_f16 v12, v9, v12
	v_cvt_f32_f16_sdwa v51, v14 dst_sel:DWORD dst_unused:UNUSED_PAD src0_sel:WORD_1
	v_pack_b32_f16 v9, v21, v23
	ds_read_u16 v21, v88 offset:96
	ds_read_u16 v23, v181 offset:176
	ds_read_u16 v47, v181 offset:352
	ds_read_u16 v54, v90 offset:96
	v_cvt_f32_f16_e32 v52, v13
	v_cvt_f32_f16_sdwa v53, v13 dst_sel:DWORD dst_unused:UNUSED_PAD src0_sel:WORD_1
	s_waitcnt lgkmcnt(0)
	v_perm_b32 v55, v54, v47, s81
	v_perm_b32 v54, v23, v21, s81
	s_nop 1
	v_mfma_f32_16x16x16f16 v[50:53], v[54:55], v[4:5], v[50:53]
	ds_read_u16 v47, v97 offset:5632
	ds_read_u16 v54, v98 offset:176
	ds_read_u16 v55, v98 offset:352
	ds_read_u16 v56, v99 offset:5632
	s_waitcnt lgkmcnt(2)
	v_perm_b32 v54, v54, v47, s81
	s_waitcnt lgkmcnt(0)
	v_perm_b32 v55, v56, v55, s81
	s_nop 2
	v_cvt_f16_f32_e32 v13, v50
	v_cvt_f16_f32_e32 v14, v51
	v_cvt_f16_f32_e32 v21, v52
	v_cvt_f16_f32_e32 v23, v53
	v_cvt_f32_f16_e32 v50, v13
	v_cvt_f32_f16_e32 v51, v14
	v_cvt_f32_f16_e32 v52, v21
	v_cvt_f32_f16_e32 v53, v23
	s_nop 1
	v_mfma_f32_16x16x16f16 v[50:53], v[54:55], v[2:3], v[50:53]
	s_nop 7
	s_nop 2
	v_cvt_f16_f32_e32 v13, v50
	v_cvt_f16_f32_e32 v14, v51
	v_cvt_f16_f32_e32 v21, v52
	v_cvt_f16_f32_e32 v23, v53
	v_cvt_f32_f16_e32 v50, v19
	v_pack_b32_f16 v14, v13, v14
	v_cvt_f32_f16_sdwa v51, v19 dst_sel:DWORD dst_unused:UNUSED_PAD src0_sel:WORD_1
	v_pack_b32_f16 v13, v21, v23
	ds_read_u16 v21, v88 offset:128
	ds_read_u16 v23, v182 offset:176
	ds_read_u16 v47, v182 offset:352
	ds_read_u16 v54, v90 offset:128
	v_cvt_f32_f16_e32 v52, v17
	v_cvt_f32_f16_sdwa v53, v17 dst_sel:DWORD dst_unused:UNUSED_PAD src0_sel:WORD_1
	s_waitcnt lgkmcnt(0)
	v_perm_b32 v55, v54, v47, s81
	v_perm_b32 v54, v23, v21, s81
	s_nop 1
	v_mfma_f32_16x16x16f16 v[50:53], v[54:55], v[4:5], v[50:53]
	ds_read_u16 v21, v100 offset:5632
	ds_read_u16 v23, v101 offset:176
	;; [unrolled: 1-line block ×4, first 2 shown]
	s_waitcnt lgkmcnt(0)
	s_barrier
	s_nop 4
	v_cvt_f16_f32_e32 v4, v50
	v_cvt_f16_f32_e32 v5, v51
	;; [unrolled: 1-line block ×4, first 2 shown]
	v_cvt_f32_f16_e32 v50, v4
	v_cvt_f32_f16_e32 v51, v5
	v_perm_b32 v5, v54, v47, s81
	v_perm_b32 v4, v23, v21, s81
	v_cvt_f32_f16_e32 v52, v17
	v_cvt_f32_f16_e32 v53, v19
	s_nop 1
	v_mfma_f32_16x16x16f16 v[2:5], v[4:5], v[2:3], v[50:53]
	s_nop 7
	s_nop 2
	v_cvt_f16_f32_e32 v2, v2
	v_cvt_f16_f32_e32 v3, v3
	;; [unrolled: 1-line block ×4, first 2 shown]
	v_pack_b32_f16 v2, v2, v3
	v_pack_b32_f16 v3, v4, v5
	ds_bpermute_b32 v4, v11, v16
	s_waitcnt lgkmcnt(0)
	v_add_f32_e32 v4, v16, v4
	ds_bpermute_b32 v5, v15, v4
	s_waitcnt lgkmcnt(0)
	v_add_f32_e32 v11, v4, v5
	s_and_saveexec_b64 s[40:41], s[38:39]
	s_xor_b64 s[38:39], exec, s[40:41]
	s_andn2_saveexec_b64 s[38:39], s[38:39]
	s_cbranch_execz .LBB9_77
; %bb.76:                               ;   in Loop: Header=BB9_14 Depth=1
	global_load_dword v5, v163, s[34:35]
	v_max_f32_e32 v16, v10, v10
	s_waitcnt vmcnt(0)
	v_max_f32_e32 v4, v5, v5
	v_max_f32_e32 v4, v16, v4
	v_sub_f32_e32 v10, v10, v4
	v_mul_f32_e32 v16, 0x3fb8aa3b, v10
	v_fma_f32 v17, v10, s29, -v16
	v_rndne_f32_e32 v19, v16
	v_fmac_f32_e32 v17, 0x32a5705f, v10
	v_sub_f32_e32 v16, v16, v19
	v_add_f32_e32 v16, v16, v17
	v_exp_f32_e32 v16, v16
	v_cvt_i32_f32_e32 v17, v19
	v_cmp_ngt_f32_e32 vcc, s80, v10
	v_sub_f32_e32 v5, v5, v4
	v_ldexp_f32 v16, v16, v17
	v_cndmask_b32_e32 v16, 0, v16, vcc
	v_cmp_nlt_f32_e32 vcc, s77, v10
	v_cndmask_b32_e32 v16, v194, v16, vcc
	v_cmp_le_f32_e32 vcc, s83, v10
	v_cndmask_b32_e32 v10, 0, v16, vcc
	v_cvt_f16_f32_e32 v16, v10
	v_cmp_ngt_f32_e32 vcc, s80, v5
	v_pk_mul_f16 v6, v16, v6 op_sel_hi:[0,1]
	v_pk_mul_f16 v1, v16, v1 op_sel_hi:[0,1]
	;; [unrolled: 1-line block ×10, first 2 shown]
	v_mul_f32_e32 v16, 0x3fb8aa3b, v5
	v_fma_f32 v17, v5, s29, -v16
	v_rndne_f32_e32 v19, v16
	v_fmac_f32_e32 v17, 0x32a5705f, v5
	v_sub_f32_e32 v16, v16, v19
	v_add_f32_e32 v16, v16, v17
	v_exp_f32_e32 v16, v16
	v_cvt_i32_f32_e32 v17, v19
	v_ldexp_f32 v16, v16, v17
	v_cndmask_b32_e32 v16, 0, v16, vcc
	v_cmp_nlt_f32_e32 vcc, s77, v5
	v_cndmask_b32_e32 v5, v194, v16, vcc
	v_fmac_f32_e32 v5, v11, v10
	v_pk_mov_b32 v[10:11], v[4:5], v[4:5] op_sel:[0,1]
.LBB9_77:                               ;   in Loop: Header=BB9_14 Depth=1
	s_or_b64 exec, exec, s[38:39]
	s_mov_b64 s[38:39], exec
	v_readlane_b32 s40, v214, 8
	v_readlane_b32 s41, v214, 9
	s_and_b64 s[40:41], s[38:39], s[40:41]
	s_mov_b64 exec, s[40:41]
	s_cbranch_execz .LBB9_79
; %bb.78:                               ;   in Loop: Header=BB9_14 Depth=1
	v_add_u32_e32 v4, 0, v127
	ds_write2_b32 v4, v10, v11 offset0:40 offset1:41
.LBB9_79:                               ;   in Loop: Header=BB9_14 Depth=1
	s_or_b64 exec, exec, s[38:39]
	s_waitcnt lgkmcnt(0)
	s_barrier
	s_mov_b64 s[38:39], exec
	v_readlane_b32 s40, v214, 6
	v_readlane_b32 s41, v214, 7
	s_and_b64 s[40:41], s[38:39], s[40:41]
	s_xor_b64 s[38:39], s[40:41], s[38:39]
	s_mov_b64 exec, s[40:41]
	s_cbranch_execz .LBB9_81
; %bb.80:                               ;   in Loop: Header=BB9_14 Depth=1
	s_barrier
	s_waitcnt lgkmcnt(0)
                                        ; implicit-def: $vgpr15
.LBB9_81:                               ;   in Loop: Header=BB9_14 Depth=1
	s_andn2_saveexec_b64 s[38:39], s[38:39]
	s_cbranch_execz .LBB9_87
; %bb.82:                               ;   in Loop: Header=BB9_14 Depth=1
	v_add_u32_e32 v5, 0, v128
	ds_read_b64 v[16:17], v5 offset:160
	s_waitcnt lgkmcnt(0)
	s_barrier
	ds_bpermute_b32 v4, v15, v16
	v_max_f32_e32 v10, v16, v16
	s_waitcnt lgkmcnt(0)
	v_max_f32_e32 v4, v4, v4
	v_max_f32_e32 v4, v10, v4
	v_sub_f32_e32 v10, v16, v4
	v_mul_f32_e32 v11, 0x3fb8aa3b, v10
	v_fma_f32 v16, v10, s29, -v11
	v_rndne_f32_e32 v19, v11
	v_fmac_f32_e32 v16, 0x32a5705f, v10
	v_sub_f32_e32 v11, v11, v19
	v_add_f32_e32 v11, v11, v16
	v_cvt_i32_f32_e32 v19, v19
	v_exp_f32_e32 v11, v11
	v_cmp_ngt_f32_e32 vcc, s80, v10
	v_ldexp_f32 v11, v11, v19
	v_cndmask_b32_e32 v11, 0, v11, vcc
	v_cmp_nlt_f32_e32 vcc, s77, v10
	v_cndmask_b32_e32 v10, v194, v11, vcc
	v_mul_f32_e32 v11, v17, v10
	ds_bpermute_b32 v11, v15, v11
	s_waitcnt lgkmcnt(0)
	v_fmac_f32_e32 v11, v17, v10
	s_mov_b64 s[40:41], exec
	v_readlane_b32 s42, v214, 10
	v_readlane_b32 s43, v214, 11
	s_and_b64 s[42:43], s[40:41], s[42:43]
	s_mov_b64 exec, s[42:43]
	s_cbranch_execz .LBB9_84
; %bb.83:                               ;   in Loop: Header=BB9_14 Depth=1
	ds_write_b64 v5, v[10:11] offset:160
.LBB9_84:                               ;   in Loop: Header=BB9_14 Depth=1
	s_or_b64 exec, exec, s[40:41]
	s_mov_b64 s[40:41], exec
	v_readlane_b32 s42, v214, 8
	v_readlane_b32 s43, v214, 9
	s_and_b64 s[42:43], s[40:41], s[42:43]
	s_mov_b64 exec, s[42:43]
	s_cbranch_execz .LBB9_86
; %bb.85:                               ;   in Loop: Header=BB9_14 Depth=1
	v_mov_b32_e32 v5, v11
	global_store_dwordx2 v[24:25], v[4:5], off
.LBB9_86:                               ;   in Loop: Header=BB9_14 Depth=1
	s_or_b64 exec, exec, s[40:41]
.LBB9_87:                               ;   in Loop: Header=BB9_14 Depth=1
	s_or_b64 exec, exec, s[38:39]
	ds_write2_b32 v129, v6, v1 offset1:1
	ds_write2_b32 v129, v8, v7 offset0:8 offset1:9
	ds_write2_b32 v129, v12, v9 offset0:16 offset1:17
	;; [unrolled: 1-line block ×4, first 2 shown]
	s_waitcnt lgkmcnt(0)
	s_barrier
	s_and_saveexec_b64 s[38:39], s[44:45]
	s_cbranch_execz .LBB9_132
; %bb.88:                               ;   in Loop: Header=BB9_14 Depth=1
	v_add_u32_e32 v2, s94, v104
	v_cmp_gt_i32_e32 vcc, s76, v2
	v_mov_b32_e32 v1, 0x47
	s_and_saveexec_b64 s[40:41], vcc
	s_cbranch_execz .LBB9_90
; %bb.89:                               ;   in Loop: Header=BB9_14 Depth=1
	v_add_u32_e32 v1, 0, v131
	v_add_u32_e32 v1, 0xa0, v1
	ds_read2st64_b32 v[4:5], v1 offset1:11
	ds_read2st64_b32 v[6:7], v132 offset1:11
	v_readlane_b32 s42, v215, 58
	v_mad_u64_u32 v[2:3], s[42:43], v2, s42, v[34:35]
	v_ashrrev_i32_e32 v3, 31, v2
	s_waitcnt lgkmcnt(0)
	v_cvt_f32_f16_sdwa v9, v6 dst_sel:DWORD dst_unused:UNUSED_PAD src0_sel:WORD_1
	v_cvt_f32_f16_e32 v8, v6
	v_cvt_f32_f16_sdwa v11, v7 dst_sel:DWORD dst_unused:UNUSED_PAD src0_sel:WORD_1
	v_cvt_f32_f16_e32 v10, v7
	v_lshlrev_b64 v[2:3], 3, v[2:3]
	v_readlane_b32 s42, v214, 15
	v_add_co_u32_e32 v2, vcc, s42, v2
	v_mov_b32_e32 v1, s70
	v_pk_fma_f32 v[8:9], v[4:5], v[8:9], 0 op_sel_hi:[0,1,0]
	v_mov_b32_e32 v4, v5
	v_addc_co_u32_e32 v3, vcc, v1, v3, vcc
	v_pk_fma_f32 v[4:5], v[4:5], v[10:11], v[8:9] op_sel_hi:[0,1,1]
	v_mov_b32_e32 v1, 0
	global_store_dwordx2 v[2:3], v[4:5], off
.LBB9_90:                               ;   in Loop: Header=BB9_14 Depth=1
	s_or_b64 exec, exec, s[40:41]
	s_movk_i32 s40, 0x47
	v_cmp_gt_i32_e32 vcc, s40, v1
	s_mov_b64 s[42:43], -1
	s_and_saveexec_b64 s[40:41], vcc
; %bb.91:                               ;   in Loop: Header=BB9_14 Depth=1
	v_cmp_eq_u32_e32 vcc, 0, v1
	s_orn2_b64 s[42:43], vcc, exec
; %bb.92:                               ;   in Loop: Header=BB9_14 Depth=1
	s_or_b64 exec, exec, s[40:41]
	s_and_saveexec_b64 s[40:41], s[42:43]
	s_cbranch_execz .LBB9_125
; %bb.93:                               ;   in Loop: Header=BB9_14 Depth=1
	v_add_u32_e32 v2, s94, v106
	v_cmp_gt_i32_e32 vcc, s76, v2
	v_mov_b32_e32 v1, 0x47
	s_and_saveexec_b64 s[42:43], vcc
	s_cbranch_execz .LBB9_95
; %bb.94:                               ;   in Loop: Header=BB9_14 Depth=1
	v_add_u32_e32 v1, 0, v133
	v_add_u32_e32 v1, 0xa0, v1
	ds_read2st64_b32 v[4:5], v1 offset1:11
	ds_read2st64_b32 v[6:7], v134 offset1:11
	v_readlane_b32 s44, v215, 58
	v_mad_u64_u32 v[2:3], s[44:45], v2, s44, v[34:35]
	v_ashrrev_i32_e32 v3, 31, v2
	s_waitcnt lgkmcnt(0)
	v_cvt_f32_f16_sdwa v9, v6 dst_sel:DWORD dst_unused:UNUSED_PAD src0_sel:WORD_1
	v_cvt_f32_f16_e32 v8, v6
	v_cvt_f32_f16_sdwa v11, v7 dst_sel:DWORD dst_unused:UNUSED_PAD src0_sel:WORD_1
	v_cvt_f32_f16_e32 v10, v7
	v_lshlrev_b64 v[2:3], 3, v[2:3]
	v_readlane_b32 s44, v214, 15
	v_add_co_u32_e32 v2, vcc, s44, v2
	v_mov_b32_e32 v1, s70
	v_pk_fma_f32 v[8:9], v[4:5], v[8:9], 0 op_sel_hi:[0,1,0]
	v_mov_b32_e32 v4, v5
	v_addc_co_u32_e32 v3, vcc, v1, v3, vcc
	v_pk_fma_f32 v[4:5], v[4:5], v[10:11], v[8:9] op_sel_hi:[0,1,1]
	v_mov_b32_e32 v1, 0
	global_store_dwordx2 v[2:3], v[4:5], off
.LBB9_95:                               ;   in Loop: Header=BB9_14 Depth=1
	s_or_b64 exec, exec, s[42:43]
	s_movk_i32 s42, 0x47
	v_cmp_gt_i32_e32 vcc, s42, v1
	s_mov_b64 s[42:43], -1
	s_and_saveexec_b64 s[44:45], vcc
; %bb.96:                               ;   in Loop: Header=BB9_14 Depth=1
	v_cmp_eq_u32_e32 vcc, 0, v1
	s_orn2_b64 s[42:43], vcc, exec
; %bb.97:                               ;   in Loop: Header=BB9_14 Depth=1
	s_or_b64 exec, exec, s[44:45]
	s_and_b64 exec, exec, s[42:43]
	s_cbranch_execz .LBB9_125
; %bb.98:                               ;   in Loop: Header=BB9_14 Depth=1
	v_add_u32_e32 v2, s94, v107
	v_cmp_gt_i32_e32 vcc, s76, v2
	v_mov_b32_e32 v1, 0x47
	s_and_saveexec_b64 s[42:43], vcc
	s_cbranch_execz .LBB9_100
; %bb.99:                               ;   in Loop: Header=BB9_14 Depth=1
	v_add_u32_e32 v1, 0, v135
	v_add_u32_e32 v1, 0xa0, v1
	ds_read2st64_b32 v[4:5], v1 offset1:11
	ds_read2st64_b32 v[6:7], v136 offset1:11
	v_readlane_b32 s44, v215, 58
	v_mad_u64_u32 v[2:3], s[44:45], v2, s44, v[34:35]
	v_ashrrev_i32_e32 v3, 31, v2
	s_waitcnt lgkmcnt(0)
	v_cvt_f32_f16_sdwa v9, v6 dst_sel:DWORD dst_unused:UNUSED_PAD src0_sel:WORD_1
	v_cvt_f32_f16_e32 v8, v6
	v_cvt_f32_f16_sdwa v11, v7 dst_sel:DWORD dst_unused:UNUSED_PAD src0_sel:WORD_1
	v_cvt_f32_f16_e32 v10, v7
	v_lshlrev_b64 v[2:3], 3, v[2:3]
	v_readlane_b32 s44, v214, 15
	v_add_co_u32_e32 v2, vcc, s44, v2
	v_mov_b32_e32 v1, s70
	v_pk_fma_f32 v[8:9], v[4:5], v[8:9], 0 op_sel_hi:[0,1,0]
	v_mov_b32_e32 v4, v5
	v_addc_co_u32_e32 v3, vcc, v1, v3, vcc
	v_pk_fma_f32 v[4:5], v[4:5], v[10:11], v[8:9] op_sel_hi:[0,1,1]
	v_mov_b32_e32 v1, 0
	global_store_dwordx2 v[2:3], v[4:5], off
.LBB9_100:                              ;   in Loop: Header=BB9_14 Depth=1
	s_or_b64 exec, exec, s[42:43]
	s_movk_i32 s42, 0x47
	v_cmp_gt_i32_e32 vcc, s42, v1
	s_mov_b64 s[42:43], -1
	s_and_saveexec_b64 s[44:45], vcc
; %bb.101:                              ;   in Loop: Header=BB9_14 Depth=1
	v_cmp_eq_u32_e32 vcc, 0, v1
	s_orn2_b64 s[42:43], vcc, exec
; %bb.102:                              ;   in Loop: Header=BB9_14 Depth=1
	s_or_b64 exec, exec, s[44:45]
	s_and_b64 exec, exec, s[42:43]
	s_cbranch_execz .LBB9_125
; %bb.103:                              ;   in Loop: Header=BB9_14 Depth=1
	v_add_u32_e32 v2, s94, v108
	v_cmp_gt_i32_e32 vcc, s76, v2
	v_mov_b32_e32 v1, 0x47
	s_and_saveexec_b64 s[42:43], vcc
	s_cbranch_execz .LBB9_105
; %bb.104:                              ;   in Loop: Header=BB9_14 Depth=1
	v_add_u32_e32 v1, 0, v137
	v_add_u32_e32 v1, 0xa0, v1
	ds_read2st64_b32 v[4:5], v1 offset1:11
	ds_read2st64_b32 v[6:7], v138 offset1:11
	v_readlane_b32 s44, v215, 58
	v_mad_u64_u32 v[2:3], s[44:45], v2, s44, v[34:35]
	v_ashrrev_i32_e32 v3, 31, v2
	s_waitcnt lgkmcnt(0)
	v_cvt_f32_f16_sdwa v9, v6 dst_sel:DWORD dst_unused:UNUSED_PAD src0_sel:WORD_1
	v_cvt_f32_f16_e32 v8, v6
	v_cvt_f32_f16_sdwa v11, v7 dst_sel:DWORD dst_unused:UNUSED_PAD src0_sel:WORD_1
	v_cvt_f32_f16_e32 v10, v7
	v_lshlrev_b64 v[2:3], 3, v[2:3]
	v_readlane_b32 s44, v214, 15
	v_add_co_u32_e32 v2, vcc, s44, v2
	v_mov_b32_e32 v1, s70
	v_pk_fma_f32 v[8:9], v[4:5], v[8:9], 0 op_sel_hi:[0,1,0]
	v_mov_b32_e32 v4, v5
	v_addc_co_u32_e32 v3, vcc, v1, v3, vcc
	v_pk_fma_f32 v[4:5], v[4:5], v[10:11], v[8:9] op_sel_hi:[0,1,1]
	v_mov_b32_e32 v1, 0
	global_store_dwordx2 v[2:3], v[4:5], off
.LBB9_105:                              ;   in Loop: Header=BB9_14 Depth=1
	s_or_b64 exec, exec, s[42:43]
	s_movk_i32 s42, 0x47
	v_cmp_gt_i32_e32 vcc, s42, v1
	s_mov_b64 s[42:43], -1
	s_and_saveexec_b64 s[44:45], vcc
; %bb.106:                              ;   in Loop: Header=BB9_14 Depth=1
	v_cmp_eq_u32_e32 vcc, 0, v1
	s_orn2_b64 s[42:43], vcc, exec
; %bb.107:                              ;   in Loop: Header=BB9_14 Depth=1
	s_or_b64 exec, exec, s[44:45]
	s_and_b64 exec, exec, s[42:43]
	s_cbranch_execz .LBB9_125
; %bb.108:                              ;   in Loop: Header=BB9_14 Depth=1
	v_add_u32_e32 v2, s94, v109
	v_cmp_gt_i32_e32 vcc, s76, v2
	v_mov_b32_e32 v1, 0x47
	s_and_saveexec_b64 s[42:43], vcc
	s_cbranch_execz .LBB9_110
; %bb.109:                              ;   in Loop: Header=BB9_14 Depth=1
	v_add_u32_e32 v1, 0, v139
	v_add_u32_e32 v1, 0xa0, v1
	ds_read2st64_b32 v[4:5], v1 offset1:11
	ds_read2st64_b32 v[6:7], v140 offset1:11
	v_readlane_b32 s44, v215, 58
	v_mad_u64_u32 v[2:3], s[44:45], v2, s44, v[34:35]
	v_ashrrev_i32_e32 v3, 31, v2
	s_waitcnt lgkmcnt(0)
	v_cvt_f32_f16_sdwa v9, v6 dst_sel:DWORD dst_unused:UNUSED_PAD src0_sel:WORD_1
	v_cvt_f32_f16_e32 v8, v6
	v_cvt_f32_f16_sdwa v11, v7 dst_sel:DWORD dst_unused:UNUSED_PAD src0_sel:WORD_1
	v_cvt_f32_f16_e32 v10, v7
	v_lshlrev_b64 v[2:3], 3, v[2:3]
	v_readlane_b32 s44, v214, 15
	v_add_co_u32_e32 v2, vcc, s44, v2
	v_mov_b32_e32 v1, s70
	v_pk_fma_f32 v[8:9], v[4:5], v[8:9], 0 op_sel_hi:[0,1,0]
	v_mov_b32_e32 v4, v5
	v_addc_co_u32_e32 v3, vcc, v1, v3, vcc
	v_pk_fma_f32 v[4:5], v[4:5], v[10:11], v[8:9] op_sel_hi:[0,1,1]
	v_mov_b32_e32 v1, 0
	global_store_dwordx2 v[2:3], v[4:5], off
.LBB9_110:                              ;   in Loop: Header=BB9_14 Depth=1
	;; [unrolled: 42-line block ×4, first 2 shown]
	s_or_b64 exec, exec, s[42:43]
	s_movk_i32 s42, 0x47
	v_cmp_gt_i32_e32 vcc, s42, v1
	s_mov_b64 s[42:43], -1
	s_and_saveexec_b64 s[44:45], vcc
; %bb.121:                              ;   in Loop: Header=BB9_14 Depth=1
	v_cmp_eq_u32_e32 vcc, 0, v1
	s_orn2_b64 s[42:43], vcc, exec
; %bb.122:                              ;   in Loop: Header=BB9_14 Depth=1
	s_or_b64 exec, exec, s[44:45]
	s_and_b64 exec, exec, s[42:43]
	s_cbranch_execz .LBB9_125
; %bb.123:                              ;   in Loop: Header=BB9_14 Depth=1
	v_add_u32_e32 v1, s94, v112
	v_cmp_gt_i32_e32 vcc, s76, v1
	s_and_b64 exec, exec, vcc
	s_cbranch_execz .LBB9_125
; %bb.124:                              ;   in Loop: Header=BB9_14 Depth=1
	v_add_u32_e32 v2, 0, v145
	v_add_u32_e32 v2, 0xa0, v2
	ds_read2st64_b32 v[2:3], v2 offset1:11
	ds_read2st64_b32 v[4:5], v146 offset1:11
	v_readlane_b32 s42, v215, 58
	v_mad_u64_u32 v[6:7], s[42:43], v1, s42, v[34:35]
	v_ashrrev_i32_e32 v7, 31, v6
	s_waitcnt lgkmcnt(0)
	v_cvt_f32_f16_sdwa v9, v4 dst_sel:DWORD dst_unused:UNUSED_PAD src0_sel:WORD_1
	v_cvt_f32_f16_e32 v8, v4
	v_cvt_f32_f16_sdwa v11, v5 dst_sel:DWORD dst_unused:UNUSED_PAD src0_sel:WORD_1
	v_cvt_f32_f16_e32 v10, v5
	v_lshlrev_b64 v[6:7], 3, v[6:7]
	v_readlane_b32 s42, v214, 15
	v_add_co_u32_e32 v6, vcc, s42, v6
	v_mov_b32_e32 v1, s70
	v_pk_fma_f32 v[8:9], v[2:3], v[8:9], 0 op_sel_hi:[0,1,0]
	v_mov_b32_e32 v2, v3
	v_addc_co_u32_e32 v7, vcc, v1, v7, vcc
	v_pk_fma_f32 v[2:3], v[2:3], v[10:11], v[8:9] op_sel_hi:[0,1,1]
	global_store_dwordx2 v[6:7], v[2:3], off
.LBB9_125:                              ;   in Loop: Header=BB9_14 Depth=1
	s_or_b64 exec, exec, s[40:41]
	v_add_u32_e32 v2, s94, v105
	v_cmp_gt_i32_e32 vcc, s76, v2
	v_mov_b32_e32 v1, 0x47
	s_and_saveexec_b64 s[40:41], vcc
	s_cbranch_execz .LBB9_127
; %bb.126:                              ;   in Loop: Header=BB9_14 Depth=1
	v_add_u32_e32 v4, 0x80, v148
	ds_read2st64_b32 v[4:5], v4 offset1:11
	v_readlane_b32 s42, v215, 58
	v_mul_lo_u32 v1, v2, s42
	v_add_u32_e32 v2, 0, v147
	v_add_u32_e32 v2, 0xa0, v2
	ds_read2st64_b32 v[2:3], v2 offset1:11
	s_waitcnt lgkmcnt(1)
	v_cvt_f32_f16_sdwa v9, v4 dst_sel:DWORD dst_unused:UNUSED_PAD src0_sel:WORD_1
	v_cvt_f32_f16_e32 v8, v4
	v_ashrrev_i32_e32 v7, 31, v1
	v_add_co_u32_e32 v6, vcc, v1, v30
	v_cvt_f32_f16_sdwa v11, v5 dst_sel:DWORD dst_unused:UNUSED_PAD src0_sel:WORD_1
	v_cvt_f32_f16_e32 v10, v5
	v_addc_co_u32_e32 v7, vcc, 0, v7, vcc
	v_lshlrev_b64 v[6:7], 3, v[6:7]
	v_readlane_b32 s42, v214, 15
	v_add_co_u32_e32 v6, vcc, s42, v6
	v_mov_b32_e32 v1, s70
	s_waitcnt lgkmcnt(0)
	v_pk_fma_f32 v[8:9], v[2:3], v[8:9], 0 op_sel_hi:[0,1,0]
	v_mov_b32_e32 v2, v3
	v_addc_co_u32_e32 v7, vcc, v1, v7, vcc
	v_pk_fma_f32 v[2:3], v[2:3], v[10:11], v[8:9] op_sel_hi:[0,1,1]
	v_mov_b32_e32 v1, 0
	global_store_dwordx2 v[6:7], v[2:3], off offset:256
.LBB9_127:                              ;   in Loop: Header=BB9_14 Depth=1
	s_or_b64 exec, exec, s[40:41]
	s_movk_i32 s40, 0x47
	v_cmp_gt_i32_e32 vcc, s40, v1
	s_mov_b64 s[40:41], -1
	s_and_saveexec_b64 s[42:43], vcc
; %bb.128:                              ;   in Loop: Header=BB9_14 Depth=1
	v_cmp_eq_u32_e32 vcc, 0, v1
	s_orn2_b64 s[40:41], vcc, exec
; %bb.129:                              ;   in Loop: Header=BB9_14 Depth=1
	s_or_b64 exec, exec, s[42:43]
	s_and_b64 exec, exec, s[40:41]
	s_cbranch_execz .LBB9_132
; %bb.130:                              ;   in Loop: Header=BB9_14 Depth=1
	v_add_u32_e32 v1, s94, v113
	v_cmp_gt_i32_e32 vcc, s76, v1
	s_and_b64 exec, exec, vcc
	s_cbranch_execz .LBB9_132
; %bb.131:                              ;   in Loop: Header=BB9_14 Depth=1
	v_add_u32_e32 v4, 0x80, v150
	ds_read2st64_b32 v[4:5], v4 offset1:11
	v_add_u32_e32 v2, 0, v149
	v_add_u32_e32 v2, 0xa0, v2
	v_readlane_b32 s40, v215, 58
	ds_read2st64_b32 v[2:3], v2 offset1:11
	v_mul_lo_u32 v1, v1, s40
	s_waitcnt lgkmcnt(1)
	v_cvt_f32_f16_sdwa v9, v4 dst_sel:DWORD dst_unused:UNUSED_PAD src0_sel:WORD_1
	v_cvt_f32_f16_e32 v8, v4
	v_ashrrev_i32_e32 v7, 31, v1
	v_add_co_u32_e32 v6, vcc, v1, v30
	v_cvt_f32_f16_sdwa v11, v5 dst_sel:DWORD dst_unused:UNUSED_PAD src0_sel:WORD_1
	v_cvt_f32_f16_e32 v10, v5
	v_addc_co_u32_e32 v7, vcc, 0, v7, vcc
	v_lshlrev_b64 v[6:7], 3, v[6:7]
	v_readlane_b32 s40, v214, 15
	v_add_co_u32_e32 v6, vcc, s40, v6
	v_mov_b32_e32 v1, s70
	s_waitcnt lgkmcnt(0)
	v_pk_fma_f32 v[8:9], v[2:3], v[8:9], 0 op_sel_hi:[0,1,0]
	v_mov_b32_e32 v2, v3
	v_addc_co_u32_e32 v7, vcc, v1, v7, vcc
	v_pk_fma_f32 v[2:3], v[2:3], v[10:11], v[8:9] op_sel_hi:[0,1,1]
	global_store_dwordx2 v[6:7], v[2:3], off offset:256
.LBB9_132:                              ;   in Loop: Header=BB9_14 Depth=1
	s_or_b64 exec, exec, s[38:39]
	s_barrier
	s_branch .LBB9_13
.LBB9_133:                              ;   in Loop: Header=BB9_14 Depth=1
	s_lshl_b32 s9, s9, 5
	v_add_u32_e32 v1, s9, v115
	v_cmp_le_i32_e32 vcc, s76, v1
	s_and_saveexec_b64 s[38:39], vcc
	s_xor_b64 s[38:39], exec, s[38:39]
	s_cbranch_execz .LBB9_135
; %bb.134:                              ;   in Loop: Header=BB9_14 Depth=1
	ds_write_b32 v130, v163
                                        ; implicit-def: $vgpr1
.LBB9_135:                              ;   in Loop: Header=BB9_14 Depth=1
	s_andn2_saveexec_b64 s[38:39], s[38:39]
	s_cbranch_execz .LBB9_137
; %bb.136:                              ;   in Loop: Header=BB9_14 Depth=1
	v_mad_u64_u32 v[2:3], s[40:41], v1, s68, v[34:35]
	v_ashrrev_i32_e32 v3, 31, v2
	v_lshlrev_b64 v[2:3], 3, v[2:3]
	v_mov_b32_e32 v1, s86
	v_add_co_u32_e32 v2, vcc, s36, v2
	v_addc_co_u32_e32 v3, vcc, v1, v3, vcc
	global_load_dwordx2 v[2:3], v[2:3], off
	s_waitcnt vmcnt(0)
	v_cvt_f16_f32_e32 v1, v2
	v_cvt_f16_f32_e32 v2, v3
	v_pack_b32_f16 v1, v1, v2
	v_pk_mul_f16 v1, v31, v1
	ds_write_b32 v130, v1
.LBB9_137:                              ;   in Loop: Header=BB9_14 Depth=1
	s_or_b64 exec, exec, s[38:39]
	v_add_u32_e32 v1, s9, v189
	v_cmp_le_i32_e32 vcc, s76, v1
	s_and_saveexec_b64 s[38:39], vcc
	s_xor_b64 s[38:39], exec, s[38:39]
	s_cbranch_execz .LBB9_139
; %bb.138:                              ;   in Loop: Header=BB9_14 Depth=1
	ds_write_b32 v130, v163 offset:1408
                                        ; implicit-def: $vgpr1
.LBB9_139:                              ;   in Loop: Header=BB9_14 Depth=1
	s_andn2_saveexec_b64 s[38:39], s[38:39]
	s_cbranch_execz .LBB9_141
; %bb.140:                              ;   in Loop: Header=BB9_14 Depth=1
	v_mad_u64_u32 v[2:3], s[40:41], v1, s68, v[34:35]
	v_ashrrev_i32_e32 v3, 31, v2
	v_lshlrev_b64 v[2:3], 3, v[2:3]
	v_mov_b32_e32 v1, s86
	v_add_co_u32_e32 v2, vcc, s36, v2
	v_addc_co_u32_e32 v3, vcc, v1, v3, vcc
	global_load_dwordx2 v[2:3], v[2:3], off
	s_waitcnt vmcnt(0)
	v_cvt_f16_f32_e32 v1, v2
	v_cvt_f16_f32_e32 v2, v3
	v_pack_b32_f16 v1, v1, v2
	v_pk_mul_f16 v1, v31, v1
	ds_write_b32 v130, v1 offset:1408
.LBB9_141:                              ;   in Loop: Header=BB9_14 Depth=1
	s_or_b64 exec, exec, s[38:39]
	v_add_u32_e32 v1, s9, v190
	v_cmp_le_i32_e32 vcc, s76, v1
	s_and_saveexec_b64 s[38:39], vcc
	s_xor_b64 s[38:39], exec, s[38:39]
	s_cbranch_execz .LBB9_143
; %bb.142:                              ;   in Loop: Header=BB9_14 Depth=1
	ds_write_b32 v130, v163 offset:2816
                                        ; implicit-def: $vgpr1
.LBB9_143:                              ;   in Loop: Header=BB9_14 Depth=1
	s_andn2_saveexec_b64 s[38:39], s[38:39]
	s_cbranch_execz .LBB9_145
; %bb.144:                              ;   in Loop: Header=BB9_14 Depth=1
	v_mad_u64_u32 v[2:3], s[40:41], v1, s68, v[34:35]
	v_ashrrev_i32_e32 v3, 31, v2
	v_lshlrev_b64 v[2:3], 3, v[2:3]
	v_mov_b32_e32 v1, s86
	v_add_co_u32_e32 v2, vcc, s36, v2
	v_addc_co_u32_e32 v3, vcc, v1, v3, vcc
	global_load_dwordx2 v[2:3], v[2:3], off
	s_waitcnt vmcnt(0)
	v_cvt_f16_f32_e32 v1, v2
	v_cvt_f16_f32_e32 v2, v3
	v_pack_b32_f16 v1, v1, v2
	v_pk_mul_f16 v1, v31, v1
	ds_write_b32 v130, v1 offset:2816
.LBB9_145:                              ;   in Loop: Header=BB9_14 Depth=1
	;; [unrolled: 27-line block ×3, first 2 shown]
	s_or_b64 exec, exec, s[38:39]
	v_add_u32_e32 v2, s9, v33
	v_cmp_gt_i32_e32 vcc, s76, v2
	v_mov_b32_e32 v203, 0
	v_mov_b32_e32 v1, 0
	s_and_saveexec_b64 s[38:39], vcc
	s_cbranch_execz .LBB9_151
; %bb.150:                              ;   in Loop: Header=BB9_14 Depth=1
	v_mul_lo_u32 v1, v2, s68
	v_ashrrev_i32_e32 v3, 31, v1
	v_add_co_u32_e32 v2, vcc, v1, v30
	v_addc_co_u32_e32 v3, vcc, 0, v3, vcc
	v_lshlrev_b64 v[2:3], 3, v[2:3]
	v_mov_b32_e32 v1, s86
	v_add_co_u32_e32 v2, vcc, s36, v2
	v_addc_co_u32_e32 v3, vcc, v1, v3, vcc
	global_load_dwordx2 v[2:3], v[2:3], off offset:256
	s_waitcnt vmcnt(0)
	v_cvt_f16_f32_e32 v1, v2
	v_cvt_f16_f32_e32 v2, v3
	v_pack_b32_f16 v1, v1, v2
	v_pk_mul_f16 v1, v31, v1
.LBB9_151:                              ;   in Loop: Header=BB9_14 Depth=1
	s_or_b64 exec, exec, s[38:39]
	ds_write_b32 v116, v1 offset:128
	s_waitcnt lgkmcnt(0)
	s_barrier
	ds_read2_b64 v[6:9], v117 offset1:4
	ds_read2_b64 v[2:5], v117 offset0:8 offset1:12
	ds_read_b64 v[50:51], v117 offset:128
	s_mov_b32 s36, 0
	s_cmp_lt_i32 s82, 2
	v_mov_b32_e32 v47, 0xfeffffff
	v_cmp_ne_u64_e64 s[38:39], 0, v[48:49]
	v_mov_b32_e32 v204, 0
	v_mov_b32_e32 v201, 0
	;; [unrolled: 1-line block ×10, first 2 shown]
	s_waitcnt lgkmcnt(0)
	s_barrier
	s_cbranch_scc1 .LBB9_166
; %bb.152:                              ;   in Loop: Header=BB9_14 Depth=1
	v_add_u32_e32 v1, s9, v82
	v_mul_hi_u32 v10, s90, v1
	v_add_u32_e32 v10, v1, v10
	v_lshrrev_b32_e32 v10, s91, v10
	v_mul_lo_u32 v10, v10, s76
	v_sub_u32_e32 v10, v1, v10
	v_add_u32_e32 v1, s9, v164
	v_mul_hi_u32 v11, s90, v1
	v_add_u32_e32 v11, v1, v11
	v_lshrrev_b32_e32 v11, s91, v11
	v_mul_lo_u32 v11, v11, s76
	v_sub_u32_e32 v11, v1, v11
	;; [unrolled: 6-line block ×8, first 2 shown]
	v_and_b32_e32 v1, 64, v196
	v_add_u32_e32 v1, 64, v1
	v_xor_b32_e32 v19, 32, v196
	v_cmp_lt_i32_e32 vcc, v19, v1
	v_cndmask_b32_e32 v19, v196, v19, vcc
	s_add_i32 s36, s82, -1
	v_lshlrev_b32_e32 v57, 2, v19
	v_xor_b32_e32 v19, 16, v196
	v_cmp_lt_i32_e32 vcc, v19, v1
	s_add_u32 s40, s72, s73
	v_cndmask_b32_e32 v1, v196, v19, vcc
	s_addc_u32 s41, s71, s74
	v_lshlrev_b32_e32 v59, 2, v1
	v_mov_b32_e32 v1, s41
	v_add_co_u32_e32 v54, vcc, s40, v151
	v_addc_co_u32_e32 v55, vcc, v152, v1, vcc
	v_add_co_u32_e32 v56, vcc, s40, v153
	v_addc_co_u32_e32 v1, vcc, v154, v1, vcc
	v_mov_b32_e32 v19, s41
	v_add_co_u32_e32 v58, vcc, s40, v155
	s_add_u32 s40, s75, s63
	v_addc_co_u32_e32 v19, vcc, v156, v19, vcc
	s_addc_u32 s41, s69, s67
	v_mov_b32_e32 v21, s41
	v_add_co_u32_e32 v60, vcc, s40, v157
	v_addc_co_u32_e32 v61, vcc, v158, v21, vcc
	v_add_co_u32_e32 v62, vcc, s40, v159
	v_addc_co_u32_e32 v21, vcc, v160, v21, vcc
	v_mov_b32_e32 v23, s41
	v_add_co_u32_e32 v64, vcc, s40, v161
	v_readlane_b32 s40, v214, 12
	v_readlane_b32 s41, v214, 13
	s_mov_b32 s42, s40
	v_mov_b32_e32 v63, 0
	v_mov_b32_e32 v52, v46
	;; [unrolled: 1-line block ×3, first 2 shown]
	v_addc_co_u32_e32 v23, vcc, v162, v23, vcc
	v_mad_i64_i32 v[66:67], s[40:41], s42, v13, v[48:49]
	v_mad_i64_i32 v[68:69], s[40:41], s42, v12, v[48:49]
	;; [unrolled: 1-line block ×8, first 2 shown]
	v_mov_b32_e32 v205, 0
	v_mov_b32_e32 v206, 0xfeffffff
	s_mov_b32 s44, s36
	v_mov_b32_e32 v198, 0
	v_mov_b32_e32 v197, 0
	;; [unrolled: 1-line block ×9, first 2 shown]
	v_cndmask_b32_e64 v10, 0, 1, s[38:39]
	v_cmp_ne_u32_e64 s[40:41], 1, v10
	s_andn2_b64 vcc, exec, s[38:39]
	s_cbranch_vccnz .LBB9_158
.LBB9_153:                              ;   in Loop: Header=BB9_14 Depth=1
                                        ; implicit-def: $sgpr45
	s_and_saveexec_b64 s[42:43], s[4:5]
	s_xor_b64 s[42:43], exec, s[42:43]
	s_cbranch_execz .LBB9_155
; %bb.154:                              ;   in Loop: Header=BB9_14 Depth=1
	ds_write_b16 v118, v163 offset:11264
	ds_write_b16 v165, v163 offset:11264
	;; [unrolled: 1-line block ×4, first 2 shown]
	s_mov_b32 s45, 0
.LBB9_155:                              ;   in Loop: Header=BB9_14 Depth=1
	s_or_saveexec_b64 s[42:43], s[42:43]
	v_mov_b32_e32 v10, s45
	v_mov_b32_e32 v11, s45
	;; [unrolled: 1-line block ×4, first 2 shown]
	s_xor_b64 exec, exec, s[42:43]
	s_cbranch_execz .LBB9_157
; %bb.156:                              ;   in Loop: Header=BB9_14 Depth=1
	v_add_co_u32_e32 v10, vcc, v72, v32
	v_addc_co_u32_e32 v11, vcc, 0, v73, vcc
	flat_load_ushort v12, v[10:11]
	v_add_co_u32_e32 v10, vcc, v70, v32
	v_addc_co_u32_e32 v11, vcc, 0, v71, vcc
	flat_load_ushort v13, v[10:11]
	;; [unrolled: 3-line block ×4, first 2 shown]
	s_waitcnt vmcnt(0) lgkmcnt(0)
	ds_write_b16 v118, v12 offset:11264
	ds_write_b16 v165, v13 offset:11264
	;; [unrolled: 1-line block ×4, first 2 shown]
	v_add_co_u32_e32 v10, vcc, v80, v32
	v_addc_co_u32_e32 v11, vcc, 0, v81, vcc
	v_add_co_u32_e32 v12, vcc, v78, v32
	v_addc_co_u32_e32 v13, vcc, 0, v79, vcc
	flat_load_ushort v10, v[10:11]
	s_nop 0
	flat_load_ushort v11, v[12:13]
	v_add_co_u32_e32 v12, vcc, v76, v32
	v_addc_co_u32_e32 v13, vcc, 0, v77, vcc
	v_add_co_u32_e32 v14, vcc, v74, v32
	v_addc_co_u32_e32 v15, vcc, 0, v75, vcc
	flat_load_ushort v12, v[12:13]
	s_nop 0
	flat_load_ushort v13, v[14:15]
.LBB9_157:                              ;   in Loop: Header=BB9_14 Depth=1
	s_or_b64 exec, exec, s[42:43]
	s_waitcnt vmcnt(0) lgkmcnt(0)
	ds_write_b16 v171, v10 offset:11264
	ds_write_b16 v173, v11 offset:11264
	;; [unrolled: 1-line block ×4, first 2 shown]
.LBB9_158:                              ;   Parent Loop BB9_14 Depth=1
                                        ; =>  This Inner Loop Header: Depth=2
	buffer_store_dword v163, off, s[0:3], 0
	buffer_store_dword v163, off, s[0:3], 0 offset:4
	buffer_store_dword v163, off, s[0:3], 0 offset:8
	;; [unrolled: 1-line block ×3, first 2 shown]
	s_and_saveexec_b64 s[42:43], s[6:7]
	s_cbranch_execz .LBB9_160
; %bb.159:                              ;   in Loop: Header=BB9_158 Depth=2
	global_load_dwordx4 v[10:13], v[60:61], off
	s_waitcnt vmcnt(0)
	ds_write_b128 v87, v[10:13]
.LBB9_160:                              ;   in Loop: Header=BB9_158 Depth=2
	s_or_b64 exec, exec, s[42:43]
	v_add_co_u32_e32 v10, vcc, v62, v44
	v_addc_co_u32_e32 v11, vcc, 0, v21, vcc
	v_mov_b32_e32 v14, s89
	v_mov_b32_e32 v15, s88
	v_cndmask_b32_e64 v11, v14, v11, s[58:59]
	v_cndmask_b32_e64 v10, v15, v10, s[58:59]
	flat_load_dwordx4 v[10:13], v[10:11]
	v_add_u32_e32 v47, v35, v120
	v_add_u32_e32 v207, 0x1000, v47
	s_waitcnt vmcnt(0) lgkmcnt(0)
	ds_write_b128 v103, v[10:13]
	v_add_co_u32_e32 v10, vcc, v64, v44
	v_addc_co_u32_e32 v11, vcc, 0, v23, vcc
	v_cndmask_b32_e64 v11, v14, v11, s[10:11]
	v_cndmask_b32_e64 v10, v15, v10, s[10:11]
	flat_load_dwordx4 v[10:13], v[10:11]
	s_and_b64 vcc, exec, s[40:41]
	s_waitcnt vmcnt(0) lgkmcnt(0)
	ds_write_b128 v183, v[10:13]
	s_waitcnt lgkmcnt(0)
	s_barrier
	ds_read2_b64 v[10:13], v47 offset1:4
	s_waitcnt lgkmcnt(0)
	v_mfma_f32_16x16x16f16 v[14:17], v[10:11], v[6:7], 0
	v_mfma_f32_16x16x16f16 v[10:13], v[12:13], v[8:9], v[14:17]
	s_nop 7
	s_nop 1
	ds_read2_b64 v[14:17], v47 offset0:8 offset1:12
	s_waitcnt lgkmcnt(0)
	v_mfma_f32_16x16x16f16 v[10:13], v[14:15], v[2:3], v[10:13]
	ds_read_b64 v[14:15], v47 offset:128
	v_mfma_f32_16x16x16f16 v[10:13], v[16:17], v[4:5], v[10:13]
	s_waitcnt lgkmcnt(0)
	v_mfma_f32_16x16x16f16 v[14:17], v[14:15], v[50:51], v[10:13]
	s_nop 7
	s_nop 0
	ds_read2_b64 v[10:13], v207 offset0:192 offset1:196
	s_waitcnt lgkmcnt(0)
	v_mfma_f32_16x16x16f16 v[208:211], v[10:11], v[6:7], 0
	v_mfma_f32_16x16x16f16 v[10:13], v[12:13], v[8:9], v[208:211]
	s_nop 7
	s_nop 1
	ds_read2_b64 v[208:211], v207 offset0:200 offset1:204
	s_waitcnt lgkmcnt(0)
	v_mfma_f32_16x16x16f16 v[10:13], v[208:209], v[2:3], v[10:13]
	ds_read_b64 v[208:209], v47 offset:5760
	s_waitcnt lgkmcnt(0)
	s_barrier
	v_mfma_f32_16x16x16f16 v[10:13], v[210:211], v[4:5], v[10:13]
	v_mfma_f32_16x16x16f16 v[10:13], v[208:209], v[50:51], v[10:13]
	s_cbranch_vccnz .LBB9_162
; %bb.161:                              ;   in Loop: Header=BB9_158 Depth=2
	v_add_u32_e32 v47, 0x2c00, v121
	ds_read2_b32 v[208:209], v47 offset1:1
	ds_read_b32 v207, v123 offset:11264
	v_mov_b32_e32 v47, v46
	s_waitcnt lgkmcnt(1)
	v_cvt_f32_f16_e32 v210, v208
	v_cvt_f32_f16_sdwa v211, v208 dst_sel:DWORD dst_unused:UNUSED_PAD src0_sel:WORD_1
	v_cvt_f32_f16_e32 v208, v209
	v_cvt_f32_f16_sdwa v209, v209 dst_sel:DWORD dst_unused:UNUSED_PAD src0_sel:WORD_1
	v_pk_fma_f32 v[14:15], v[52:53], v[210:211], v[14:15]
	v_pk_fma_f32 v[16:17], v[46:47], v[208:209], v[16:17]
	s_waitcnt lgkmcnt(0)
	v_cvt_f32_f16_sdwa v209, v207 dst_sel:DWORD dst_unused:UNUSED_PAD src0_sel:WORD_1
	v_cvt_f32_f16_e32 v208, v207
	ds_read_b32 v207, v125 offset:11264
	v_pk_fma_f32 v[10:11], v[52:53], v[208:209], v[10:11]
	s_waitcnt lgkmcnt(0)
	v_cvt_f32_f16_sdwa v211, v207 dst_sel:DWORD dst_unused:UNUSED_PAD src0_sel:WORD_1
	v_cvt_f32_f16_e32 v210, v207
	v_pk_fma_f32 v[12:13], v[46:47], v[210:211], v[12:13]
.LBB9_162:                              ;   in Loop: Header=BB9_158 Depth=2
	v_add_f32_e32 v47, 0x40051340, v14
	v_max_f32_e32 v207, v206, v206
	v_max_f32_e32 v47, v207, v47
	v_cndmask_b32_e64 v47, v206, v47, s[12:13]
	v_add_f32_e32 v207, 0x40051340, v15
	v_max_f32_e32 v208, v47, v47
	v_max_f32_e32 v207, v208, v207
	v_cndmask_b32_e64 v47, v47, v207, s[14:15]
	v_add_f32_e32 v207, 0x40051340, v16
	v_max_f32_e32 v208, v47, v47
	v_max_f32_e32 v207, v208, v207
	v_cndmask_b32_e64 v47, v47, v207, s[16:17]
	v_add_f32_e32 v207, 0x40051340, v17
	v_max_f32_e32 v208, v47, v47
	v_max_f32_e32 v207, v208, v207
	v_cndmask_b32_e64 v47, v47, v207, s[18:19]
	v_add_f32_e32 v207, 0x40051340, v10
	v_max_f32_e32 v208, v47, v47
	v_max_f32_e32 v207, v208, v207
	v_cndmask_b32_e64 v47, v47, v207, s[20:21]
	v_add_f32_e32 v207, 0x40051340, v11
	v_max_f32_e32 v208, v47, v47
	v_max_f32_e32 v207, v208, v207
	v_cndmask_b32_e64 v47, v47, v207, s[22:23]
	v_add_f32_e32 v207, 0x40051340, v12
	v_max_f32_e32 v208, v47, v47
	v_max_f32_e32 v207, v208, v207
	v_cndmask_b32_e64 v47, v47, v207, s[24:25]
	v_add_f32_e32 v207, 0x40051340, v13
	v_max_f32_e32 v208, v47, v47
	v_max_f32_e32 v207, v208, v207
	v_cndmask_b32_e64 v47, v47, v207, s[26:27]
	ds_bpermute_b32 v207, v57, v47
	v_max_f32_e32 v47, v47, v47
	buffer_store_dword v163, off, s[0:3], 0
	buffer_store_dword v163, off, s[0:3], 0 offset:4
	buffer_store_dword v163, off, s[0:3], 0 offset:8
	;; [unrolled: 1-line block ×3, first 2 shown]
	s_waitcnt lgkmcnt(0)
	v_max_f32_e32 v207, v207, v207
	v_max_f32_e32 v47, v47, v207
	ds_bpermute_b32 v207, v59, v47
	s_and_saveexec_b64 s[40:41], s[6:7]
	s_cbranch_execz .LBB9_164
; %bb.163:                              ;   in Loop: Header=BB9_158 Depth=2
	global_load_dwordx4 v[208:211], v[54:55], off
	s_waitcnt vmcnt(0)
	ds_write_b128 v87, v[208:211]
.LBB9_164:                              ;   in Loop: Header=BB9_158 Depth=2
	s_or_b64 exec, exec, s[40:41]
	s_waitcnt lgkmcnt(0)
	v_max_f32_e32 v207, v207, v207
	v_max_f32_e32 v47, v47, v47
	;; [unrolled: 1-line block ×3, first 2 shown]
	v_sub_f32_e32 v14, v14, v47
	v_mul_f32_e32 v207, 0x3fb8aa3b, v14
	v_fma_f32 v208, v14, s29, -v207
	v_rndne_f32_e32 v209, v207
	v_fmac_f32_e32 v208, 0x32a5705f, v14
	v_sub_f32_e32 v207, v207, v209
	v_add_f32_e32 v207, v207, v208
	v_exp_f32_e32 v207, v207
	v_cvt_i32_f32_e32 v208, v209
	v_cmp_ngt_f32_e32 vcc, s80, v14
	v_cndmask_b32_e64 v16, v16, v16, s[14:15]
	v_cndmask_b32_e64 v17, v17, v17, s[14:15]
	v_ldexp_f32 v207, v207, v208
	v_cndmask_b32_e32 v207, 0, v207, vcc
	v_cmp_nlt_f32_e32 vcc, s77, v14
	v_cndmask_b32_e32 v14, v194, v207, vcc
	v_cndmask_b32_e64 v208, 0, v14, s[12:13]
	v_sub_f32_e32 v14, v15, v47
	v_mul_f32_e32 v15, 0x3fb8aa3b, v14
	v_fma_f32 v207, v14, s29, -v15
	v_rndne_f32_e32 v209, v15
	v_fmac_f32_e32 v207, 0x32a5705f, v14
	v_sub_f32_e32 v15, v15, v209
	v_add_f32_e32 v15, v15, v207
	v_exp_f32_e32 v15, v15
	v_cvt_i32_f32_e32 v207, v209
	v_cmp_ngt_f32_e32 vcc, s80, v14
	v_sub_f32_e32 v10, v10, v47
	v_cndmask_b32_e64 v11, v11, v11, s[20:21]
	v_ldexp_f32 v15, v15, v207
	v_cndmask_b32_e32 v15, 0, v15, vcc
	v_cmp_nlt_f32_e32 vcc, s77, v14
	v_cndmask_b32_e32 v14, v194, v15, vcc
	v_mov_b32_e32 v15, s37
	v_add_f32_e32 v207, v14, v208
	v_cndmask_b32_e64 v209, v15, v14, s[14:15]
	v_sub_f32_e32 v14, v16, v47
	v_mul_f32_e32 v16, 0x3fb8aa3b, v14
	v_cndmask_b32_e64 v15, v208, v207, s[14:15]
	v_fma_f32 v207, v14, s29, -v16
	v_rndne_f32_e32 v210, v16
	v_fmac_f32_e32 v207, 0x32a5705f, v14
	v_sub_f32_e32 v16, v16, v210
	v_add_f32_e32 v16, v16, v207
	v_exp_f32_e32 v16, v16
	v_cvt_i32_f32_e32 v207, v210
	v_cmp_ngt_f32_e32 vcc, s80, v14
	v_sub_f32_e32 v11, v11, v47
	v_cndmask_b32_e64 v12, v12, v12, s[20:21]
	v_ldexp_f32 v16, v16, v207
	v_cndmask_b32_e32 v16, 0, v16, vcc
	v_cmp_nlt_f32_e32 vcc, s77, v14
	v_cndmask_b32_e32 v16, v194, v16, vcc
	v_add_f32_e32 v207, v15, v16
	v_mov_b32_e32 v14, s37
	v_cndmask_b32_e64 v210, v14, v16, s[16:17]
	v_cndmask_b32_e64 v14, v15, v207, s[16:17]
	v_sub_f32_e32 v15, v17, v47
	v_mul_f32_e32 v16, 0x3fb8aa3b, v15
	v_fma_f32 v17, v15, s29, -v16
	v_rndne_f32_e32 v207, v16
	v_fmac_f32_e32 v17, 0x32a5705f, v15
	v_sub_f32_e32 v16, v16, v207
	v_add_f32_e32 v16, v16, v17
	v_exp_f32_e32 v16, v16
	v_cvt_i32_f32_e32 v17, v207
	v_cmp_ngt_f32_e32 vcc, s80, v15
	v_cndmask_b32_e64 v13, v13, v13, s[20:21]
	s_add_i32 s44, s44, -1
	v_ldexp_f32 v16, v16, v17
	v_cndmask_b32_e32 v16, 0, v16, vcc
	v_cmp_nlt_f32_e32 vcc, s77, v15
	v_cndmask_b32_e32 v207, v194, v16, vcc
	v_add_f32_e32 v15, v14, v207
	v_cndmask_b32_e64 v14, v14, v15, s[18:19]
	v_mul_f32_e32 v15, 0x3fb8aa3b, v10
	v_fma_f32 v16, v10, s29, -v15
	v_rndne_f32_e32 v17, v15
	v_fmac_f32_e32 v16, 0x32a5705f, v10
	v_sub_f32_e32 v15, v15, v17
	v_add_f32_e32 v15, v15, v16
	v_exp_f32_e32 v15, v15
	v_cvt_i32_f32_e32 v16, v17
	v_cmp_ngt_f32_e32 vcc, s80, v10
	s_cmp_lg_u32 s44, 0
	v_ldexp_f32 v15, v15, v16
	v_cndmask_b32_e32 v15, 0, v15, vcc
	v_cmp_nlt_f32_e32 vcc, s77, v10
	v_cndmask_b32_e32 v15, v194, v15, vcc
	v_add_f32_e32 v16, v15, v14
	v_mov_b32_e32 v10, s37
	v_cndmask_b32_e64 v211, v10, v15, s[20:21]
	v_cndmask_b32_e64 v10, v14, v16, s[20:21]
	v_mul_f32_e32 v14, 0x3fb8aa3b, v11
	v_fma_f32 v15, v11, s29, -v14
	v_rndne_f32_e32 v16, v14
	v_fmac_f32_e32 v15, 0x32a5705f, v11
	v_sub_f32_e32 v14, v14, v16
	v_add_f32_e32 v14, v14, v15
	v_exp_f32_e32 v14, v14
	v_cvt_i32_f32_e32 v15, v16
	v_cmp_ngt_f32_e32 vcc, s80, v11
	v_ldexp_f32 v14, v14, v15
	v_cndmask_b32_e32 v14, 0, v14, vcc
	v_cmp_nlt_f32_e32 vcc, s77, v11
	v_cndmask_b32_e32 v14, v194, v14, vcc
	v_add_f32_e32 v15, v14, v10
	v_mov_b32_e32 v11, s37
	v_cndmask_b32_e64 v212, v11, v14, s[22:23]
	v_cndmask_b32_e64 v11, v10, v15, s[22:23]
	v_sub_f32_e32 v10, v12, v47
	v_mul_f32_e32 v12, 0x3fb8aa3b, v10
	v_fma_f32 v14, v10, s29, -v12
	v_rndne_f32_e32 v15, v12
	v_fmac_f32_e32 v14, 0x32a5705f, v10
	v_sub_f32_e32 v12, v12, v15
	v_add_f32_e32 v12, v12, v14
	v_exp_f32_e32 v12, v12
	v_cvt_i32_f32_e32 v14, v15
	v_cmp_ngt_f32_e32 vcc, s80, v10
	v_ldexp_f32 v12, v12, v14
	v_cndmask_b32_e32 v12, 0, v12, vcc
	v_cmp_nlt_f32_e32 vcc, s77, v10
	v_cndmask_b32_e32 v12, v194, v12, vcc
	v_add_f32_e32 v14, v12, v11
	v_mov_b32_e32 v10, s37
	v_cndmask_b32_e64 v12, v10, v12, s[24:25]
	v_cndmask_b32_e64 v10, v11, v14, s[24:25]
	v_sub_f32_e32 v11, v13, v47
	v_mul_f32_e32 v13, 0x3fb8aa3b, v11
	v_fma_f32 v14, v11, s29, -v13
	v_rndne_f32_e32 v15, v13
	v_fmac_f32_e32 v14, 0x32a5705f, v11
	v_sub_f32_e32 v13, v13, v15
	v_add_f32_e32 v13, v13, v14
	v_exp_f32_e32 v13, v13
	v_cvt_i32_f32_e32 v14, v15
	v_cmp_ngt_f32_e32 vcc, s80, v11
	v_ldexp_f32 v13, v13, v14
	v_cndmask_b32_e32 v13, 0, v13, vcc
	v_cmp_nlt_f32_e32 vcc, s77, v11
	v_cndmask_b32_e32 v13, v194, v13, vcc
	v_add_f32_e32 v11, v13, v10
	v_cndmask_b32_e64 v14, v10, v11, s[26:27]
	v_sub_f32_e32 v10, v206, v47
	v_mul_f32_e32 v11, 0x3fb8aa3b, v10
	v_fma_f32 v15, v10, s29, -v11
	v_rndne_f32_e32 v16, v11
	v_fmac_f32_e32 v15, 0x32a5705f, v10
	v_sub_f32_e32 v11, v11, v16
	v_add_f32_e32 v11, v11, v15
	v_exp_f32_e32 v11, v11
	v_cvt_i32_f32_e32 v15, v16
	v_cmp_ngt_f32_e32 vcc, s80, v10
	v_ldexp_f32 v11, v11, v15
	v_cndmask_b32_e32 v11, 0, v11, vcc
	v_cmp_nlt_f32_e32 vcc, s77, v10
	v_cndmask_b32_e32 v11, v194, v11, vcc
	v_cmp_le_f32_e32 vcc, s83, v10
	v_cndmask_b32_e32 v10, 0, v11, vcc
	v_fmac_f32_e32 v14, v205, v10
	v_cvt_f16_f32_e32 v10, v10
	v_mov_b32_e32 v11, s37
	v_cndmask_b32_e64 v13, v11, v13, s[26:27]
	v_pk_mul_f16 v197, v10, v197 op_sel_hi:[0,1]
	v_pk_mul_f16 v65, v10, v65 op_sel_hi:[0,1]
	;; [unrolled: 1-line block ×10, first 2 shown]
	v_cndmask_b32_e64 v198, v11, v207, s[18:19]
	v_cvt_f16_f32_e32 v10, v211
	v_cvt_f16_f32_e32 v11, v212
	;; [unrolled: 1-line block ×3, first 2 shown]
	v_mov_b32_e32 v203, s89
	v_pack_b32_f16 v10, v10, v11
	v_cvt_f16_f32_e32 v11, v12
	v_cvt_f16_f32_e32 v12, v13
	;; [unrolled: 1-line block ×3, first 2 shown]
	v_pack_b32_f16 v11, v11, v12
	v_cvt_f16_f32_e32 v12, v208
	v_pack_b32_f16 v12, v12, v13
	v_cvt_f16_f32_e32 v13, v210
	v_pack_b32_f16 v13, v13, v198
	v_add_co_u32_e32 v198, vcc, v56, v44
	v_addc_co_u32_e32 v201, vcc, 0, v1, vcc
	v_cndmask_b32_e64 v207, v203, v201, s[58:59]
	v_mov_b32_e32 v201, s88
	v_cndmask_b32_e64 v206, v201, v198, s[58:59]
	flat_load_dwordx4 v[206:209], v[206:207]
	v_add_co_u32_e32 v198, vcc, v58, v44
	v_addc_co_u32_e32 v204, vcc, 0, v19, vcc
	v_add_co_u32_e32 v54, vcc, s96, v54
	s_waitcnt vmcnt(0) lgkmcnt(0)
	ds_write_b128 v103, v[206:209]
	v_cndmask_b32_e64 v207, v203, v204, s[10:11]
	v_cndmask_b32_e64 v206, v201, v198, s[10:11]
	flat_load_dwordx4 v[206:209], v[206:207]
	s_waitcnt vmcnt(0) lgkmcnt(0)
	ds_write_b128 v183, v[206:209]
	s_waitcnt lgkmcnt(0)
	s_barrier
	ds_read_u16 v198, v89 offset:176
	ds_read_u16 v201, v89 offset:352
	v_cvt_f32_f16_e32 v208, v65
	v_cvt_f32_f16_sdwa v209, v65 dst_sel:DWORD dst_unused:UNUSED_PAD src0_sel:WORD_1
	ds_read_u16 v65, v90
	ds_read_u16 v203, v90 offset:32
	v_cvt_f32_f16_e32 v206, v197
	v_cvt_f32_f16_sdwa v207, v197 dst_sel:DWORD dst_unused:UNUSED_PAD src0_sel:WORD_1
	s_waitcnt lgkmcnt(1)
	v_perm_b32 v211, v65, v201, s81
	ds_read_u16 v65, v88
	ds_read_u16 v201, v88 offset:32
	s_waitcnt lgkmcnt(1)
	v_perm_b32 v210, v198, v65, s81
	s_nop 1
	v_mfma_f32_16x16x16f16 v[206:209], v[210:211], v[12:13], v[206:209]
	ds_read_u16 v210, v88 offset:5632
	ds_read_u16 v212, v178 offset:176
	;; [unrolled: 1-line block ×4, first 2 shown]
	s_waitcnt lgkmcnt(2)
	v_perm_b32 v210, v212, v210, s81
	s_waitcnt lgkmcnt(0)
	v_perm_b32 v211, v213, v211, s81
	s_nop 2
	v_cvt_f16_f32_e32 v65, v206
	v_cvt_f16_f32_e32 v197, v207
	;; [unrolled: 1-line block ×4, first 2 shown]
	v_cvt_f32_f16_e32 v206, v65
	v_cvt_f32_f16_e32 v207, v197
	;; [unrolled: 1-line block ×4, first 2 shown]
	s_nop 1
	v_mfma_f32_16x16x16f16 v[206:209], v[210:211], v[10:11], v[206:209]
	s_nop 7
	s_nop 2
	v_cvt_f16_f32_e32 v65, v206
	v_cvt_f16_f32_e32 v197, v207
	v_cvt_f16_f32_e32 v198, v208
	v_cvt_f16_f32_e32 v204, v209
	v_cvt_f32_f16_e32 v206, v63
	v_pack_b32_f16 v197, v65, v197
	v_cvt_f32_f16_sdwa v207, v63 dst_sel:DWORD dst_unused:UNUSED_PAD src0_sel:WORD_1
	v_pack_b32_f16 v65, v198, v204
	ds_read_u16 v198, v179 offset:176
	ds_read_u16 v208, v179 offset:352
	v_cvt_f32_f16_e32 v204, v205
	v_cvt_f32_f16_sdwa v205, v205 dst_sel:DWORD dst_unused:UNUSED_PAD src0_sel:WORD_1
	s_waitcnt lgkmcnt(0)
	v_perm_b32 v209, v203, v208, s81
	v_perm_b32 v208, v198, v201, s81
	s_nop 1
	v_mfma_f32_16x16x16f16 v[204:207], v[208:209], v[12:13], v[204:207]
	ds_read_u16 v208, v91 offset:5632
	ds_read_u16 v210, v92 offset:176
	;; [unrolled: 1-line block ×4, first 2 shown]
	s_waitcnt lgkmcnt(2)
	v_perm_b32 v208, v210, v208, s81
	s_waitcnt lgkmcnt(0)
	v_perm_b32 v209, v211, v209, s81
	s_nop 2
	v_cvt_f16_f32_e32 v63, v204
	v_cvt_f16_f32_e32 v198, v205
	;; [unrolled: 1-line block ×4, first 2 shown]
	v_cvt_f32_f16_e32 v204, v63
	v_cvt_f32_f16_e32 v205, v198
	;; [unrolled: 1-line block ×4, first 2 shown]
	s_nop 1
	v_mfma_f32_16x16x16f16 v[204:207], v[208:209], v[10:11], v[204:207]
	s_nop 7
	s_nop 2
	v_cvt_f16_f32_e32 v63, v204
	v_cvt_f16_f32_e32 v198, v205
	v_cvt_f16_f32_e32 v201, v206
	v_cvt_f16_f32_e32 v203, v207
	v_cvt_f32_f16_e32 v204, v200
	v_pack_b32_f16 v63, v63, v198
	v_cvt_f32_f16_sdwa v205, v200 dst_sel:DWORD dst_unused:UNUSED_PAD src0_sel:WORD_1
	v_pack_b32_f16 v198, v201, v203
	ds_read_u16 v203, v88 offset:64
	ds_read_u16 v208, v180 offset:176
	;; [unrolled: 1-line block ×4, first 2 shown]
	v_cvt_f32_f16_e32 v206, v199
	v_cvt_f32_f16_sdwa v207, v199 dst_sel:DWORD dst_unused:UNUSED_PAD src0_sel:WORD_1
	s_waitcnt lgkmcnt(2)
	v_perm_b32 v200, v208, v203, s81
	s_waitcnt lgkmcnt(0)
	v_perm_b32 v201, v209, v201, s81
	ds_read_u16 v208, v94 offset:5632
	ds_read_u16 v209, v95 offset:176
	;; [unrolled: 1-line block ×4, first 2 shown]
	v_mfma_f32_16x16x16f16 v[204:207], v[200:201], v[12:13], v[204:207]
	s_nop 7
	s_nop 2
	v_cvt_f16_f32_e32 v200, v205
	v_cvt_f16_f32_e32 v201, v206
	;; [unrolled: 1-line block ×4, first 2 shown]
	v_cvt_f32_f16_e32 v205, v200
	v_cvt_f32_f16_e32 v206, v201
	s_waitcnt lgkmcnt(0)
	v_perm_b32 v201, v211, v210, s81
	v_perm_b32 v200, v209, v208, s81
	v_cvt_f32_f16_e32 v204, v199
	v_cvt_f32_f16_e32 v207, v203
	s_nop 1
	v_mfma_f32_16x16x16f16 v[204:207], v[200:201], v[10:11], v[204:207]
	s_nop 7
	s_nop 2
	v_cvt_f16_f32_e32 v199, v204
	v_cvt_f16_f32_e32 v200, v205
	;; [unrolled: 1-line block ×4, first 2 shown]
	v_cvt_f32_f16_e32 v204, v202
	v_pack_b32_f16 v200, v199, v200
	v_cvt_f32_f16_sdwa v205, v202 dst_sel:DWORD dst_unused:UNUSED_PAD src0_sel:WORD_1
	v_pack_b32_f16 v199, v201, v203
	ds_read_u16 v201, v88 offset:96
	ds_read_u16 v208, v181 offset:176
	;; [unrolled: 1-line block ×4, first 2 shown]
	v_cvt_f32_f16_e32 v206, v17
	v_cvt_f32_f16_sdwa v207, v17 dst_sel:DWORD dst_unused:UNUSED_PAD src0_sel:WORD_1
	s_waitcnt lgkmcnt(2)
	v_perm_b32 v202, v208, v201, s81
	s_waitcnt lgkmcnt(0)
	v_perm_b32 v203, v209, v203, s81
	s_nop 1
	v_mfma_f32_16x16x16f16 v[202:205], v[202:203], v[12:13], v[204:207]
	s_nop 6
	ds_read_u16 v206, v97 offset:5632
	ds_read_u16 v208, v98 offset:176
	ds_read_u16 v207, v98 offset:352
	ds_read_u16 v209, v99 offset:5632
	s_waitcnt lgkmcnt(2)
	v_perm_b32 v206, v208, v206, s81
	s_waitcnt lgkmcnt(0)
	v_perm_b32 v207, v209, v207, s81
	v_cvt_f16_f32_e32 v17, v202
	v_cvt_f16_f32_e32 v201, v203
	;; [unrolled: 1-line block ×4, first 2 shown]
	v_cvt_f32_f16_e32 v202, v17
	v_cvt_f32_f16_e32 v203, v201
	;; [unrolled: 1-line block ×4, first 2 shown]
	s_nop 1
	v_mfma_f32_16x16x16f16 v[202:205], v[206:207], v[10:11], v[202:205]
	v_cvt_f32_f16_e32 v206, v15
	v_cvt_f32_f16_sdwa v207, v15 dst_sel:DWORD dst_unused:UNUSED_PAD src0_sel:WORD_1
	s_nop 7
	s_nop 0
	v_cvt_f16_f32_e32 v17, v202
	v_cvt_f16_f32_e32 v201, v203
	;; [unrolled: 1-line block ×4, first 2 shown]
	v_cvt_f32_f16_sdwa v205, v16 dst_sel:DWORD dst_unused:UNUSED_PAD src0_sel:WORD_1
	v_pack_b32_f16 v202, v17, v201
	v_pack_b32_f16 v201, v203, v204
	ds_read_u16 v203, v88 offset:128
	ds_read_u16 v208, v182 offset:176
	;; [unrolled: 1-line block ×4, first 2 shown]
	v_cvt_f32_f16_e32 v204, v16
	s_waitcnt lgkmcnt(2)
	v_perm_b32 v16, v208, v203, s81
	s_waitcnt lgkmcnt(0)
	v_perm_b32 v17, v209, v17, s81
	s_nop 1
	v_mfma_f32_16x16x16f16 v[204:207], v[16:17], v[12:13], v[204:207]
	ds_read_u16 v17, v100 offset:5632
	ds_read_u16 v203, v101 offset:176
	;; [unrolled: 1-line block ×4, first 2 shown]
	s_waitcnt lgkmcnt(0)
	s_barrier
	s_nop 4
	v_cvt_f16_f32_e32 v12, v204
	v_cvt_f16_f32_e32 v13, v205
	v_cvt_f16_f32_e32 v15, v206
	v_cvt_f16_f32_e32 v16, v207
	v_cvt_f32_f16_e32 v204, v12
	v_cvt_f32_f16_e32 v205, v13
	v_perm_b32 v13, v209, v208, s81
	v_perm_b32 v12, v203, v17, s81
	v_cvt_f32_f16_e32 v206, v15
	v_cvt_f32_f16_e32 v207, v16
	s_nop 1
	v_mfma_f32_16x16x16f16 v[10:13], v[12:13], v[10:11], v[204:207]
	s_nop 7
	s_nop 2
	v_cvt_f16_f32_e32 v10, v10
	v_cvt_f16_f32_e32 v11, v11
	;; [unrolled: 1-line block ×4, first 2 shown]
	v_pack_b32_f16 v204, v10, v11
	v_mov_b32_e32 v10, s97
	v_addc_co_u32_e32 v55, vcc, v55, v10, vcc
	v_add_co_u32_e32 v56, vcc, s96, v56
	v_addc_co_u32_e32 v1, vcc, v1, v10, vcc
	v_add_co_u32_e32 v58, vcc, s96, v58
	;; [unrolled: 2-line block ×3, first 2 shown]
	v_mov_b32_e32 v10, s31
	v_addc_co_u32_e32 v61, vcc, v61, v10, vcc
	v_add_co_u32_e32 v62, vcc, s30, v62
	v_addc_co_u32_e32 v21, vcc, v21, v10, vcc
	v_add_co_u32_e32 v64, vcc, s30, v64
	;; [unrolled: 2-line block ×10, first 2 shown]
	v_pack_b32_f16 v203, v12, v13
	v_addc_co_u32_e32 v81, vcc, 0, v81, vcc
	s_cbranch_scc0 .LBB9_166
; %bb.165:                              ;   in Loop: Header=BB9_158 Depth=2
	v_mov_b32_e32 v205, v14
	v_mov_b32_e32 v206, v47
	v_cndmask_b32_e64 v10, 0, 1, s[38:39]
	v_cmp_ne_u32_e64 s[40:41], 1, v10
	s_andn2_b64 vcc, exec, s[38:39]
	s_cbranch_vccz .LBB9_153
	s_branch .LBB9_158
.LBB9_166:                              ;   in Loop: Header=BB9_14 Depth=1
	s_lshl_b32 s36, s36, 6
	v_readlane_b32 s38, v215, 4
	v_cmp_eq_u64_e32 vcc, 0, v[48:49]
	s_sub_i32 s60, s38, s36
	v_cmp_ne_u64_e64 s[42:43], 0, v[48:49]
	v_readlane_b32 s39, v215, 5
	s_cbranch_vccnz .LBB9_176
; %bb.167:                              ;   in Loop: Header=BB9_14 Depth=1
	v_cmp_le_i32_e32 vcc, s60, v18
                                        ; implicit-def: $sgpr44
	s_and_saveexec_b64 s[38:39], vcc
	s_xor_b64 s[38:39], exec, s[38:39]
	s_cbranch_execz .LBB9_169
; %bb.168:                              ;   in Loop: Header=BB9_14 Depth=1
	ds_write_b16 v118, v163 offset:11264
	ds_write_b16 v165, v163 offset:11264
	s_mov_b32 s44, 0
.LBB9_169:                              ;   in Loop: Header=BB9_14 Depth=1
	s_or_saveexec_b64 s[40:41], s[38:39]
	s_lshl_b64 s[38:39], s[36:37], 1
	v_mov_b32_e32 v1, s39
	v_add_co_u32_e64 v10, s[38:39], s38, v48
	v_addc_co_u32_e64 v11, s[38:39], v49, v1, s[38:39]
	v_lshlrev_b32_e32 v1, 1, v18
	v_add_co_u32_e64 v1, s[38:39], v10, v1
	v_addc_co_u32_e64 v10, s[38:39], 0, v11, s[38:39]
	v_mov_b32_e32 v11, s44
	v_mov_b32_e32 v12, s44
	s_xor_b64 exec, exec, s[40:41]
	s_cbranch_execz .LBB9_171
; %bb.170:                              ;   in Loop: Header=BB9_14 Depth=1
	v_add_u32_e32 v11, s9, v82
	v_mul_hi_u32 v12, s90, v11
	v_add_u32_e32 v12, v11, v12
	v_lshrrev_b32_e32 v12, s91, v12
	v_mul_lo_u32 v12, v12, s76
	v_sub_u32_e32 v11, v11, v12
	v_mad_i64_i32 v[12:13], s[38:39], v11, s66, 0
	v_lshlrev_b64 v[12:13], 1, v[12:13]
	v_add_co_u32_e64 v12, s[38:39], v1, v12
	v_addc_co_u32_e64 v13, s[38:39], v10, v13, s[38:39]
	flat_load_ushort v11, v[12:13]
	v_add_u32_e32 v12, s9, v164
	v_mul_hi_u32 v13, s90, v12
	v_add_u32_e32 v13, v12, v13
	v_lshrrev_b32_e32 v13, s91, v13
	v_mul_lo_u32 v13, v13, s76
	v_sub_u32_e32 v12, v12, v13
	v_mad_i64_i32 v[12:13], s[38:39], v12, s66, 0
	v_lshlrev_b64 v[12:13], 1, v[12:13]
	v_add_co_u32_e64 v12, s[38:39], v1, v12
	v_addc_co_u32_e64 v13, s[38:39], v10, v13, s[38:39]
	flat_load_ushort v12, v[12:13]
	s_waitcnt vmcnt(0) lgkmcnt(0)
	ds_write_b16 v118, v11 offset:11264
	ds_write_b16 v165, v12 offset:11264
	v_add_u32_e32 v11, s9, v166
	v_mul_hi_u32 v12, s90, v11
	v_add_u32_e32 v12, v11, v12
	v_lshrrev_b32_e32 v12, s91, v12
	v_mul_lo_u32 v12, v12, s76
	v_sub_u32_e32 v11, v11, v12
	v_mad_i64_i32 v[12:13], s[38:39], v11, s66, 0
	v_lshlrev_b64 v[12:13], 1, v[12:13]
	v_add_co_u32_e64 v12, s[38:39], v1, v12
	v_addc_co_u32_e64 v13, s[38:39], v10, v13, s[38:39]
	flat_load_ushort v11, v[12:13]
	v_add_u32_e32 v12, s9, v168
	v_mul_hi_u32 v13, s90, v12
	v_add_u32_e32 v13, v12, v13
	v_lshrrev_b32_e32 v13, s91, v13
	v_mul_lo_u32 v13, v13, s76
	v_sub_u32_e32 v12, v12, v13
	v_mad_i64_i32 v[12:13], s[38:39], v12, s66, 0
	v_lshlrev_b64 v[12:13], 1, v[12:13]
	v_add_co_u32_e64 v12, s[38:39], v1, v12
	v_addc_co_u32_e64 v13, s[38:39], v10, v13, s[38:39]
	flat_load_ushort v12, v[12:13]
.LBB9_171:                              ;   in Loop: Header=BB9_14 Depth=1
	s_or_b64 exec, exec, s[40:41]
	s_waitcnt vmcnt(0) lgkmcnt(0)
	ds_write_b16 v167, v11 offset:11264
	ds_write_b16 v169, v12 offset:11264
                                        ; implicit-def: $sgpr40
	s_and_saveexec_b64 s[38:39], vcc
	s_xor_b64 s[38:39], exec, s[38:39]
	s_cbranch_execz .LBB9_173
; %bb.172:                              ;   in Loop: Header=BB9_14 Depth=1
	ds_write_b16 v171, v163 offset:11264
	ds_write_b16 v173, v163 offset:11264
	s_mov_b32 s40, 0
                                        ; implicit-def: $vgpr1
                                        ; implicit-def: $vgpr10
.LBB9_173:                              ;   in Loop: Header=BB9_14 Depth=1
	s_or_saveexec_b64 s[38:39], s[38:39]
	v_mov_b32_e32 v11, s40
	v_mov_b32_e32 v12, s40
	s_xor_b64 exec, exec, s[38:39]
	s_cbranch_execz .LBB9_175
; %bb.174:                              ;   in Loop: Header=BB9_14 Depth=1
	v_add_u32_e32 v11, s9, v170
	v_mul_hi_u32 v12, s90, v11
	v_add_u32_e32 v12, v11, v12
	v_lshrrev_b32_e32 v12, s91, v12
	v_mul_lo_u32 v12, v12, s76
	v_sub_u32_e32 v11, v11, v12
	v_mad_i64_i32 v[12:13], s[40:41], v11, s66, 0
	v_lshlrev_b64 v[12:13], 1, v[12:13]
	v_add_co_u32_e32 v12, vcc, v1, v12
	v_addc_co_u32_e32 v13, vcc, v10, v13, vcc
	flat_load_ushort v11, v[12:13]
	v_add_u32_e32 v12, s9, v172
	v_mul_hi_u32 v13, s90, v12
	v_add_u32_e32 v13, v12, v13
	v_lshrrev_b32_e32 v13, s91, v13
	v_mul_lo_u32 v13, v13, s76
	v_sub_u32_e32 v12, v12, v13
	v_mad_i64_i32 v[12:13], s[40:41], v12, s66, 0
	v_lshlrev_b64 v[12:13], 1, v[12:13]
	v_add_co_u32_e32 v12, vcc, v1, v12
	v_addc_co_u32_e32 v13, vcc, v10, v13, vcc
	flat_load_ushort v12, v[12:13]
	s_waitcnt vmcnt(0) lgkmcnt(0)
	ds_write_b16 v171, v11 offset:11264
	ds_write_b16 v173, v12 offset:11264
	v_add_u32_e32 v11, s9, v174
	v_mul_hi_u32 v12, s90, v11
	v_add_u32_e32 v12, v11, v12
	v_lshrrev_b32_e32 v12, s91, v12
	v_mul_lo_u32 v12, v12, s76
	v_sub_u32_e32 v11, v11, v12
	v_mad_i64_i32 v[12:13], s[40:41], v11, s66, 0
	v_lshlrev_b64 v[12:13], 1, v[12:13]
	v_add_co_u32_e32 v12, vcc, v1, v12
	v_addc_co_u32_e32 v13, vcc, v10, v13, vcc
	flat_load_ushort v11, v[12:13]
	v_add_u32_e32 v12, s9, v176
	v_mul_hi_u32 v13, s90, v12
	v_add_u32_e32 v13, v12, v13
	v_lshrrev_b32_e32 v13, s91, v13
	v_mul_lo_u32 v13, v13, s76
	v_sub_u32_e32 v12, v12, v13
	v_mad_i64_i32 v[12:13], s[40:41], v12, s66, 0
	v_lshlrev_b64 v[12:13], 1, v[12:13]
	v_add_co_u32_e32 v12, vcc, v1, v12
	v_addc_co_u32_e32 v13, vcc, v10, v13, vcc
	flat_load_ushort v12, v[12:13]
.LBB9_175:                              ;   in Loop: Header=BB9_14 Depth=1
	s_or_b64 exec, exec, s[38:39]
	s_waitcnt vmcnt(0) lgkmcnt(0)
	ds_write_b16 v175, v11 offset:11264
	ds_write_b16 v177, v12 offset:11264
.LBB9_176:                              ;   in Loop: Header=BB9_14 Depth=1
	s_mul_i32 s38, s36, s93
	s_mul_hi_u32 s39, s36, s92
	s_add_i32 s39, s39, s38
	s_mul_i32 s38, s36, s92
	s_lshl_b64 s[38:39], s[38:39], 2
	s_add_u32 s44, s84, s38
	s_addc_u32 s28, s28, s39
	buffer_store_dword v163, off, s[0:3], 0
	buffer_store_dword v163, off, s[0:3], 0 offset:4
	buffer_store_dword v163, off, s[0:3], 0 offset:8
	;; [unrolled: 1-line block ×3, first 2 shown]
	s_and_saveexec_b64 s[38:39], s[6:7]
	s_cbranch_execz .LBB9_178
; %bb.177:                              ;   in Loop: Header=BB9_14 Depth=1
	v_mov_b32_e32 v1, s28
	v_add_co_u32_e32 v10, vcc, s44, v28
	v_addc_co_u32_e32 v1, vcc, v1, v29, vcc
	v_lshlrev_b32_e32 v11, 2, v20
	v_add_co_u32_e32 v10, vcc, v10, v11
	v_addc_co_u32_e32 v1, vcc, 0, v1, vcc
	v_add_co_u32_e32 v10, vcc, 0x80, v10
	v_addc_co_u32_e32 v1, vcc, 0, v1, vcc
	v_mov_b32_e32 v11, s89
	v_cmp_gt_i32_e32 vcc, s60, v45
	v_cndmask_b32_e32 v11, v11, v1, vcc
	v_mov_b32_e32 v1, s88
	v_cndmask_b32_e32 v10, v1, v10, vcc
	flat_load_dwordx4 v[10:13], v[10:11]
	s_waitcnt vmcnt(0) lgkmcnt(0)
	ds_write_b128 v87, v[10:13]
.LBB9_178:                              ;   in Loop: Header=BB9_14 Depth=1
	s_or_b64 exec, exec, s[38:39]
	v_mov_b32_e32 v1, s28
	v_add_co_u32_e32 v10, vcc, s44, v40
	v_addc_co_u32_e32 v11, vcc, v1, v41, vcc
	v_lshlrev_b32_e32 v1, 2, v22
	v_add_co_u32_e32 v10, vcc, v10, v1
	v_addc_co_u32_e32 v11, vcc, 0, v11, vcc
	v_mov_b32_e32 v15, s89
	v_cmp_gt_i32_e64 s[40:41], s60, v33
	v_mov_b32_e32 v16, s88
	v_cndmask_b32_e64 v11, v15, v11, s[40:41]
	v_cndmask_b32_e64 v10, v16, v10, s[40:41]
	flat_load_dwordx4 v[10:13], v[10:11]
	v_mov_b32_e32 v17, s28
	v_add_co_u32_e32 v19, vcc, s44, v42
	v_addc_co_u32_e32 v17, vcc, v17, v43, vcc
	v_add_co_u32_e32 v19, vcc, v19, v1
	v_addc_co_u32_e32 v17, vcc, 0, v17, vcc
	v_cmp_gt_i32_e64 s[38:39], s60, v126
	v_cndmask_b32_e64 v17, v15, v17, s[38:39]
	v_cndmask_b32_e64 v16, v16, v19, s[38:39]
	v_add_u32_e32 v15, v35, v120
	s_andn2_b64 vcc, exec, s[42:43]
	s_waitcnt vmcnt(0) lgkmcnt(0)
	ds_write_b128 v103, v[10:13]
	flat_load_dwordx4 v[10:13], v[16:17]
	v_add_u32_e32 v16, 0x1000, v15
	s_waitcnt vmcnt(0) lgkmcnt(0)
	ds_write_b128 v183, v[10:13]
	s_waitcnt lgkmcnt(0)
	s_barrier
	ds_read2_b64 v[10:13], v15 offset1:4
	ds_read2_b64 v[56:59], v16 offset0:192 offset1:196
	s_waitcnt lgkmcnt(1)
	v_mfma_f32_16x16x16f16 v[52:55], v[10:11], v[6:7], 0
	s_waitcnt lgkmcnt(0)
	v_mfma_f32_16x16x16f16 v[66:69], v[56:57], v[6:7], 0
	v_mfma_f32_16x16x16f16 v[10:13], v[12:13], v[8:9], v[52:55]
	;; [unrolled: 1-line block ×3, first 2 shown]
	s_nop 6
	ds_read2_b64 v[52:55], v15 offset0:8 offset1:12
	ds_read2_b64 v[56:59], v16 offset0:200 offset1:204
	s_waitcnt lgkmcnt(1)
	v_mfma_f32_16x16x16f16 v[10:13], v[52:53], v[2:3], v[10:13]
	s_waitcnt lgkmcnt(0)
	v_mfma_f32_16x16x16f16 v[6:9], v[56:57], v[2:3], v[6:9]
	v_mfma_f32_16x16x16f16 v[10:13], v[54:55], v[4:5], v[10:13]
	;; [unrolled: 1-line block ×3, first 2 shown]
	s_nop 7
	s_nop 0
	ds_read_b64 v[6:7], v15 offset:128
	ds_read_b64 v[16:17], v15 offset:5760
	s_waitcnt lgkmcnt(0)
	s_barrier
	v_mfma_f32_16x16x16f16 v[6:9], v[6:7], v[50:51], v[10:13]
	v_mfma_f32_16x16x16f16 v[2:5], v[16:17], v[50:51], v[2:5]
	s_cbranch_vccnz .LBB9_180
; %bb.179:                              ;   in Loop: Header=BB9_14 Depth=1
	s_nop 4
	v_add_u32_e32 v10, 0x2c00, v121
	ds_read2_b32 v[10:11], v10 offset1:1
	s_waitcnt lgkmcnt(0)
	v_cvt_f32_f16_e32 v12, v10
	v_cvt_f32_f16_sdwa v13, v10 dst_sel:DWORD dst_unused:UNUSED_PAD src0_sel:WORD_1
	v_cvt_f32_f16_e32 v10, v11
	v_cvt_f32_f16_sdwa v11, v11 dst_sel:DWORD dst_unused:UNUSED_PAD src0_sel:WORD_1
	v_pk_fma_f32 v[6:7], v[46:47], v[12:13], v[6:7] op_sel_hi:[0,1,1]
	ds_read_b32 v12, v125 offset:11264
	v_pk_fma_f32 v[8:9], v[46:47], v[10:11], v[8:9] op_sel_hi:[0,1,1]
	ds_read_b32 v10, v123 offset:11264
	s_waitcnt lgkmcnt(1)
	v_cvt_f32_f16_sdwa v13, v12 dst_sel:DWORD dst_unused:UNUSED_PAD src0_sel:WORD_1
	v_cvt_f32_f16_e32 v12, v12
	s_waitcnt lgkmcnt(0)
	v_cvt_f32_f16_sdwa v11, v10 dst_sel:DWORD dst_unused:UNUSED_PAD src0_sel:WORD_1
	v_cvt_f32_f16_e32 v10, v10
	v_pk_fma_f32 v[4:5], v[46:47], v[12:13], v[4:5] op_sel_hi:[0,1,1]
	v_pk_fma_f32 v[2:3], v[46:47], v[10:11], v[2:3] op_sel_hi:[0,1,1]
.LBB9_180:                              ;   in Loop: Header=BB9_14 Depth=1
	s_nop 7
	s_nop 0
	v_add_f32_e32 v10, 0x40051340, v6
	v_max_f32_e32 v11, v47, v47
	v_max_f32_e32 v10, v11, v10
	v_cmp_gt_u32_e64 s[56:57], s60, v119
	v_cndmask_b32_e64 v10, v47, v10, s[56:57]
	v_add_f32_e32 v11, 0x40051340, v7
	v_max_f32_e32 v12, v10, v10
	v_max_f32_e32 v11, v12, v11
	v_cmp_gt_u32_e64 s[54:55], s60, v184
	v_cndmask_b32_e64 v10, v10, v11, s[54:55]
	;; [unrolled: 5-line block ×8, first 2 shown]
	v_and_b32_e32 v11, 64, v196
	v_add_u32_e32 v12, 64, v11
	v_xor_b32_e32 v11, 32, v196
	v_cmp_lt_i32_e32 vcc, v11, v12
	v_cndmask_b32_e32 v11, v196, v11, vcc
	v_lshlrev_b32_e32 v11, 2, v11
	ds_bpermute_b32 v13, v11, v10
	v_max_f32_e32 v10, v10, v10
	s_mul_i32 s28, s36, s79
	s_mul_hi_u32 s61, s36, s78
	s_add_i32 s63, s61, s28
	s_waitcnt lgkmcnt(0)
	v_max_f32_e32 v13, v13, v13
	v_max_f32_e32 v10, v10, v13
	v_xor_b32_e32 v13, 16, v196
	v_cmp_lt_i32_e32 vcc, v13, v12
	v_cndmask_b32_e32 v12, v196, v13, vcc
	v_lshlrev_b32_e32 v15, 2, v12
	ds_bpermute_b32 v12, v15, v10
	s_mul_i32 s62, s36, s78
	s_lshl_b64 s[62:63], s[62:63], 2
	s_add_u32 s36, s95, s62
	s_addc_u32 s28, s87, s63
	buffer_store_dword v163, off, s[0:3], 0
	buffer_store_dword v163, off, s[0:3], 0 offset:4
	buffer_store_dword v163, off, s[0:3], 0 offset:8
	;; [unrolled: 1-line block ×3, first 2 shown]
	s_and_saveexec_b64 s[98:99], s[6:7]
	s_cbranch_execz .LBB9_182
; %bb.181:                              ;   in Loop: Header=BB9_14 Depth=1
	v_mov_b32_e32 v13, s28
	v_add_co_u32_e32 v16, vcc, s36, v26
	v_addc_co_u32_e32 v13, vcc, v13, v27, vcc
	v_lshlrev_b32_e32 v17, 2, v20
	v_add_co_u32_e32 v16, vcc, v16, v17
	v_addc_co_u32_e32 v13, vcc, 0, v13, vcc
	v_add_co_u32_e32 v16, vcc, 0x80, v16
	v_addc_co_u32_e32 v13, vcc, 0, v13, vcc
	v_mov_b32_e32 v17, s89
	v_cmp_gt_i32_e32 vcc, s60, v45
	v_cndmask_b32_e32 v17, v17, v13, vcc
	v_mov_b32_e32 v13, s88
	v_cndmask_b32_e32 v16, v13, v16, vcc
	flat_load_dwordx4 v[48:51], v[16:17]
	s_waitcnt vmcnt(0) lgkmcnt(0)
	ds_write_b128 v87, v[48:51]
.LBB9_182:                              ;   in Loop: Header=BB9_14 Depth=1
	s_or_b64 exec, exec, s[98:99]
	s_waitcnt lgkmcnt(0)
	v_max_f32_e32 v12, v12, v12
	v_max_f32_e32 v10, v10, v10
	;; [unrolled: 1-line block ×3, first 2 shown]
	v_sub_f32_e32 v6, v6, v10
	v_mul_f32_e32 v12, 0x3fb8aa3b, v6
	v_fma_f32 v13, v6, s29, -v12
	v_rndne_f32_e32 v16, v12
	v_fmac_f32_e32 v13, 0x32a5705f, v6
	v_sub_f32_e32 v12, v12, v16
	v_add_f32_e32 v12, v12, v13
	v_exp_f32_e32 v12, v12
	v_cvt_i32_f32_e32 v13, v16
	v_cmp_ngt_f32_e32 vcc, s80, v6
	v_cndmask_b32_e64 v8, v8, v8, s[54:55]
	v_cndmask_b32_e64 v9, v9, v9, s[54:55]
	v_ldexp_f32 v12, v12, v13
	v_cndmask_b32_e32 v12, 0, v12, vcc
	v_cmp_nlt_f32_e32 vcc, s77, v6
	v_cndmask_b32_e32 v6, v194, v12, vcc
	v_cndmask_b32_e64 v46, 0, v6, s[56:57]
	v_sub_f32_e32 v6, v7, v10
	v_mul_f32_e32 v7, 0x3fb8aa3b, v6
	v_fma_f32 v12, v6, s29, -v7
	v_rndne_f32_e32 v13, v7
	v_fmac_f32_e32 v12, 0x32a5705f, v6
	v_sub_f32_e32 v7, v7, v13
	v_add_f32_e32 v7, v7, v12
	v_exp_f32_e32 v7, v7
	v_cvt_i32_f32_e32 v12, v13
	v_cmp_ngt_f32_e32 vcc, s80, v6
	v_sub_f32_e32 v2, v2, v10
	v_cndmask_b32_e64 v3, v3, v3, s[50:51]
	v_ldexp_f32 v7, v7, v12
	v_cndmask_b32_e32 v7, 0, v7, vcc
	v_cmp_nlt_f32_e32 vcc, s77, v6
	v_cndmask_b32_e32 v6, v194, v7, vcc
	v_mov_b32_e32 v7, s37
	v_add_f32_e32 v12, v6, v46
	v_cndmask_b32_e64 v23, v7, v6, s[54:55]
	v_sub_f32_e32 v6, v8, v10
	v_mul_f32_e32 v8, 0x3fb8aa3b, v6
	v_cndmask_b32_e64 v7, v46, v12, s[54:55]
	v_fma_f32 v12, v6, s29, -v8
	v_rndne_f32_e32 v13, v8
	v_fmac_f32_e32 v12, 0x32a5705f, v6
	v_sub_f32_e32 v8, v8, v13
	v_add_f32_e32 v8, v8, v12
	v_exp_f32_e32 v8, v8
	v_cvt_i32_f32_e32 v12, v13
	v_cmp_ngt_f32_e32 vcc, s80, v6
	v_sub_f32_e32 v3, v3, v10
	v_cndmask_b32_e64 v4, v4, v4, s[50:51]
	v_ldexp_f32 v8, v8, v12
	v_cndmask_b32_e32 v8, 0, v8, vcc
	v_cmp_nlt_f32_e32 vcc, s77, v6
	v_cndmask_b32_e32 v8, v194, v8, vcc
	v_add_f32_e32 v12, v7, v8
	v_mov_b32_e32 v6, s37
	v_cndmask_b32_e64 v48, v6, v8, s[52:53]
	v_cndmask_b32_e64 v6, v7, v12, s[52:53]
	v_sub_f32_e32 v7, v9, v10
	v_mul_f32_e32 v8, 0x3fb8aa3b, v7
	v_fma_f32 v9, v7, s29, -v8
	v_rndne_f32_e32 v12, v8
	v_fmac_f32_e32 v9, 0x32a5705f, v7
	v_sub_f32_e32 v8, v8, v12
	v_add_f32_e32 v8, v8, v9
	v_exp_f32_e32 v8, v8
	v_cvt_i32_f32_e32 v9, v12
	v_cmp_ngt_f32_e32 vcc, s80, v7
	v_cndmask_b32_e64 v5, v5, v5, s[50:51]
	s_cmp_eq_u64 s[34:35], 0
	v_ldexp_f32 v8, v8, v9
	v_cndmask_b32_e32 v8, 0, v8, vcc
	v_cmp_nlt_f32_e32 vcc, s77, v7
	v_cndmask_b32_e32 v49, v194, v8, vcc
	v_add_f32_e32 v7, v6, v49
	v_cndmask_b32_e64 v6, v6, v7, s[42:43]
	v_mul_f32_e32 v7, 0x3fb8aa3b, v2
	v_fma_f32 v8, v2, s29, -v7
	v_rndne_f32_e32 v9, v7
	v_fmac_f32_e32 v8, 0x32a5705f, v2
	v_sub_f32_e32 v7, v7, v9
	v_add_f32_e32 v7, v7, v8
	v_exp_f32_e32 v7, v7
	v_cvt_i32_f32_e32 v8, v9
	v_cmp_ngt_f32_e32 vcc, s80, v2
	v_ldexp_f32 v7, v7, v8
	v_cndmask_b32_e32 v7, 0, v7, vcc
	v_cmp_nlt_f32_e32 vcc, s77, v2
	v_cndmask_b32_e32 v7, v194, v7, vcc
	v_add_f32_e32 v8, v7, v6
	v_mov_b32_e32 v2, s37
	v_cndmask_b32_e64 v50, v2, v7, s[50:51]
	v_cndmask_b32_e64 v2, v6, v8, s[50:51]
	v_mul_f32_e32 v6, 0x3fb8aa3b, v3
	v_fma_f32 v7, v3, s29, -v6
	v_rndne_f32_e32 v8, v6
	v_fmac_f32_e32 v7, 0x32a5705f, v3
	v_sub_f32_e32 v6, v6, v8
	v_add_f32_e32 v6, v6, v7
	v_exp_f32_e32 v6, v6
	v_cvt_i32_f32_e32 v7, v8
	v_cmp_ngt_f32_e32 vcc, s80, v3
	v_ldexp_f32 v6, v6, v7
	v_cndmask_b32_e32 v6, 0, v6, vcc
	v_cmp_nlt_f32_e32 vcc, s77, v3
	v_cndmask_b32_e32 v6, v194, v6, vcc
	v_add_f32_e32 v7, v6, v2
	v_mov_b32_e32 v3, s37
	v_cndmask_b32_e64 v51, v3, v6, s[48:49]
	v_cndmask_b32_e64 v3, v2, v7, s[48:49]
	v_sub_f32_e32 v2, v4, v10
	v_mul_f32_e32 v4, 0x3fb8aa3b, v2
	v_fma_f32 v6, v2, s29, -v4
	v_rndne_f32_e32 v7, v4
	v_fmac_f32_e32 v6, 0x32a5705f, v2
	v_sub_f32_e32 v4, v4, v7
	v_add_f32_e32 v4, v4, v6
	v_exp_f32_e32 v4, v4
	v_cvt_i32_f32_e32 v6, v7
	v_cmp_ngt_f32_e32 vcc, s80, v2
	v_ldexp_f32 v4, v4, v6
	v_cndmask_b32_e32 v4, 0, v4, vcc
	v_cmp_nlt_f32_e32 vcc, s77, v2
	v_cndmask_b32_e32 v4, v194, v4, vcc
	v_add_f32_e32 v6, v4, v3
	v_mov_b32_e32 v2, s37
	v_cndmask_b32_e64 v4, v2, v4, s[46:47]
	v_cndmask_b32_e64 v2, v3, v6, s[46:47]
	v_sub_f32_e32 v3, v5, v10
	v_mul_f32_e32 v5, 0x3fb8aa3b, v3
	v_fma_f32 v6, v3, s29, -v5
	v_rndne_f32_e32 v7, v5
	v_fmac_f32_e32 v6, 0x32a5705f, v3
	v_sub_f32_e32 v5, v5, v7
	v_add_f32_e32 v5, v5, v6
	v_exp_f32_e32 v5, v5
	v_cvt_i32_f32_e32 v6, v7
	v_cmp_ngt_f32_e32 vcc, s80, v3
	v_ldexp_f32 v5, v5, v6
	v_cndmask_b32_e32 v5, 0, v5, vcc
	v_cmp_nlt_f32_e32 vcc, s77, v3
	v_cndmask_b32_e32 v5, v194, v5, vcc
	v_add_f32_e32 v3, v5, v2
	v_cndmask_b32_e64 v16, v2, v3, s[44:45]
	v_sub_f32_e32 v2, v47, v10
	v_mul_f32_e32 v3, 0x3fb8aa3b, v2
	v_fma_f32 v6, v2, s29, -v3
	v_rndne_f32_e32 v7, v3
	v_fmac_f32_e32 v6, 0x32a5705f, v2
	v_sub_f32_e32 v3, v3, v7
	v_add_f32_e32 v3, v3, v6
	v_exp_f32_e32 v3, v3
	v_cvt_i32_f32_e32 v6, v7
	v_cmp_ngt_f32_e32 vcc, s80, v2
	v_ldexp_f32 v3, v3, v6
	v_cndmask_b32_e32 v3, 0, v3, vcc
	v_cmp_nlt_f32_e32 vcc, s77, v2
	v_cndmask_b32_e32 v3, v194, v3, vcc
	v_cmp_le_f32_e32 vcc, s83, v2
	v_cndmask_b32_e32 v2, 0, v3, vcc
	v_fmac_f32_e32 v16, v14, v2
	v_cvt_f16_f32_e32 v2, v2
	v_mov_b32_e32 v3, s37
	v_cndmask_b32_e64 v5, v3, v5, s[44:45]
	v_cndmask_b32_e64 v47, v3, v49, s[42:43]
	v_pk_mul_f16 v21, v2, v197 op_sel_hi:[0,1]
	v_pk_mul_f16 v6, v2, v65 op_sel_hi:[0,1]
	;; [unrolled: 1-line block ×10, first 2 shown]
	v_cvt_f16_f32_e32 v2, v50
	v_cvt_f16_f32_e32 v3, v51
	v_mov_b32_e32 v50, s89
	v_mov_b32_e32 v51, s88
	v_readlane_b32 s44, v214, 4
	v_pack_b32_f16 v2, v2, v3
	v_cvt_f16_f32_e32 v3, v4
	v_cvt_f16_f32_e32 v4, v5
	;; [unrolled: 1-line block ×4, first 2 shown]
	v_readlane_b32 s45, v214, 5
	v_pack_b32_f16 v3, v3, v4
	v_cvt_f16_f32_e32 v4, v46
	v_mov_b32_e32 v46, s28
	v_pack_b32_f16 v4, v4, v5
	v_cvt_f16_f32_e32 v5, v48
	v_pack_b32_f16 v5, v5, v23
	v_add_co_u32_e32 v23, vcc, s36, v36
	v_addc_co_u32_e32 v46, vcc, v46, v37, vcc
	v_add_co_u32_e32 v23, vcc, v23, v1
	v_addc_co_u32_e32 v46, vcc, 0, v46, vcc
	v_cndmask_b32_e64 v47, v50, v46, s[40:41]
	v_cndmask_b32_e64 v46, v51, v23, s[40:41]
	flat_load_dwordx4 v[46:49], v[46:47]
	v_add_co_u32_e32 v23, vcc, s36, v38
	s_waitcnt vmcnt(0) lgkmcnt(0)
	ds_write_b128 v103, v[46:49]
	v_mov_b32_e32 v46, s28
	v_addc_co_u32_e32 v46, vcc, v46, v39, vcc
	v_add_co_u32_e32 v1, vcc, v23, v1
	v_addc_co_u32_e32 v23, vcc, 0, v46, vcc
	v_cndmask_b32_e64 v47, v50, v23, s[38:39]
	v_cndmask_b32_e64 v46, v51, v1, s[38:39]
	flat_load_dwordx4 v[46:49], v[46:47]
	s_cselect_b64 s[38:39], -1, 0
	s_xor_b64 s[40:41], s[44:45], -1
	s_or_b64 s[38:39], s[40:41], s[38:39]
	s_waitcnt vmcnt(0) lgkmcnt(0)
	ds_write_b128 v183, v[46:49]
	s_waitcnt lgkmcnt(0)
	s_barrier
	ds_read_u16 v1, v89 offset:176
	ds_read_u16 v23, v89 offset:352
	v_cvt_f32_f16_e32 v46, v21
	v_cvt_f32_f16_sdwa v47, v21 dst_sel:DWORD dst_unused:UNUSED_PAD src0_sel:WORD_1
	v_cvt_f32_f16_e32 v48, v6
	v_cvt_f32_f16_sdwa v49, v6 dst_sel:DWORD dst_unused:UNUSED_PAD src0_sel:WORD_1
	ds_read_u16 v6, v90
	ds_read_u16 v21, v90 offset:32
	s_waitcnt lgkmcnt(1)
	v_perm_b32 v51, v6, v23, s81
	ds_read_u16 v6, v88
	ds_read_u16 v23, v88 offset:32
	s_waitcnt lgkmcnt(1)
	v_perm_b32 v50, v1, v6, s81
	s_nop 1
	v_mfma_f32_16x16x16f16 v[46:49], v[50:51], v[4:5], v[46:49]
	ds_read_u16 v50, v88 offset:5632
	ds_read_u16 v52, v178 offset:176
	;; [unrolled: 1-line block ×4, first 2 shown]
	s_waitcnt lgkmcnt(2)
	v_perm_b32 v50, v52, v50, s81
	s_waitcnt lgkmcnt(0)
	v_perm_b32 v51, v53, v51, s81
	s_nop 2
	v_cvt_f16_f32_e32 v1, v46
	v_cvt_f16_f32_e32 v6, v47
	;; [unrolled: 1-line block ×4, first 2 shown]
	v_cvt_f32_f16_e32 v46, v1
	v_cvt_f32_f16_e32 v47, v6
	;; [unrolled: 1-line block ×4, first 2 shown]
	s_nop 1
	v_mfma_f32_16x16x16f16 v[46:49], v[50:51], v[2:3], v[46:49]
	ds_read_u16 v50, v179 offset:176
	ds_read_u16 v51, v179 offset:352
	s_waitcnt lgkmcnt(1)
	v_perm_b32 v50, v50, v23, s81
	s_waitcnt lgkmcnt(0)
	v_perm_b32 v51, v21, v51, s81
	s_nop 4
	v_cvt_f16_f32_e32 v1, v46
	v_cvt_f16_f32_e32 v6, v47
	;; [unrolled: 1-line block ×4, first 2 shown]
	v_cvt_f32_f16_e32 v48, v7
	v_pack_b32_f16 v6, v1, v6
	v_cvt_f32_f16_sdwa v49, v7 dst_sel:DWORD dst_unused:UNUSED_PAD src0_sel:WORD_1
	v_pack_b32_f16 v1, v46, v47
	v_cvt_f32_f16_e32 v46, v8
	v_cvt_f32_f16_sdwa v47, v8 dst_sel:DWORD dst_unused:UNUSED_PAD src0_sel:WORD_1
	s_nop 1
	v_mfma_f32_16x16x16f16 v[46:49], v[50:51], v[4:5], v[46:49]
	ds_read_u16 v50, v91 offset:5632
	ds_read_u16 v52, v92 offset:176
	ds_read_u16 v51, v92 offset:352
	ds_read_u16 v53, v93 offset:5632
	s_waitcnt lgkmcnt(2)
	v_perm_b32 v50, v52, v50, s81
	s_waitcnt lgkmcnt(0)
	v_perm_b32 v51, v53, v51, s81
	s_nop 2
	v_cvt_f16_f32_e32 v7, v46
	v_cvt_f16_f32_e32 v8, v47
	v_cvt_f16_f32_e32 v21, v48
	v_cvt_f16_f32_e32 v23, v49
	v_cvt_f32_f16_e32 v46, v7
	v_cvt_f32_f16_e32 v47, v8
	v_cvt_f32_f16_e32 v48, v21
	v_cvt_f32_f16_e32 v49, v23
	s_nop 1
	v_mfma_f32_16x16x16f16 v[46:49], v[50:51], v[2:3], v[46:49]
	s_nop 7
	s_nop 2
	v_cvt_f16_f32_e32 v7, v46
	v_cvt_f16_f32_e32 v8, v47
	v_cvt_f16_f32_e32 v21, v48
	v_cvt_f16_f32_e32 v23, v49
	v_cvt_f32_f16_e32 v46, v12
	v_pack_b32_f16 v8, v7, v8
	v_cvt_f32_f16_sdwa v47, v12 dst_sel:DWORD dst_unused:UNUSED_PAD src0_sel:WORD_1
	v_pack_b32_f16 v7, v21, v23
	ds_read_u16 v21, v88 offset:64
	ds_read_u16 v23, v180 offset:176
	ds_read_u16 v50, v180 offset:352
	ds_read_u16 v51, v90 offset:64
	v_cvt_f32_f16_e32 v48, v9
	v_cvt_f32_f16_sdwa v49, v9 dst_sel:DWORD dst_unused:UNUSED_PAD src0_sel:WORD_1
	s_waitcnt lgkmcnt(0)
	v_perm_b32 v51, v51, v50, s81
	v_perm_b32 v50, v23, v21, s81
	s_nop 1
	v_mfma_f32_16x16x16f16 v[46:49], v[50:51], v[4:5], v[46:49]
	ds_read_u16 v50, v94 offset:5632
	ds_read_u16 v52, v95 offset:176
	ds_read_u16 v51, v95 offset:352
	ds_read_u16 v53, v96 offset:5632
	s_waitcnt lgkmcnt(2)
	v_perm_b32 v50, v52, v50, s81
	s_waitcnt lgkmcnt(0)
	v_perm_b32 v51, v53, v51, s81
	s_nop 2
	v_cvt_f16_f32_e32 v9, v46
	v_cvt_f16_f32_e32 v12, v47
	v_cvt_f16_f32_e32 v21, v48
	v_cvt_f16_f32_e32 v23, v49
	v_cvt_f32_f16_e32 v46, v9
	v_cvt_f32_f16_e32 v47, v12
	v_cvt_f32_f16_e32 v48, v21
	v_cvt_f32_f16_e32 v49, v23
	s_nop 1
	v_mfma_f32_16x16x16f16 v[46:49], v[50:51], v[2:3], v[46:49]
	s_nop 7
	s_nop 2
	v_cvt_f16_f32_e32 v9, v46
	v_cvt_f16_f32_e32 v12, v47
	v_cvt_f16_f32_e32 v21, v48
	v_cvt_f16_f32_e32 v23, v49
	v_cvt_f32_f16_e32 v46, v14
	v_pack_b32_f16 v12, v9, v12
	v_cvt_f32_f16_sdwa v47, v14 dst_sel:DWORD dst_unused:UNUSED_PAD src0_sel:WORD_1
	v_pack_b32_f16 v9, v21, v23
	ds_read_u16 v21, v88 offset:96
	ds_read_u16 v23, v181 offset:176
	ds_read_u16 v50, v181 offset:352
	ds_read_u16 v51, v90 offset:96
	v_cvt_f32_f16_e32 v48, v13
	v_cvt_f32_f16_sdwa v49, v13 dst_sel:DWORD dst_unused:UNUSED_PAD src0_sel:WORD_1
	s_waitcnt lgkmcnt(0)
	v_perm_b32 v51, v51, v50, s81
	v_perm_b32 v50, v23, v21, s81
	;; [unrolled: 40-line block ×3, first 2 shown]
	s_nop 1
	v_mfma_f32_16x16x16f16 v[46:49], v[50:51], v[4:5], v[46:49]
	ds_read_u16 v21, v100 offset:5632
	ds_read_u16 v23, v101 offset:176
	;; [unrolled: 1-line block ×4, first 2 shown]
	s_waitcnt lgkmcnt(0)
	s_barrier
	s_nop 4
	v_cvt_f16_f32_e32 v4, v46
	v_cvt_f16_f32_e32 v5, v47
	;; [unrolled: 1-line block ×4, first 2 shown]
	v_cvt_f32_f16_e32 v46, v4
	v_cvt_f32_f16_e32 v47, v5
	v_perm_b32 v5, v51, v50, s81
	v_perm_b32 v4, v23, v21, s81
	v_cvt_f32_f16_e32 v48, v17
	v_cvt_f32_f16_e32 v49, v19
	s_nop 1
	v_mfma_f32_16x16x16f16 v[2:5], v[4:5], v[2:3], v[46:49]
	s_nop 7
	s_nop 2
	v_cvt_f16_f32_e32 v2, v2
	v_cvt_f16_f32_e32 v3, v3
	;; [unrolled: 1-line block ×4, first 2 shown]
	v_pack_b32_f16 v2, v2, v3
	v_pack_b32_f16 v3, v4, v5
	ds_bpermute_b32 v4, v11, v16
	s_waitcnt lgkmcnt(0)
	v_add_f32_e32 v4, v16, v4
	ds_bpermute_b32 v5, v15, v4
	s_waitcnt lgkmcnt(0)
	v_add_f32_e32 v11, v4, v5
	s_and_saveexec_b64 s[40:41], s[38:39]
	s_xor_b64 s[38:39], exec, s[40:41]
	s_andn2_saveexec_b64 s[38:39], s[38:39]
	s_cbranch_execz .LBB9_184
; %bb.183:                              ;   in Loop: Header=BB9_14 Depth=1
	global_load_dword v5, v163, s[34:35]
	v_max_f32_e32 v16, v10, v10
	s_waitcnt vmcnt(0)
	v_max_f32_e32 v4, v5, v5
	v_max_f32_e32 v4, v16, v4
	v_sub_f32_e32 v10, v10, v4
	v_mul_f32_e32 v16, 0x3fb8aa3b, v10
	v_fma_f32 v17, v10, s29, -v16
	v_rndne_f32_e32 v19, v16
	v_fmac_f32_e32 v17, 0x32a5705f, v10
	v_sub_f32_e32 v16, v16, v19
	v_add_f32_e32 v16, v16, v17
	v_exp_f32_e32 v16, v16
	v_cvt_i32_f32_e32 v17, v19
	v_cmp_ngt_f32_e32 vcc, s80, v10
	v_sub_f32_e32 v5, v5, v4
	v_ldexp_f32 v16, v16, v17
	v_cndmask_b32_e32 v16, 0, v16, vcc
	v_cmp_nlt_f32_e32 vcc, s77, v10
	v_cndmask_b32_e32 v16, v194, v16, vcc
	v_cmp_le_f32_e32 vcc, s83, v10
	v_cndmask_b32_e32 v10, 0, v16, vcc
	v_cvt_f16_f32_e32 v16, v10
	v_cmp_ngt_f32_e32 vcc, s80, v5
	v_pk_mul_f16 v6, v16, v6 op_sel_hi:[0,1]
	v_pk_mul_f16 v1, v16, v1 op_sel_hi:[0,1]
	;; [unrolled: 1-line block ×10, first 2 shown]
	v_mul_f32_e32 v16, 0x3fb8aa3b, v5
	v_fma_f32 v17, v5, s29, -v16
	v_rndne_f32_e32 v19, v16
	v_fmac_f32_e32 v17, 0x32a5705f, v5
	v_sub_f32_e32 v16, v16, v19
	v_add_f32_e32 v16, v16, v17
	v_exp_f32_e32 v16, v16
	v_cvt_i32_f32_e32 v17, v19
	v_ldexp_f32 v16, v16, v17
	v_cndmask_b32_e32 v16, 0, v16, vcc
	v_cmp_nlt_f32_e32 vcc, s77, v5
	v_cndmask_b32_e32 v5, v194, v16, vcc
	v_fmac_f32_e32 v5, v11, v10
	v_pk_mov_b32 v[10:11], v[4:5], v[4:5] op_sel:[0,1]
.LBB9_184:                              ;   in Loop: Header=BB9_14 Depth=1
	s_or_b64 exec, exec, s[38:39]
	s_mov_b64 s[34:35], exec
	v_readlane_b32 s38, v214, 8
	v_readlane_b32 s39, v214, 9
	s_and_b64 s[38:39], s[34:35], s[38:39]
	s_mov_b64 exec, s[38:39]
	s_cbranch_execz .LBB9_186
; %bb.185:                              ;   in Loop: Header=BB9_14 Depth=1
	v_add_u32_e32 v4, 0, v127
	ds_write2_b32 v4, v10, v11 offset0:40 offset1:41
.LBB9_186:                              ;   in Loop: Header=BB9_14 Depth=1
	s_or_b64 exec, exec, s[34:35]
	s_waitcnt lgkmcnt(0)
	s_barrier
	s_mov_b64 s[34:35], exec
	v_readlane_b32 s38, v214, 6
	v_readlane_b32 s39, v214, 7
	s_and_b64 s[38:39], s[34:35], s[38:39]
	s_xor_b64 s[34:35], s[38:39], s[34:35]
	s_mov_b64 exec, s[38:39]
	s_cbranch_execz .LBB9_188
; %bb.187:                              ;   in Loop: Header=BB9_14 Depth=1
	s_barrier
	s_waitcnt lgkmcnt(0)
                                        ; implicit-def: $vgpr15
.LBB9_188:                              ;   in Loop: Header=BB9_14 Depth=1
	s_andn2_saveexec_b64 s[34:35], s[34:35]
	s_cbranch_execz .LBB9_192
; %bb.189:                              ;   in Loop: Header=BB9_14 Depth=1
	v_add_u32_e32 v10, 0, v128
	ds_read_b64 v[4:5], v10 offset:160
	s_waitcnt lgkmcnt(0)
	s_barrier
	ds_bpermute_b32 v11, v15, v4
	v_max_f32_e32 v16, v4, v4
	s_waitcnt lgkmcnt(0)
	v_max_f32_e32 v11, v11, v11
	v_max_f32_e32 v11, v16, v11
	v_sub_f32_e32 v4, v4, v11
	v_mul_f32_e32 v11, 0x3fb8aa3b, v4
	v_fma_f32 v16, v4, s29, -v11
	v_rndne_f32_e32 v17, v11
	v_fmac_f32_e32 v16, 0x32a5705f, v4
	v_sub_f32_e32 v11, v11, v17
	v_add_f32_e32 v11, v11, v16
	v_cvt_i32_f32_e32 v17, v17
	v_exp_f32_e32 v11, v11
	v_cmp_ngt_f32_e32 vcc, s80, v4
	v_ldexp_f32 v11, v11, v17
	v_cndmask_b32_e32 v11, 0, v11, vcc
	v_cmp_nlt_f32_e32 vcc, s77, v4
	v_cndmask_b32_e32 v4, v194, v11, vcc
	v_mul_f32_e32 v5, v5, v4
	ds_bpermute_b32 v11, v15, v5
	s_mov_b64 s[38:39], exec
	v_readlane_b32 s40, v214, 10
	v_readlane_b32 s41, v214, 11
	s_and_b64 s[40:41], s[38:39], s[40:41]
	s_mov_b64 exec, s[40:41]
	s_cbranch_execz .LBB9_191
; %bb.190:                              ;   in Loop: Header=BB9_14 Depth=1
	s_waitcnt lgkmcnt(0)
	v_add_f32_e32 v5, v5, v11
	ds_write_b64 v10, v[4:5] offset:160
.LBB9_191:                              ;   in Loop: Header=BB9_14 Depth=1
	s_or_b64 exec, exec, s[38:39]
.LBB9_192:                              ;   in Loop: Header=BB9_14 Depth=1
	s_or_b64 exec, exec, s[34:35]
	ds_write2_b32 v129, v6, v1 offset1:1
	ds_write2_b32 v129, v8, v7 offset0:8 offset1:9
	ds_write2_b32 v129, v12, v9 offset0:16 offset1:17
	;; [unrolled: 1-line block ×4, first 2 shown]
	s_waitcnt lgkmcnt(0)
	s_barrier
	s_and_saveexec_b64 s[34:35], s[44:45]
	s_cbranch_execz .LBB9_12
; %bb.193:                              ;   in Loop: Header=BB9_14 Depth=1
	v_add_u32_e32 v2, s9, v104
	v_cmp_gt_i32_e32 vcc, s76, v2
	v_mov_b32_e32 v1, 0x47
	s_and_saveexec_b64 s[38:39], vcc
	s_cbranch_execz .LBB9_195
; %bb.194:                              ;   in Loop: Header=BB9_14 Depth=1
	v_add_u32_e32 v1, 0, v131
	ds_read2_b32 v[4:5], v1 offset0:40 offset1:41
	ds_read2st64_b32 v[6:7], v132 offset1:11
	ds_read_b32 v8, v1 offset:2976
	v_readlane_b32 s28, v215, 58
	v_mad_u64_u32 v[2:3], s[40:41], v2, s28, v[34:35]
	s_waitcnt lgkmcnt(1)
	v_cvt_f32_f16_sdwa v11, v6 dst_sel:DWORD dst_unused:UNUSED_PAD src0_sel:WORD_1
	v_cvt_f32_f16_e32 v10, v6
	v_cvt_f32_f16_sdwa v13, v7 dst_sel:DWORD dst_unused:UNUSED_PAD src0_sel:WORD_1
	v_cvt_f32_f16_e32 v12, v7
	v_ashrrev_i32_e32 v3, 31, v2
	v_lshlrev_b64 v[2:3], 3, v[2:3]
	v_readlane_b32 s28, v214, 15
	v_pk_fma_f32 v[10:11], v[4:5], v[10:11], 0 op_sel_hi:[0,1,0]
	v_add_co_u32_e32 v2, vcc, s28, v2
	v_mov_b32_e32 v1, s70
	s_waitcnt lgkmcnt(0)
	v_pk_fma_f32 v[6:7], v[8:9], v[12:13], v[10:11] op_sel_hi:[0,1,1]
	v_addc_co_u32_e32 v3, vcc, v1, v3, vcc
	v_div_scale_f32 v1, s[40:41], v5, v5, v7
	v_rcp_f32_e32 v4, v1
	v_fma_f32 v8, -v1, v4, 1.0
	v_fmac_f32_e32 v4, v8, v4
	v_div_scale_f32 v8, vcc, v7, v5, v7
	v_mul_f32_e32 v9, v8, v4
	v_fma_f32 v10, -v1, v9, v8
	v_fmac_f32_e32 v9, v10, v4
	v_fma_f32 v1, -v1, v9, v8
	v_div_fmas_f32 v1, v1, v4, v9
	v_div_fixup_f32 v7, v1, v5, v7
	v_div_scale_f32 v1, s[40:41], v5, v5, v6
	v_rcp_f32_e32 v4, v1
	v_fma_f32 v8, -v1, v4, 1.0
	v_fmac_f32_e32 v4, v8, v4
	v_div_scale_f32 v8, vcc, v6, v5, v6
	v_mul_f32_e32 v9, v8, v4
	v_fma_f32 v10, -v1, v9, v8
	v_fmac_f32_e32 v9, v10, v4
	v_fma_f32 v1, -v1, v9, v8
	v_div_fmas_f32 v1, v1, v4, v9
	v_div_fixup_f32 v6, v1, v5, v6
	v_mov_b32_e32 v1, 0
	global_store_dwordx2 v[2:3], v[6:7], off
.LBB9_195:                              ;   in Loop: Header=BB9_14 Depth=1
	s_or_b64 exec, exec, s[38:39]
	s_movk_i32 s28, 0x47
	v_cmp_gt_i32_e32 vcc, s28, v1
	s_mov_b64 s[40:41], -1
	s_and_saveexec_b64 s[38:39], vcc
; %bb.196:                              ;   in Loop: Header=BB9_14 Depth=1
	v_cmp_eq_u32_e32 vcc, 0, v1
	s_orn2_b64 s[40:41], vcc, exec
; %bb.197:                              ;   in Loop: Header=BB9_14 Depth=1
	s_or_b64 exec, exec, s[38:39]
	s_and_saveexec_b64 s[38:39], s[40:41]
	s_cbranch_execz .LBB9_230
; %bb.198:                              ;   in Loop: Header=BB9_14 Depth=1
	v_add_u32_e32 v2, s9, v106
	v_cmp_gt_i32_e32 vcc, s76, v2
	v_mov_b32_e32 v1, 0x47
	s_and_saveexec_b64 s[40:41], vcc
	s_cbranch_execz .LBB9_200
; %bb.199:                              ;   in Loop: Header=BB9_14 Depth=1
	v_add_u32_e32 v1, 0, v133
	ds_read2_b32 v[4:5], v1 offset0:40 offset1:41
	ds_read2st64_b32 v[6:7], v134 offset1:11
	ds_read_b32 v8, v1 offset:2976
	v_readlane_b32 s28, v215, 58
	v_mad_u64_u32 v[2:3], s[42:43], v2, s28, v[34:35]
	s_waitcnt lgkmcnt(1)
	v_cvt_f32_f16_sdwa v11, v6 dst_sel:DWORD dst_unused:UNUSED_PAD src0_sel:WORD_1
	v_cvt_f32_f16_e32 v10, v6
	v_cvt_f32_f16_sdwa v13, v7 dst_sel:DWORD dst_unused:UNUSED_PAD src0_sel:WORD_1
	v_cvt_f32_f16_e32 v12, v7
	v_ashrrev_i32_e32 v3, 31, v2
	v_lshlrev_b64 v[2:3], 3, v[2:3]
	v_readlane_b32 s28, v214, 15
	v_pk_fma_f32 v[10:11], v[4:5], v[10:11], 0 op_sel_hi:[0,1,0]
	v_add_co_u32_e32 v2, vcc, s28, v2
	v_mov_b32_e32 v1, s70
	s_waitcnt lgkmcnt(0)
	v_pk_fma_f32 v[6:7], v[8:9], v[12:13], v[10:11] op_sel_hi:[0,1,1]
	v_addc_co_u32_e32 v3, vcc, v1, v3, vcc
	v_div_scale_f32 v1, s[42:43], v5, v5, v7
	v_rcp_f32_e32 v4, v1
	v_fma_f32 v8, -v1, v4, 1.0
	v_fmac_f32_e32 v4, v8, v4
	v_div_scale_f32 v8, vcc, v7, v5, v7
	v_mul_f32_e32 v9, v8, v4
	v_fma_f32 v10, -v1, v9, v8
	v_fmac_f32_e32 v9, v10, v4
	v_fma_f32 v1, -v1, v9, v8
	v_div_fmas_f32 v1, v1, v4, v9
	v_div_fixup_f32 v7, v1, v5, v7
	v_div_scale_f32 v1, s[42:43], v5, v5, v6
	v_rcp_f32_e32 v4, v1
	v_fma_f32 v8, -v1, v4, 1.0
	v_fmac_f32_e32 v4, v8, v4
	v_div_scale_f32 v8, vcc, v6, v5, v6
	v_mul_f32_e32 v9, v8, v4
	v_fma_f32 v10, -v1, v9, v8
	v_fmac_f32_e32 v9, v10, v4
	v_fma_f32 v1, -v1, v9, v8
	v_div_fmas_f32 v1, v1, v4, v9
	v_div_fixup_f32 v6, v1, v5, v6
	v_mov_b32_e32 v1, 0
	global_store_dwordx2 v[2:3], v[6:7], off
.LBB9_200:                              ;   in Loop: Header=BB9_14 Depth=1
	s_or_b64 exec, exec, s[40:41]
	s_movk_i32 s28, 0x47
	v_cmp_gt_i32_e32 vcc, s28, v1
	s_mov_b64 s[40:41], -1
	s_and_saveexec_b64 s[42:43], vcc
; %bb.201:                              ;   in Loop: Header=BB9_14 Depth=1
	v_cmp_eq_u32_e32 vcc, 0, v1
	s_orn2_b64 s[40:41], vcc, exec
; %bb.202:                              ;   in Loop: Header=BB9_14 Depth=1
	s_or_b64 exec, exec, s[42:43]
	s_and_b64 exec, exec, s[40:41]
	s_cbranch_execz .LBB9_230
; %bb.203:                              ;   in Loop: Header=BB9_14 Depth=1
	v_add_u32_e32 v2, s9, v107
	v_cmp_gt_i32_e32 vcc, s76, v2
	v_mov_b32_e32 v1, 0x47
	s_and_saveexec_b64 s[40:41], vcc
	s_cbranch_execz .LBB9_205
; %bb.204:                              ;   in Loop: Header=BB9_14 Depth=1
	v_add_u32_e32 v1, 0, v135
	ds_read2_b32 v[4:5], v1 offset0:40 offset1:41
	ds_read2st64_b32 v[6:7], v136 offset1:11
	ds_read_b32 v8, v1 offset:2976
	v_readlane_b32 s28, v215, 58
	v_mad_u64_u32 v[2:3], s[42:43], v2, s28, v[34:35]
	s_waitcnt lgkmcnt(1)
	v_cvt_f32_f16_sdwa v11, v6 dst_sel:DWORD dst_unused:UNUSED_PAD src0_sel:WORD_1
	v_cvt_f32_f16_e32 v10, v6
	v_cvt_f32_f16_sdwa v13, v7 dst_sel:DWORD dst_unused:UNUSED_PAD src0_sel:WORD_1
	v_cvt_f32_f16_e32 v12, v7
	v_ashrrev_i32_e32 v3, 31, v2
	v_lshlrev_b64 v[2:3], 3, v[2:3]
	v_readlane_b32 s28, v214, 15
	v_pk_fma_f32 v[10:11], v[4:5], v[10:11], 0 op_sel_hi:[0,1,0]
	v_add_co_u32_e32 v2, vcc, s28, v2
	v_mov_b32_e32 v1, s70
	s_waitcnt lgkmcnt(0)
	v_pk_fma_f32 v[6:7], v[8:9], v[12:13], v[10:11] op_sel_hi:[0,1,1]
	v_addc_co_u32_e32 v3, vcc, v1, v3, vcc
	v_div_scale_f32 v1, s[42:43], v5, v5, v7
	v_rcp_f32_e32 v4, v1
	v_fma_f32 v8, -v1, v4, 1.0
	v_fmac_f32_e32 v4, v8, v4
	v_div_scale_f32 v8, vcc, v7, v5, v7
	v_mul_f32_e32 v9, v8, v4
	v_fma_f32 v10, -v1, v9, v8
	v_fmac_f32_e32 v9, v10, v4
	v_fma_f32 v1, -v1, v9, v8
	v_div_fmas_f32 v1, v1, v4, v9
	v_div_fixup_f32 v7, v1, v5, v7
	v_div_scale_f32 v1, s[42:43], v5, v5, v6
	v_rcp_f32_e32 v4, v1
	v_fma_f32 v8, -v1, v4, 1.0
	v_fmac_f32_e32 v4, v8, v4
	v_div_scale_f32 v8, vcc, v6, v5, v6
	v_mul_f32_e32 v9, v8, v4
	v_fma_f32 v10, -v1, v9, v8
	v_fmac_f32_e32 v9, v10, v4
	v_fma_f32 v1, -v1, v9, v8
	v_div_fmas_f32 v1, v1, v4, v9
	v_div_fixup_f32 v6, v1, v5, v6
	v_mov_b32_e32 v1, 0
	global_store_dwordx2 v[2:3], v[6:7], off
.LBB9_205:                              ;   in Loop: Header=BB9_14 Depth=1
	s_or_b64 exec, exec, s[40:41]
	s_movk_i32 s28, 0x47
	v_cmp_gt_i32_e32 vcc, s28, v1
	s_mov_b64 s[40:41], -1
	s_and_saveexec_b64 s[42:43], vcc
; %bb.206:                              ;   in Loop: Header=BB9_14 Depth=1
	v_cmp_eq_u32_e32 vcc, 0, v1
	s_orn2_b64 s[40:41], vcc, exec
; %bb.207:                              ;   in Loop: Header=BB9_14 Depth=1
	s_or_b64 exec, exec, s[42:43]
	s_and_b64 exec, exec, s[40:41]
	;; [unrolled: 64-line block ×6, first 2 shown]
	s_cbranch_execz .LBB9_230
; %bb.228:                              ;   in Loop: Header=BB9_14 Depth=1
	v_add_u32_e32 v1, s9, v112
	v_cmp_gt_i32_e32 vcc, s76, v1
	s_and_b64 exec, exec, vcc
	s_cbranch_execz .LBB9_230
; %bb.229:                              ;   in Loop: Header=BB9_14 Depth=1
	v_add_u32_e32 v6, 0, v145
	ds_read2_b32 v[2:3], v6 offset0:40 offset1:41
	ds_read2st64_b32 v[4:5], v146 offset1:11
	ds_read_b32 v6, v6 offset:2976
	v_readlane_b32 s28, v215, 58
	v_mad_u64_u32 v[8:9], s[40:41], v1, s28, v[34:35]
	s_waitcnt lgkmcnt(1)
	v_cvt_f32_f16_sdwa v11, v4 dst_sel:DWORD dst_unused:UNUSED_PAD src0_sel:WORD_1
	v_cvt_f32_f16_e32 v10, v4
	v_cvt_f32_f16_sdwa v13, v5 dst_sel:DWORD dst_unused:UNUSED_PAD src0_sel:WORD_1
	v_cvt_f32_f16_e32 v12, v5
	v_ashrrev_i32_e32 v9, 31, v8
	v_lshlrev_b64 v[8:9], 3, v[8:9]
	v_readlane_b32 s28, v214, 15
	v_pk_fma_f32 v[10:11], v[2:3], v[10:11], 0 op_sel_hi:[0,1,0]
	v_add_co_u32_e32 v8, vcc, s28, v8
	v_mov_b32_e32 v1, s70
	s_waitcnt lgkmcnt(0)
	v_pk_fma_f32 v[4:5], v[6:7], v[12:13], v[10:11] op_sel_hi:[0,1,1]
	v_addc_co_u32_e32 v9, vcc, v1, v9, vcc
	v_div_scale_f32 v1, s[40:41], v3, v3, v5
	v_rcp_f32_e32 v2, v1
	v_fma_f32 v6, -v1, v2, 1.0
	v_fmac_f32_e32 v2, v6, v2
	v_div_scale_f32 v6, vcc, v5, v3, v5
	v_mul_f32_e32 v7, v6, v2
	v_fma_f32 v10, -v1, v7, v6
	v_fmac_f32_e32 v7, v10, v2
	v_fma_f32 v1, -v1, v7, v6
	v_div_fmas_f32 v1, v1, v2, v7
	v_div_fixup_f32 v5, v1, v3, v5
	v_div_scale_f32 v1, s[40:41], v3, v3, v4
	v_rcp_f32_e32 v2, v1
	v_fma_f32 v6, -v1, v2, 1.0
	v_fmac_f32_e32 v2, v6, v2
	v_div_scale_f32 v6, vcc, v4, v3, v4
	v_mul_f32_e32 v7, v6, v2
	v_fma_f32 v10, -v1, v7, v6
	v_fmac_f32_e32 v7, v10, v2
	v_fma_f32 v1, -v1, v7, v6
	v_div_fmas_f32 v1, v1, v2, v7
	v_div_fixup_f32 v4, v1, v3, v4
	global_store_dwordx2 v[8:9], v[4:5], off
.LBB9_230:                              ;   in Loop: Header=BB9_14 Depth=1
	s_or_b64 exec, exec, s[38:39]
	v_add_u32_e32 v2, s9, v105
	v_cmp_gt_i32_e32 vcc, s76, v2
	v_mov_b32_e32 v1, 0x47
	s_and_saveexec_b64 s[38:39], vcc
	s_cbranch_execz .LBB9_232
; %bb.231:                              ;   in Loop: Header=BB9_14 Depth=1
	v_readlane_b32 s28, v215, 58
	v_add_u32_e32 v6, 0, v147
	v_add_u32_e32 v4, 0x80, v148
	v_mul_lo_u32 v1, v2, s28
	ds_read2_b32 v[2:3], v6 offset0:40 offset1:41
	ds_read2st64_b32 v[4:5], v4 offset1:11
	ds_read_b32 v6, v6 offset:2976
	v_ashrrev_i32_e32 v7, 31, v1
	v_add_co_u32_e32 v8, vcc, v1, v30
	s_waitcnt lgkmcnt(1)
	v_cvt_f32_f16_sdwa v11, v4 dst_sel:DWORD dst_unused:UNUSED_PAD src0_sel:WORD_1
	v_cvt_f32_f16_e32 v10, v4
	v_cvt_f32_f16_sdwa v13, v5 dst_sel:DWORD dst_unused:UNUSED_PAD src0_sel:WORD_1
	v_cvt_f32_f16_e32 v12, v5
	v_addc_co_u32_e32 v9, vcc, 0, v7, vcc
	v_lshlrev_b64 v[8:9], 3, v[8:9]
	v_readlane_b32 s28, v214, 15
	v_pk_fma_f32 v[10:11], v[2:3], v[10:11], 0 op_sel_hi:[0,1,0]
	v_add_co_u32_e32 v8, vcc, s28, v8
	v_mov_b32_e32 v1, s70
	s_waitcnt lgkmcnt(0)
	v_pk_fma_f32 v[4:5], v[6:7], v[12:13], v[10:11] op_sel_hi:[0,1,1]
	v_addc_co_u32_e32 v9, vcc, v1, v9, vcc
	v_div_scale_f32 v1, s[40:41], v3, v3, v5
	v_rcp_f32_e32 v2, v1
	v_fma_f32 v6, -v1, v2, 1.0
	v_fmac_f32_e32 v2, v6, v2
	v_div_scale_f32 v6, vcc, v5, v3, v5
	v_mul_f32_e32 v7, v6, v2
	v_fma_f32 v10, -v1, v7, v6
	v_fmac_f32_e32 v7, v10, v2
	v_fma_f32 v1, -v1, v7, v6
	v_div_fmas_f32 v1, v1, v2, v7
	v_div_fixup_f32 v5, v1, v3, v5
	v_div_scale_f32 v1, s[40:41], v3, v3, v4
	v_rcp_f32_e32 v2, v1
	v_fma_f32 v6, -v1, v2, 1.0
	v_fmac_f32_e32 v2, v6, v2
	v_div_scale_f32 v6, vcc, v4, v3, v4
	v_mul_f32_e32 v7, v6, v2
	v_fma_f32 v10, -v1, v7, v6
	v_fmac_f32_e32 v7, v10, v2
	v_fma_f32 v1, -v1, v7, v6
	v_div_fmas_f32 v1, v1, v2, v7
	v_div_fixup_f32 v4, v1, v3, v4
	v_mov_b32_e32 v1, 0
	global_store_dwordx2 v[8:9], v[4:5], off offset:256
.LBB9_232:                              ;   in Loop: Header=BB9_14 Depth=1
	s_or_b64 exec, exec, s[38:39]
	s_movk_i32 s28, 0x47
	v_cmp_gt_i32_e32 vcc, s28, v1
	s_mov_b64 s[38:39], -1
	s_and_saveexec_b64 s[40:41], vcc
; %bb.233:                              ;   in Loop: Header=BB9_14 Depth=1
	v_cmp_eq_u32_e32 vcc, 0, v1
	s_orn2_b64 s[38:39], vcc, exec
; %bb.234:                              ;   in Loop: Header=BB9_14 Depth=1
	s_or_b64 exec, exec, s[40:41]
	s_and_b64 exec, exec, s[38:39]
	s_cbranch_execz .LBB9_12
; %bb.235:                              ;   in Loop: Header=BB9_14 Depth=1
	v_add_u32_e32 v1, s9, v113
	v_cmp_gt_i32_e32 vcc, s76, v1
	s_and_b64 exec, exec, vcc
	s_cbranch_execz .LBB9_12
; %bb.236:                              ;   in Loop: Header=BB9_14 Depth=1
	v_add_u32_e32 v6, 0, v149
	v_add_u32_e32 v4, 0x80, v150
	ds_read2_b32 v[2:3], v6 offset0:40 offset1:41
	ds_read2st64_b32 v[4:5], v4 offset1:11
	ds_read_b32 v6, v6 offset:2976
	v_readlane_b32 s9, v215, 58
	v_mul_lo_u32 v1, v1, s9
	v_ashrrev_i32_e32 v7, 31, v1
	s_waitcnt lgkmcnt(1)
	v_cvt_f32_f16_sdwa v11, v4 dst_sel:DWORD dst_unused:UNUSED_PAD src0_sel:WORD_1
	v_cvt_f32_f16_e32 v10, v4
	v_cvt_f32_f16_sdwa v13, v5 dst_sel:DWORD dst_unused:UNUSED_PAD src0_sel:WORD_1
	v_cvt_f32_f16_e32 v12, v5
	v_add_co_u32_e32 v8, vcc, v1, v30
	v_addc_co_u32_e32 v9, vcc, 0, v7, vcc
	v_lshlrev_b64 v[8:9], 3, v[8:9]
	v_readlane_b32 s9, v214, 15
	v_pk_fma_f32 v[10:11], v[2:3], v[10:11], 0 op_sel_hi:[0,1,0]
	v_add_co_u32_e32 v8, vcc, s9, v8
	v_mov_b32_e32 v1, s70
	s_waitcnt lgkmcnt(0)
	v_pk_fma_f32 v[4:5], v[6:7], v[12:13], v[10:11] op_sel_hi:[0,1,1]
	v_addc_co_u32_e32 v9, vcc, v1, v9, vcc
	v_div_scale_f32 v1, s[38:39], v3, v3, v5
	v_rcp_f32_e32 v2, v1
	v_fma_f32 v6, -v1, v2, 1.0
	v_fmac_f32_e32 v2, v6, v2
	v_div_scale_f32 v6, vcc, v5, v3, v5
	v_mul_f32_e32 v7, v6, v2
	v_fma_f32 v10, -v1, v7, v6
	v_fmac_f32_e32 v7, v10, v2
	v_fma_f32 v1, -v1, v7, v6
	v_div_fmas_f32 v1, v1, v2, v7
	v_div_fixup_f32 v5, v1, v3, v5
	v_div_scale_f32 v1, s[38:39], v3, v3, v4
	v_rcp_f32_e32 v2, v1
	v_fma_f32 v6, -v1, v2, 1.0
	v_fmac_f32_e32 v2, v6, v2
	v_div_scale_f32 v6, vcc, v4, v3, v4
	v_mul_f32_e32 v7, v6, v2
	v_fma_f32 v10, -v1, v7, v6
	v_fmac_f32_e32 v7, v10, v2
	v_fma_f32 v1, -v1, v7, v6
	v_div_fmas_f32 v1, v1, v2, v7
	v_div_fixup_f32 v4, v1, v3, v4
	global_store_dwordx2 v[8:9], v[4:5], off offset:256
	s_branch .LBB9_12
.LBB9_237:
	v_readlane_b32 s20, v215, 52
	v_readlane_b32 s64, v215, 47
	v_readlane_b32 s65, v215, 40
	v_readlane_b32 s21, v215, 53
	v_readlane_b32 s22, v215, 54
	v_readlane_b32 s23, v215, 55
	v_readlane_b32 s24, v215, 48
	v_readlane_b32 s25, v215, 49
	s_andn2_b64 vcc, exec, s[34:35]
	s_cbranch_vccnz .LBB9_10
.LBB9_238:
	v_readlane_b32 s11, v215, 7
	s_abs_i32 s4, s11
	v_cvt_f32_u32_e32 v1, s4
	s_sub_i32 s7, 0, s4
	s_abs_i32 s6, s8
	s_xor_b32 s5, s8, s11
	v_rcp_iflag_f32_e32 v1, v1
	s_ashr_i32 s5, s5, 31
	v_readlane_b32 s14, v215, 6
	v_readlane_b32 s48, v215, 24
	v_mul_f32_e32 v1, 0x4f7ffffe, v1
	v_cvt_u32_f32_e32 v1, v1
	v_readlane_b32 s54, v215, 30
	v_readlane_b32 s55, v215, 31
	;; [unrolled: 1-line block ×3, first 2 shown]
	v_readfirstlane_b32 s9, v1
	s_mul_i32 s7, s7, s9
	s_mul_hi_u32 s7, s9, s7
	s_add_i32 s9, s9, s7
	s_mul_hi_u32 s7, s6, s9
	s_mul_i32 s9, s7, s4
	s_sub_i32 s6, s6, s9
	s_add_i32 s10, s7, 1
	s_sub_i32 s9, s6, s4
	s_cmp_ge_u32 s6, s4
	s_cselect_b32 s7, s10, s7
	s_cselect_b32 s6, s9, s6
	s_add_i32 s9, s7, 1
	s_cmp_ge_u32 s6, s4
	s_cselect_b32 s4, s9, s7
	s_abs_i32 s6, s14
	v_cvt_f32_u32_e32 v1, s6
	s_xor_b32 s4, s4, s5
	s_sub_i32 s7, 0, s6
	s_sub_i32 s12, s4, s5
	v_rcp_iflag_f32_e32 v1, v1
	s_mul_i32 s4, s12, s11
	s_sub_i32 s4, s8, s4
	s_abs_i32 s8, s4
	v_mul_f32_e32 v1, 0x4f7ffffe, v1
	v_cvt_u32_f32_e32 v1, v1
	s_xor_b32 s5, s4, s14
	s_ashr_i32 s5, s5, 31
	v_readlane_b32 s11, v215, 3
	v_readfirstlane_b32 s9, v1
	s_mul_i32 s7, s7, s9
	s_mul_hi_u32 s7, s9, s7
	s_add_i32 s9, s9, s7
	s_mul_hi_u32 s7, s8, s9
	s_mul_i32 s9, s7, s6
	s_sub_i32 s8, s8, s9
	s_add_i32 s10, s7, 1
	s_sub_i32 s9, s8, s6
	s_cmp_ge_u32 s8, s6
	s_cselect_b32 s7, s10, s7
	s_cselect_b32 s8, s9, s8
	s_add_i32 s9, s7, 1
	s_cmp_ge_u32 s8, s6
	s_cselect_b32 s6, s9, s7
	s_abs_i32 s7, s11
	v_cvt_f32_u32_e32 v1, s7
	s_xor_b32 s6, s6, s5
	s_sub_i32 s8, 0, s7
	s_sub_i32 s13, s6, s5
	v_rcp_iflag_f32_e32 v1, v1
	s_mul_i32 s5, s13, s14
	s_sub_i32 s5, s4, s5
	s_abs_i32 s6, s5
	v_mul_f32_e32 v1, 0x4f7ffffe, v1
	v_cvt_u32_f32_e32 v1, v1
	s_xor_b32 s4, s5, s11
	s_ashr_i32 s4, s4, 31
	v_readlane_b32 s50, v215, 26
	v_readfirstlane_b32 s9, v1
	s_mul_i32 s8, s8, s9
	s_mul_hi_u32 s8, s9, s8
	s_add_i32 s9, s9, s8
	s_mul_hi_u32 s8, s6, s9
	s_mul_i32 s9, s8, s7
	s_sub_i32 s6, s6, s9
	s_add_i32 s10, s8, 1
	s_sub_i32 s9, s6, s7
	s_cmp_ge_u32 s6, s7
	s_cselect_b32 s8, s10, s8
	s_cselect_b32 s6, s9, s6
	s_add_i32 s9, s8, 1
	s_cmp_ge_u32 s6, s7
	s_cselect_b32 s6, s9, s8
	s_xor_b32 s6, s6, s4
	s_sub_i32 s4, s6, s4
	s_mul_i32 s6, s4, s11
	s_sub_i32 s5, s5, s6
	s_abs_i32 s16, s5
	s_ashr_i32 s14, s12, 31
	s_mul_hi_u32 s15, s16, s45
	s_cmp_eq_u64 s[54:55], 0
	s_mov_b64 s[8:9], 0
	v_readlane_b32 s51, v215, 27
	v_readlane_b32 s52, v215, 28
	;; [unrolled: 1-line block ×11, first 2 shown]
	s_cbranch_scc1 .LBB9_240
; %bb.239:
	s_abs_i32 s6, s24
	v_cvt_f32_u32_e32 v1, s6
	s_sub_i32 s8, 0, s6
	s_abs_i32 s7, s12
	v_readlane_b32 s10, v215, 15
	v_rcp_iflag_f32_e32 v1, v1
	v_readlane_b32 s11, v215, 16
	v_mul_f32_e32 v1, 0x4f7ffffe, v1
	v_cvt_u32_f32_e32 v1, v1
	v_readfirstlane_b32 s9, v1
	s_mul_i32 s8, s8, s9
	s_mul_hi_u32 s8, s9, s8
	s_add_i32 s9, s9, s8
	s_mul_hi_u32 s8, s7, s9
	s_mul_i32 s8, s8, s6
	s_sub_i32 s7, s7, s8
	s_sub_i32 s8, s7, s6
	s_cmp_ge_u32 s7, s6
	s_cselect_b32 s7, s8, s7
	s_sub_i32 s8, s7, s6
	s_cmp_ge_u32 s7, s6
	s_cselect_b32 s6, s8, s7
	s_xor_b32 s6, s6, s14
	s_sub_i32 s6, s6, s14
	s_ashr_i32 s7, s6, 31
	s_mul_i32 s8, s6, s11
	s_mul_hi_u32 s9, s6, s10
	s_add_i32 s8, s9, s8
	s_mul_i32 s7, s7, s10
	s_add_i32 s7, s8, s7
	s_mul_i32 s6, s6, s10
	s_add_u32 s8, s54, s6
	s_addc_u32 s9, s55, s7
.LBB9_240:
	s_ashr_i32 s18, s5, 31
	v_readlane_b32 s5, v215, 2
	s_mul_i32 s17, s13, s5
	s_add_i32 s17, s17, s4
	v_cmp_le_f32_e64 s[4:5], s21, 0
	s_and_b64 vcc, exec, s[4:5]
	v_mov_b32_e32 v16, 1.0
	s_cbranch_vccnz .LBB9_242
; %bb.241:
	v_readlane_b32 s5, v215, 12
	s_sub_i32 s4, s17, s5
	s_lshl_b32 s4, s4, 1
	s_add_i32 s6, s17, 1
	s_or_b32 s7, s4, 1
	s_cmp_lt_u32 s17, s5
	s_cselect_b64 vcc, -1, 0
	s_and_b64 s[4:5], vcc, exec
	v_mov_b32_e32 v1, s23
	v_mov_b32_e32 v2, s22
	s_cselect_b32 s4, s6, s7
	v_cndmask_b32_e32 v18, v1, v2, vcc
	v_cvt_f32_i32_e32 v1, s4
	v_cmp_neq_f32_e32 vcc, 1.0, v18
	s_mov_b32 s4, 0x3f2aaaab
	s_movk_i32 s6, 0x204
	v_cndmask_b32_e32 v19, 1.0, v1, vcc
	v_cmp_eq_f32_e32 vcc, 0, v19
	v_cndmask_b32_e64 v20, |v18|, 1.0, vcc
	v_frexp_mant_f32_e32 v1, v20
	v_cmp_gt_f32_e64 s[4:5], s4, v1
	v_cndmask_b32_e64 v2, 1.0, 2.0, s[4:5]
	v_mul_f32_e32 v1, v1, v2
	v_add_f32_e32 v2, 1.0, v1
	v_rcp_f32_e32 v10, v2
	v_add_f32_e32 v3, -1.0, v2
	v_sub_f32_e32 v5, v1, v3
	v_add_f32_e32 v3, -1.0, v1
	v_mul_f32_e32 v1, v3, v10
	v_mul_f32_e32 v4, v2, v1
	v_fma_f32 v6, v1, v2, -v4
	v_fmac_f32_e32 v6, v1, v5
	v_add_f32_e32 v2, v4, v6
	v_sub_f32_e32 v5, v3, v2
	v_pk_add_f32 v[8:9], v[2:3], v[4:5] neg_lo:[0,1] neg_hi:[0,1]
	v_mov_b32_e32 v7, v2
	v_pk_add_f32 v[2:3], v[8:9], v[6:7] neg_lo:[0,1] neg_hi:[0,1]
	v_add_f32_e32 v2, v2, v3
	v_add_f32_e32 v2, v5, v2
	v_mul_f32_e32 v3, v10, v2
	v_add_f32_e32 v2, v1, v3
	v_sub_f32_e32 v1, v2, v1
	v_sub_f32_e32 v1, v3, v1
	v_mul_f32_e32 v3, v2, v2
	v_fma_f32 v5, v2, v2, -v3
	v_add_f32_e32 v4, v1, v1
	v_fmac_f32_e32 v5, v2, v4
	v_add_f32_e32 v4, v3, v5
	v_mov_b32_e32 v6, 0x3e91f4c4
	v_fmac_f32_e32 v6, 0x3e76c4e1, v4
	v_mov_b32_e32 v7, 0x3ecccdef
	v_fmac_f32_e32 v7, v4, v6
	v_sub_f32_e32 v3, v4, v3
	v_sub_f32_e32 v12, v5, v3
	v_mul_f32_e32 v3, v4, v7
	v_fma_f32 v5, v4, v7, -v3
	v_fmac_f32_e32 v5, v12, v7
	v_add_f32_e32 v6, v3, v5
	v_add_f32_e32 v7, 0x3f2aaaaa, v6
	v_sub_f32_e32 v3, v6, v3
	v_sub_f32_e32 v3, v5, v3
	v_add_f32_e32 v5, 0xbf2aaaaa, v7
	v_add_f32_e32 v3, 0x31739010, v3
	v_sub_f32_e32 v5, v6, v5
	v_pk_mul_f32 v[8:9], v[2:3], v[4:5]
	v_fma_f32 v6, v4, v2, -v8
	v_pk_add_f32 v[10:11], v[2:3], v[4:5]
	v_fmac_f32_e32 v6, v4, v1
	v_mov_b32_e32 v9, v11
	v_fmac_f32_e32 v6, v12, v2
	v_pk_add_f32 v[4:5], v[8:9], v[6:7]
	v_sub_f32_e32 v3, v4, v8
	v_sub_f32_e32 v3, v6, v3
	;; [unrolled: 1-line block ×3, first 2 shown]
	v_add_f32_e32 v9, v11, v6
	v_mov_b32_e32 v6, v5
	v_pk_mul_f32 v[6:7], v[4:5], v[6:7]
	v_cvt_f64_f32_e32 v[10:11], v20
	v_frexp_exp_i32_f64_e32 v7, v[10:11]
	v_subbrev_co_u32_e64 v7, s[4:5], 0, v7, s[4:5]
	v_cvt_f32_i32_e32 v7, v7
	v_fma_f32 v8, v4, v5, -v6
	v_fmac_f32_e32 v8, v4, v9
	s_mov_b32 s4, 0x3f317218
	v_mul_f32_e32 v4, 0x3f317218, v7
	v_fmac_f32_e32 v8, v3, v5
	v_fma_f32 v10, v7, s4, -v4
	v_fmac_f32_e32 v10, 0xb102e308, v7
	v_ldexp_f32 v11, v2, 1
	v_add_f32_e32 v5, v6, v8
	v_pk_add_f32 v[2:3], v[4:5], v[10:11]
	v_mov_b32_e32 v12, v5
	v_mov_b32_e32 v13, v3
	;; [unrolled: 1-line block ×3, first 2 shown]
	v_pk_add_f32 v[6:7], v[12:13], v[6:7] neg_lo:[0,1] neg_hi:[0,1]
	v_mov_b32_e32 v9, v5
	v_ldexp_f32 v1, v1, 1
	v_pk_add_f32 v[6:7], v[8:9], v[6:7] neg_lo:[0,1] neg_hi:[0,1]
	v_add_f32_e32 v1, v1, v6
	v_add_f32_e32 v5, v1, v7
	v_pk_add_f32 v[6:7], v[2:3], v[4:5] neg_lo:[0,1] neg_hi:[0,1]
	v_pk_add_f32 v[8:9], v[2:3], v[4:5]
	v_mov_b32_e32 v12, v6
	v_mov_b32_e32 v13, v9
	;; [unrolled: 1-line block ×3, first 2 shown]
	v_pk_add_f32 v[12:13], v[10:11], v[12:13]
	v_mov_b32_e32 v4, v13
	v_pk_add_f32 v[14:15], v[4:5], v[2:3] neg_lo:[0,1] neg_hi:[0,1]
	v_mov_b32_e32 v1, v14
	v_mov_b32_e32 v12, v9
	;; [unrolled: 1-line block ×4, first 2 shown]
	v_pk_add_f32 v[6:7], v[10:11], v[6:7] neg_lo:[0,1] neg_hi:[0,1]
	v_pk_add_f32 v[16:17], v[8:9], v[0:1] neg_lo:[0,1] neg_hi:[0,1]
	;; [unrolled: 1-line block ×3, first 2 shown]
	v_mov_b32_e32 v10, v5
	v_pk_add_f32 v[2:3], v[10:11], v[2:3] neg_lo:[0,1] neg_hi:[0,1]
	v_mov_b32_e32 v16, v6
	v_pk_add_f32 v[8:9], v[16:17], v[2:3]
	v_mov_b32_e32 v10, v9
	v_pk_add_f32 v[10:11], v[8:9], v[10:11]
	v_pk_add_f32 v[4:5], v[4:5], v[10:11]
	v_mov_b32_e32 v7, v13
	v_mov_b32_e32 v9, v4
	v_pk_add_f32 v[12:13], v[8:9], v[6:7] neg_lo:[0,1] neg_hi:[0,1]
	v_mov_b32_e32 v3, v10
	v_sub_f32_e32 v1, v8, v12
	v_pk_add_f32 v[2:3], v[2:3], v[12:13] neg_lo:[0,1] neg_hi:[0,1]
	v_sub_f32_e32 v1, v6, v1
	v_add_f32_e32 v1, v2, v1
	v_add_f32_e32 v1, v1, v3
	;; [unrolled: 1-line block ×3, first 2 shown]
	v_sub_f32_e32 v3, v2, v4
	v_sub_f32_e32 v1, v1, v3
	v_mul_f32_e32 v3, v19, v2
	v_fma_f32 v2, v19, v2, -v3
	v_fmac_f32_e32 v2, v19, v1
	v_add_f32_e32 v1, v3, v2
	v_cmp_class_f32_e64 s[4:5], v3, s6
	v_sub_f32_e32 v4, v1, v3
	v_cndmask_b32_e64 v1, v1, v3, s[4:5]
	s_mov_b32 s10, 0x42b17218
	v_mov_b32_e32 v3, 0x37000000
	v_cmp_eq_f32_e64 s[4:5], s10, v1
	v_cndmask_b32_e64 v3, 0, v3, s[4:5]
	v_sub_f32_e32 v2, v2, v4
	v_sub_f32_e32 v4, v1, v3
	s_mov_b32 s4, 0x3fb8aa3b
	v_mul_f32_e32 v5, 0x3fb8aa3b, v4
	v_fma_f32 v6, v4, s4, -v5
	v_rndne_f32_e32 v7, v5
	v_fmac_f32_e32 v6, 0x32a5705f, v4
	v_sub_f32_e32 v5, v5, v7
	v_add_f32_e32 v5, v5, v6
	v_exp_f32_e32 v5, v5
	v_cvt_i32_f32_e32 v6, v7
	s_mov_b32 s7, 0x7f800000
	v_cmp_neq_f32_e64 s[4:5], |v1|, s7
	v_cndmask_b32_e64 v1, 0, v2, s[4:5]
	s_mov_b32 s4, 0xc2ce8ed0
	v_ldexp_f32 v2, v5, v6
	v_cmp_ngt_f32_e64 s[4:5], s4, v4
	v_add_f32_e32 v1, v3, v1
	v_cndmask_b32_e64 v2, 0, v2, s[4:5]
	v_mov_b32_e32 v3, 0x7f800000
	v_cmp_nlt_f32_e64 s[4:5], s10, v4
	v_cndmask_b32_e64 v2, v3, v2, s[4:5]
	v_fma_f32 v1, v2, v1, v2
	v_cmp_class_f32_e64 s[4:5], v2, s6
	v_trunc_f32_e32 v4, v19
	v_cndmask_b32_e64 v1, v1, v2, s[4:5]
	v_cndmask_b32_e64 v2, v18, 1.0, vcc
	v_cmp_eq_f32_e32 vcc, v4, v19
	v_mul_f32_e32 v4, 0.5, v19
	v_trunc_f32_e32 v6, v4
	v_cmp_neq_f32_e64 s[4:5], v6, v4
	s_and_b64 s[4:5], vcc, s[4:5]
	v_cndmask_b32_e64 v4, 1.0, v2, s[4:5]
	s_brev_b32 s19, -2
	v_mov_b32_e32 v5, 0x7fc00000
	v_bfi_b32 v1, s19, v1, v4
	v_cndmask_b32_e32 v4, v5, v1, vcc
	v_cmp_gt_f32_e32 vcc, 0, v2
	v_cndmask_b32_e32 v1, v1, v4, vcc
	v_cmp_eq_f32_e32 vcc, s7, v20
	v_cmp_eq_f32_e64 s[6:7], 0, v2
	v_cmp_gt_f32_e64 s[10:11], 0, v19
	s_xor_b64 s[10:11], s[10:11], s[6:7]
	v_cndmask_b32_e64 v3, v3, 0, s[10:11]
	v_cndmask_b32_e64 v4, 0, v2, s[4:5]
	v_bfi_b32 v3, s19, v3, v4
	s_or_b64 vcc, vcc, s[6:7]
	v_cndmask_b32_e32 v1, v1, v3, vcc
	v_cmp_o_f32_e32 vcc, v2, v2
	v_cndmask_b32_e32 v16, v5, v1, vcc
.LBB9_242:
	s_mul_i32 s5, s15, s33
	v_readlane_b32 s4, v215, 23
	s_sub_i32 s5, s16, s5
	s_xor_b32 s4, s18, s4
	s_add_i32 s6, s15, 1
	s_sub_i32 s7, s5, s33
	s_cmp_ge_u32 s5, s33
	s_cselect_b32 s6, s6, s15
	s_cselect_b32 s5, s7, s5
	s_add_i32 s7, s6, 1
	s_cmp_ge_u32 s5, s33
	s_cselect_b32 s5, s7, s6
	s_xor_b32 s5, s5, s4
	v_readlane_b32 s48, v215, 24
	s_sub_i32 s4, s5, s4
	v_readlane_b32 s49, v215, 25
	v_readlane_b32 s58, v215, 34
	;; [unrolled: 1-line block ×11, first 2 shown]
	s_mov_b64 s[40:41], s[48:49]
	s_cmp_eq_u64 s[58:59], 0
	v_mov_b32_e32 v8, s82
	v_readlane_b32 s56, v215, 32
	v_readlane_b32 s57, v215, 33
	;; [unrolled: 1-line block ×4, first 2 shown]
	s_mov_b64 s[42:43], s[50:51]
	s_mov_b64 s[44:45], s[52:53]
	;; [unrolled: 1-line block ×3, first 2 shown]
	s_cbranch_scc1 .LBB9_244
; %bb.243:
	v_readlane_b32 s5, v215, 0
	s_mul_i32 s5, s12, s5
	s_add_i32 s6, s4, s5
	s_ashr_i32 s7, s6, 31
	s_mov_b64 s[50:51], s[58:59]
	s_lshl_b64 s[6:7], s[6:7], 2
	s_add_u32 s6, s50, s6
	s_addc_u32 s7, s51, s7
	v_mov_b32_e32 v1, 0
	global_load_dword v1, v1, s[6:7]
	s_waitcnt vmcnt(0)
	v_ashrrev_i32_e32 v2, 31, v1
	v_lshrrev_b32_e32 v2, 26, v2
	v_add_u32_e32 v1, v1, v2
	v_ashrrev_i32_e32 v1, 6, v1
	v_min_i32_e32 v8, s82, v1
.LBB9_244:
	v_readlane_b32 s10, v215, 8
	v_readlane_b32 s11, v215, 9
	s_mul_i32 s5, s12, s11
	s_ashr_i32 s6, s5, 31
	s_add_u32 s5, s40, s5
	s_mul_i32 s17, s17, s10
	s_addc_u32 s7, s41, s6
	s_ashr_i32 s10, s17, 31
	v_and_b32_e32 v21, 0x3ff, v0
	s_add_u32 s6, s5, s17
	v_lshrrev_b32_e32 v60, 5, v21
	s_addc_u32 s7, s7, s10
	s_lshl_b32 s43, s4, 5
	v_lshl_add_u32 v0, v82, 1, v60
	v_add_u32_e32 v1, s43, v0
	v_and_b32_e32 v20, 31, v21
	v_cmp_le_i32_e32 vcc, s76, v1
	s_and_saveexec_b64 s[4:5], vcc
	s_xor_b64 s[4:5], exec, s[4:5]
	s_cbranch_execz .LBB9_246
; %bb.245:
	v_mad_u32_u24 v1, v0, 44, v20
	v_lshl_add_u32 v1, v1, 2, 0
	v_mov_b32_e32 v2, 0
	ds_write_b32 v1, v2
                                        ; implicit-def: $vgpr1
.LBB9_246:
	s_andn2_saveexec_b64 s[4:5], s[4:5]
	s_cbranch_execz .LBB9_248
; %bb.247:
	v_mad_u64_u32 v[2:3], s[10:11], v1, s68, v[20:21]
	v_ashrrev_i32_e32 v3, 31, v2
	v_lshlrev_b64 v[2:3], 3, v[2:3]
	v_mov_b32_e32 v1, s7
	v_add_co_u32_e32 v2, vcc, s6, v2
	v_addc_co_u32_e32 v3, vcc, v1, v3, vcc
	global_load_dwordx2 v[2:3], v[2:3], off
	s_waitcnt vmcnt(0)
	v_cvt_f16_f32_e32 v1, v2
	v_cvt_f16_f32_e32 v2, v3
	v_mad_u32_u24 v3, v0, 44, v20
	v_pack_b32_f16 v1, v1, v2
	v_pk_mul_f16 v1, v31, v1
	v_lshl_add_u32 v2, v3, 2, 0
	ds_write_b32 v2, v1
.LBB9_248:
	s_or_b64 exec, exec, s[4:5]
	v_add_u32_e32 v1, 8, v0
	v_add_u32_e32 v2, s43, v1
	v_cmp_le_i32_e32 vcc, s76, v2
	s_and_saveexec_b64 s[4:5], vcc
	s_xor_b64 s[4:5], exec, s[4:5]
	s_cbranch_execz .LBB9_250
; %bb.249:
	v_mad_u32_u24 v1, v1, 44, v20
	v_lshl_add_u32 v1, v1, 2, 0
	v_mov_b32_e32 v2, 0
	ds_write_b32 v1, v2
                                        ; implicit-def: $vgpr2
                                        ; implicit-def: $vgpr1
.LBB9_250:
	s_andn2_saveexec_b64 s[4:5], s[4:5]
	s_cbranch_execz .LBB9_252
; %bb.251:
	v_mad_u64_u32 v[2:3], s[10:11], v2, s68, v[20:21]
	v_ashrrev_i32_e32 v3, 31, v2
	v_lshlrev_b64 v[2:3], 3, v[2:3]
	v_mov_b32_e32 v4, s7
	v_add_co_u32_e32 v2, vcc, s6, v2
	v_addc_co_u32_e32 v3, vcc, v4, v3, vcc
	global_load_dwordx2 v[2:3], v[2:3], off
	v_mad_u32_u24 v1, v1, 44, v20
	v_lshl_add_u32 v1, v1, 2, 0
	s_waitcnt vmcnt(0)
	v_cvt_f16_f32_e32 v2, v2
	v_cvt_f16_f32_e32 v3, v3
	v_pack_b32_f16 v2, v2, v3
	v_pk_mul_f16 v2, v31, v2
	ds_write_b32 v1, v2
.LBB9_252:
	s_or_b64 exec, exec, s[4:5]
	v_add_u32_e32 v1, 16, v0
	v_add_u32_e32 v2, s43, v1
	v_cmp_le_i32_e32 vcc, s76, v2
	s_and_saveexec_b64 s[4:5], vcc
	s_xor_b64 s[4:5], exec, s[4:5]
	s_cbranch_execz .LBB9_254
; %bb.253:
	v_mad_u32_u24 v1, v1, 44, v20
	v_lshl_add_u32 v1, v1, 2, 0
	v_mov_b32_e32 v2, 0
	ds_write_b32 v1, v2
                                        ; implicit-def: $vgpr2
                                        ; implicit-def: $vgpr1
.LBB9_254:
	s_andn2_saveexec_b64 s[4:5], s[4:5]
	s_cbranch_execz .LBB9_256
; %bb.255:
	v_mad_u64_u32 v[2:3], s[10:11], v2, s68, v[20:21]
	v_ashrrev_i32_e32 v3, 31, v2
	v_lshlrev_b64 v[2:3], 3, v[2:3]
	v_mov_b32_e32 v4, s7
	v_add_co_u32_e32 v2, vcc, s6, v2
	v_addc_co_u32_e32 v3, vcc, v4, v3, vcc
	global_load_dwordx2 v[2:3], v[2:3], off
	v_mad_u32_u24 v1, v1, 44, v20
	v_lshl_add_u32 v1, v1, 2, 0
	s_waitcnt vmcnt(0)
	v_cvt_f16_f32_e32 v2, v2
	v_cvt_f16_f32_e32 v3, v3
	v_pack_b32_f16 v2, v2, v3
	v_pk_mul_f16 v2, v31, v2
	ds_write_b32 v1, v2
.LBB9_256:
	s_or_b64 exec, exec, s[4:5]
	v_add_u32_e32 v0, 24, v0
	v_add_u32_e32 v1, s43, v0
	v_cmp_le_i32_e32 vcc, s76, v1
	s_and_saveexec_b64 s[4:5], vcc
	s_xor_b64 s[4:5], exec, s[4:5]
	s_cbranch_execz .LBB9_258
; %bb.257:
	v_mad_u32_u24 v0, v0, 44, v20
	v_lshl_add_u32 v0, v0, 2, 0
	v_mov_b32_e32 v1, 0
	ds_write_b32 v0, v1
                                        ; implicit-def: $vgpr1
                                        ; implicit-def: $vgpr0
.LBB9_258:
	s_andn2_saveexec_b64 s[4:5], s[4:5]
	s_cbranch_execz .LBB9_260
; %bb.259:
	v_mad_u64_u32 v[2:3], s[10:11], v1, s68, v[20:21]
	v_ashrrev_i32_e32 v3, 31, v2
	v_lshlrev_b64 v[2:3], 3, v[2:3]
	v_mov_b32_e32 v1, s7
	v_add_co_u32_e32 v2, vcc, s6, v2
	v_addc_co_u32_e32 v3, vcc, v1, v3, vcc
	global_load_dwordx2 v[2:3], v[2:3], off
	v_mad_u32_u24 v0, v0, 44, v20
	v_lshl_add_u32 v0, v0, 2, 0
	s_waitcnt vmcnt(0)
	v_cvt_f16_f32_e32 v1, v2
	v_cvt_f16_f32_e32 v2, v3
	v_pack_b32_f16 v1, v1, v2
	v_pk_mul_f16 v1, v31, v1
	ds_write_b32 v0, v1
.LBB9_260:
	s_or_b64 exec, exec, s[4:5]
	v_lshrrev_b32_e32 v29, 3, v21
	v_add_u32_e32 v77, v84, v29
	v_add_u32_e32 v0, s43, v77
	v_cmp_le_i32_e32 vcc, s76, v0
	s_and_saveexec_b64 s[4:5], vcc
	s_xor_b64 s[4:5], exec, s[4:5]
	s_cbranch_execz .LBB9_262
; %bb.261:
	v_and_b32_e32 v0, 7, v21
	v_mad_u32_u24 v0, v77, 44, v0
	v_lshl_add_u32 v0, v0, 2, 0
	v_mov_b32_e32 v1, 0
	ds_write_b32 v0, v1 offset:128
                                        ; implicit-def: $vgpr0
                                        ; implicit-def: $vgpr31
.LBB9_262:
	s_andn2_saveexec_b64 s[4:5], s[4:5]
	s_cbranch_execz .LBB9_264
; %bb.263:
	v_mul_lo_u32 v0, v0, s68
	v_and_b32_e32 v2, 7, v21
	v_ashrrev_i32_e32 v1, 31, v0
	v_add_co_u32_e32 v0, vcc, v0, v2
	v_addc_co_u32_e32 v1, vcc, 0, v1, vcc
	v_lshlrev_b64 v[0:1], 3, v[0:1]
	v_mov_b32_e32 v3, s7
	v_add_co_u32_e32 v0, vcc, s6, v0
	v_addc_co_u32_e32 v1, vcc, v3, v1, vcc
	global_load_dwordx2 v[0:1], v[0:1], off offset:256
	v_mad_u32_u24 v2, v77, 44, v2
	s_waitcnt vmcnt(0)
	v_cvt_f16_f32_e32 v0, v0
	v_cvt_f16_f32_e32 v1, v1
	v_pack_b32_f16 v0, v0, v1
	v_pk_mul_f16 v0, v31, v0
	v_lshl_add_u32 v1, v2, 2, 0
	ds_write_b32 v1, v0 offset:128
.LBB9_264:
	s_or_b64 exec, exec, s[4:5]
	v_readlane_b32 s6, v215, 13
	v_readlane_b32 s7, v215, 14
	s_mul_i32 s4, s12, s7
	s_mul_hi_u32 s5, s12, s6
	s_add_i32 s4, s5, s4
	s_mul_i32 s5, s14, s6
	v_readlane_b32 s16, v215, 24
	s_add_i32 s4, s4, s5
	s_mul_i32 s5, s12, s6
	v_readlane_b32 s20, v215, 28
	v_readlane_b32 s21, v215, 29
	;; [unrolled: 1-line block ×4, first 2 shown]
	s_add_u32 s5, s20, s5
	s_addc_u32 s4, s21, s4
	v_readlane_b32 s20, v215, 19
	v_readlane_b32 s23, v215, 22
	;; [unrolled: 1-line block ×3, first 2 shown]
	s_mul_i32 s6, s13, s23
	s_ashr_i32 s7, s6, 31
	v_and_b32_e32 v9, 0x1ff0, v84
	s_movk_i32 s28, 0xb0
	v_and_b32_e32 v61, 15, v21
	v_and_b32_e32 v62, 0x7e, v29
	v_readlane_b32 s21, v215, 20
	s_add_u32 s33, s5, s6
	v_mad_u32_u24 v0, v9, s28, 0
	v_mul_u32_u24_e32 v79, 0xb0, v61
	v_lshlrev_b32_e32 v80, 2, v62
	s_addc_u32 s42, s4, s7
	s_mul_i32 s4, s12, s21
	s_mul_hi_u32 s5, s12, s20
	v_add3_u32 v10, v0, v79, v80
	s_add_i32 s4, s5, s4
	s_mul_i32 s14, s14, s20
	v_readlane_b32 s6, v215, 17
	s_waitcnt lgkmcnt(0)
	s_barrier
	ds_read2_b64 v[4:7], v10 offset1:4
	ds_read2_b64 v[0:3], v10 offset0:8 offset1:12
	ds_read_b64 v[22:23], v10 offset:128
	v_readlane_b32 s18, v215, 26
	s_add_i32 s4, s4, s14
	s_mul_i32 s12, s12, s20
	v_readlane_b32 s7, v215, 18
	v_readlane_b32 s19, v215, 27
	s_add_u32 s5, s18, s12
	s_mul_i32 s13, s13, s7
	s_addc_u32 s4, s19, s4
	s_ashr_i32 s6, s13, 31
	v_add_u32_e32 v89, -1, v8
	s_add_u32 s44, s5, s13
	v_cmp_ge_i32_e32 vcc, s46, v89
	v_mul_lo_u32 v26, s92, v77
	v_mul_lo_u32 v18, s78, v77
	s_addc_u32 s45, s4, s6
	s_mov_b32 s47, 0
	s_and_b64 vcc, exec, vcc
	v_mov_b32_e32 v66, 0
	v_or_b32_e32 v78, v9, v61
	v_lshlrev_b32_e32 v88, 1, v21
	v_lshrrev_b32_e32 v87, 1, v21
	v_ashrrev_i32_e32 v27, 31, v26
	v_add_u32_e32 v68, 32, v77
	v_lshl_add_u32 v24, s92, 5, v26
	v_lshrrev_b32_e32 v65, 2, v21
	v_and_b32_e32 v64, 8, v84
	v_ashrrev_i32_e32 v19, 31, v18
	v_lshlrev_b32_e32 v63, 1, v61
	v_readlane_b32 s17, v215, 25
	v_readlane_b32 s24, v215, 32
	;; [unrolled: 1-line block ×9, first 2 shown]
	s_waitcnt lgkmcnt(0)
	s_barrier
	s_cbranch_vccnz .LBB9_281
; %bb.265:
	v_add_u32_e32 v17, s43, v82
	v_add_u32_e32 v25, 16, v17
	v_mul_hi_u32 v28, s90, v25
	v_add_u32_e32 v28, v25, v28
	v_lshrrev_b32_e32 v28, s91, v28
	v_mul_lo_u32 v28, v28, s76
	v_sub_u32_e32 v25, v25, v28
	v_mad_i64_i32 v[40:41], s[6:7], v25, s66, 0
	v_add_u32_e32 v25, 20, v17
	v_mul_hi_u32 v28, s90, v25
	v_add_u32_e32 v28, v25, v28
	v_lshrrev_b32_e32 v28, s91, v28
	v_mul_lo_u32 v28, v28, s76
	v_sub_u32_e32 v25, v25, v28
	v_mov_b32_e32 v8, s9
	v_add_co_u32_e32 v91, vcc, s8, v88
	v_mad_i64_i32 v[42:43], s[6:7], v25, s66, 0
	v_add_u32_e32 v25, 24, v17
	v_addc_co_u32_e32 v92, vcc, 0, v8, vcc
	v_mul_hi_u32 v8, s90, v17
	v_mul_hi_u32 v28, s90, v25
	v_add_u32_e32 v8, v17, v8
	v_add_u32_e32 v28, v25, v28
	v_lshrrev_b32_e32 v8, s91, v8
	v_lshrrev_b32_e32 v28, s91, v28
	v_mul_lo_u32 v8, v8, s76
	v_mul_u32_u24_e32 v10, 0x90, v82
	v_mul_lo_u32 v28, v28, s76
	v_sub_u32_e32 v8, v17, v8
	v_add3_u32 v93, 0, v10, v88
	v_add_u32_e32 v10, 4, v17
	v_add_u32_e32 v12, 8, v17
	;; [unrolled: 1-line block ×3, first 2 shown]
	v_sub_u32_e32 v25, v25, v28
	v_add_u32_e32 v17, 28, v17
	v_mad_i64_i32 v[44:45], s[6:7], v25, s66, 0
	v_mul_hi_u32 v25, s90, v17
	v_add_u32_e32 v25, v17, v25
	v_lshrrev_b32_e32 v25, s91, v25
	v_mul_lo_u32 v25, v25, s76
	v_sub_u32_e32 v17, v17, v25
	v_mad_i64_i32 v[46:47], s[6:7], v17, s66, 0
	v_mbcnt_hi_u32_b32 v17, -1, v86
	v_and_b32_e32 v25, 64, v17
	v_add_u32_e32 v25, 64, v25
	v_xor_b32_e32 v28, 32, v17
	v_mul_hi_u32 v11, s90, v10
	v_mul_hi_u32 v13, s90, v12
	;; [unrolled: 1-line block ×3, first 2 shown]
	v_cmp_lt_i32_e32 vcc, v28, v25
	v_add_u32_e32 v11, v10, v11
	v_add_u32_e32 v13, v12, v13
	;; [unrolled: 1-line block ×3, first 2 shown]
	v_cndmask_b32_e32 v28, v17, v28, vcc
	v_and_b32_e32 v32, 16, v83
	v_and_b32_e32 v33, 0xfc, v65
	s_movk_i32 s12, 0x90
	v_lshrrev_b32_e32 v11, s91, v11
	v_lshrrev_b32_e32 v13, s91, v13
	;; [unrolled: 1-line block ×3, first 2 shown]
	v_lshlrev_b32_e32 v101, 2, v28
	v_xor_b32_e32 v28, 16, v17
	v_mul_u32_u24_e32 v57, 0xb0, v32
	v_add_u32_e32 v34, v32, v33
	v_add_u16_e32 v32, v32, v33
	v_mul_lo_u32 v11, v11, s76
	v_mul_lo_u32 v13, v13, s76
	;; [unrolled: 1-line block ×3, first 2 shown]
	v_cmp_lt_i32_e32 vcc, v28, v25
	v_mad_u32_u24 v35, v78, s12, 0
	v_lshrrev_b16_e32 v32, 1, v32
	v_sub_u32_e32 v10, v10, v11
	v_sub_u32_e32 v12, v12, v13
	;; [unrolled: 1-line block ×3, first 2 shown]
	v_cndmask_b32_e32 v17, v17, v28, vcc
	v_lshl_add_u32 v66, v32, 2, v35
	v_lshl_add_u32 v32, v34, 1, v35
	v_mad_i64_i32 v[8:9], s[6:7], v8, s66, 0
	v_mad_i64_i32 v[10:11], s[6:7], v10, s66, 0
	;; [unrolled: 1-line block ×4, first 2 shown]
	v_lshlrev_b32_e32 v102, 2, v17
	v_lshl_add_u32 v17, v82, 5, v87
	v_add_u32_e32 v104, 64, v32
	v_add_u32_e32 v105, 0x44, v32
	v_mul_u32_u24_e32 v32, 0x58, v33
	s_movk_i32 s29, 0x160
	v_cmp_gt_u32_e64 s[6:7], 64, v17
	v_mad_u32_u24 v25, v17, s28, 0
	v_mul_lo_u32 v48, s92, v17
	v_cmp_gt_u32_e64 s[12:13], 64, v34
	v_cmp_gt_u32_e64 s[14:15], 63, v34
	;; [unrolled: 1-line block ×8, first 2 shown]
	v_mul_lo_u32 v54, s78, v17
	v_or_b32_e32 v17, 3, v65
	v_mul_u32_u24_e32 v34, 0xb0, v33
	v_or_b32_e32 v32, v32, v61
	v_mul_u32_u24_e32 v35, 0x160, v64
	v_mad_u32_u24 v36, v64, s29, 0
	s_cmp_lg_u64 s[8:9], 0
	v_mul_u32_u24_e32 v17, 0xb0, v17
	v_lshlrev_b32_e32 v32, 1, v32
	v_add3_u32 v107, v36, v34, v63
	v_add3_u32 v34, 0, 32, v35
	s_cselect_b64 s[34:35], -1, 0
	v_add_u32_e32 v106, v36, v32
	v_add3_u32 v108, v36, v17, v63
	v_add_u32_e32 v111, v34, v32
	v_mad_u32_u24 v36, v33, s28, v34
	v_add3_u32 v113, v34, v17, v63
	v_add3_u32 v34, 0, 64, v35
	s_add_i32 s39, 0, 0x60
	v_add_u32_e32 v115, v34, v32
	v_mad_u32_u24 v35, v33, s28, v34
	v_add3_u32 v117, v34, v17, v63
	v_mov_b32_e32 v34, s39
	v_lshlrev_b32_e32 v30, 2, v21
	s_movk_i32 s38, 0x1600
	v_mad_u32_u24 v34, v64, s29, v34
	s_add_i32 s39, 0, 0x80
	v_and_b32_e32 v28, 4, v30
	v_add3_u32 v116, v35, v63, s38
	v_add_u32_e32 v119, v34, v32
	v_mad_u32_u24 v35, v33, s28, v34
	v_add3_u32 v121, v34, v17, v63
	v_mov_b32_e32 v34, s39
	v_lshlrev_b32_e32 v31, 2, v28
	s_movk_i32 s10, 0x80
	v_mad_u32_u24 v34, v64, s29, v34
	v_and_b32_e32 v52, 28, v30
	v_add3_u32 v103, v25, v31, s10
	v_mul_u32_u24_e32 v31, 0xb0, v77
	v_mul_lo_u32 v58, s78, v68
	v_add3_u32 v125, v34, v17, v63
	v_lshlrev_b32_e32 v17, 2, v52
	s_mov_b64 s[36:37], src_private_base
	v_ashrrev_i32_e32 v49, 31, v48
	v_ashrrev_i32_e32 v25, 31, v24
	v_add3_u32 v56, 0, v79, v80
	v_ashrrev_i32_e32 v55, 31, v54
	v_ashrrev_i32_e32 v59, 31, v58
	v_add_u32_e32 v123, v34, v32
	v_mad_u32_u24 v32, v33, s28, v34
	v_add3_u32 v126, 0, v31, v17
	v_cmp_lt_u32_e64 s[4:5], 63, v21
	v_mov_b32_e32 v90, 0
	v_add_u32_e32 v94, 0x240, v93
	v_add_u32_e32 v95, 0x480, v93
	;; [unrolled: 1-line block ×7, first 2 shown]
	s_mov_b32 s36, 0
	v_cmp_gt_u32_e64 s[30:31], 64, v77
	v_cmp_gt_u32_e64 s[10:11], 32, v77
	v_add_u32_e32 v109, 0x1600, v107
	v_add_u32_e32 v110, 32, v107
	v_add3_u32 v112, v36, v63, s38
	v_add_u32_e32 v114, 64, v107
	v_add_u32_e32 v118, 0x60, v107
	v_add3_u32 v120, v35, v63, s38
	v_add_u32_e32 v122, 0x80, v107
	v_add3_u32 v124, v32, v63, s38
	v_add_u32_e32 v127, 0x1600, v126
	v_mov_b32_e32 v30, v16
	v_mov_b32_e32 v31, v16
	s_lshl_b32 s38, s46, 6
	v_mov_b32_e32 v131, 0xfeffffff
	v_lshlrev_b64 v[32:33], 1, v[8:9]
	v_lshlrev_b64 v[34:35], 1, v[10:11]
	;; [unrolled: 1-line block ×10, first 2 shown]
	v_lshlrev_b32_e32 v128, 2, v52
	v_lshlrev_b64 v[52:53], 2, v[24:25]
	v_add_u32_e32 v25, v56, v57
	v_add_u32_e32 v129, 0x2c00, v66
	v_lshlrev_b64 v[54:55], 2, v[54:55]
	s_mov_b32 s48, 0x3fb8aa3b
	s_mov_b32 s49, 0xc2ce8ed0
	s_mov_b32 s50, 0x42b17218
	s_mov_b32 s51, 0xc1a00000
	v_lshlrev_b64 v[56:57], 2, v[18:19]
	v_lshlrev_b64 v[58:59], 2, v[58:59]
	s_mov_b32 s52, 0x5040100
	v_mov_b32_e32 v130, 0x7f800000
	v_mov_b32_e32 v132, 0
	;; [unrolled: 1-line block ×12, first 2 shown]
.LBB9_266:                              ; =>This Inner Loop Header: Depth=1
	s_nop 0
	v_cndmask_b32_e64 v8, 0, 1, s[34:35]
	v_cmp_ne_u32_e64 s[28:29], 1, v8
	s_andn2_b64 vcc, exec, s[34:35]
	s_ashr_i32 s39, s38, 31
	s_cbranch_vccnz .LBB9_272
; %bb.267:                              ;   in Loop: Header=BB9_266 Depth=1
                                        ; implicit-def: $sgpr53
	s_and_saveexec_b64 s[40:41], s[4:5]
	s_xor_b64 s[40:41], exec, s[40:41]
	s_cbranch_execz .LBB9_269
; %bb.268:                              ;   in Loop: Header=BB9_266 Depth=1
	ds_write_b16 v93, v90 offset:11264
	ds_write_b16 v94, v90 offset:11264
	;; [unrolled: 1-line block ×4, first 2 shown]
	s_mov_b32 s53, 0
.LBB9_269:                              ;   in Loop: Header=BB9_266 Depth=1
	s_or_saveexec_b64 s[40:41], s[40:41]
	v_mov_b32_e32 v8, s53
	v_mov_b32_e32 v9, s53
	;; [unrolled: 1-line block ×4, first 2 shown]
	s_xor_b64 exec, exec, s[40:41]
	s_cbranch_execz .LBB9_271
; %bb.270:                              ;   in Loop: Header=BB9_266 Depth=1
	s_lshl_b64 s[54:55], s[38:39], 1
	v_mov_b32_e32 v8, s55
	v_add_co_u32_e32 v17, vcc, s54, v91
	v_addc_co_u32_e32 v81, vcc, v92, v8, vcc
	v_add_co_u32_e32 v8, vcc, v17, v32
	v_addc_co_u32_e32 v9, vcc, v81, v33, vcc
	;; [unrolled: 2-line block ×5, first 2 shown]
	flat_load_ushort v133, v[8:9]
	flat_load_ushort v134, v[10:11]
	;; [unrolled: 1-line block ×4, first 2 shown]
	v_add_co_u32_e32 v8, vcc, v17, v40
	v_addc_co_u32_e32 v9, vcc, v81, v41, vcc
	v_add_co_u32_e32 v10, vcc, v17, v42
	v_addc_co_u32_e32 v11, vcc, v81, v43, vcc
	;; [unrolled: 2-line block ×4, first 2 shown]
	s_waitcnt vmcnt(0) lgkmcnt(0)
	ds_write_b16 v93, v133 offset:11264
	ds_write_b16 v94, v134 offset:11264
	;; [unrolled: 1-line block ×4, first 2 shown]
	flat_load_ushort v8, v[8:9]
	s_nop 0
	flat_load_ushort v9, v[10:11]
	s_nop 0
	flat_load_ushort v10, v[12:13]
	flat_load_ushort v11, v[14:15]
.LBB9_271:                              ;   in Loop: Header=BB9_266 Depth=1
	s_or_b64 exec, exec, s[40:41]
	s_waitcnt vmcnt(0) lgkmcnt(0)
	ds_write_b16 v97, v8 offset:11264
	ds_write_b16 v98, v9 offset:11264
	;; [unrolled: 1-line block ×4, first 2 shown]
.LBB9_272:                              ;   in Loop: Header=BB9_266 Depth=1
	s_mul_hi_i32 s41, s38, s92
	s_mul_i32 s40, s38, s92
	s_lshl_b64 s[40:41], s[40:41], 2
	s_add_u32 s39, s44, s40
	s_addc_u32 s53, s45, s41
	buffer_store_dword v90, off, s[0:3], 0
	buffer_store_dword v90, off, s[0:3], 0 offset:4
	buffer_store_dword v90, off, s[0:3], 0 offset:8
	;; [unrolled: 1-line block ×3, first 2 shown]
	s_and_saveexec_b64 s[40:41], s[6:7]
	s_cbranch_execz .LBB9_274
; %bb.273:                              ;   in Loop: Header=BB9_266 Depth=1
	v_mov_b32_e32 v8, s53
	v_add_co_u32_e32 v9, vcc, s39, v48
	v_addc_co_u32_e32 v10, vcc, v8, v49, vcc
	v_lshlrev_b32_e32 v8, 2, v28
	v_add_co_u32_e32 v8, vcc, v9, v8
	v_addc_co_u32_e32 v9, vcc, 0, v10, vcc
	global_load_dwordx4 v[8:11], v[8:9], off offset:128
	s_waitcnt vmcnt(0)
	ds_write_b128 v103, v[8:11]
.LBB9_274:                              ;   in Loop: Header=BB9_266 Depth=1
	s_or_b64 exec, exec, s[40:41]
	v_mov_b32_e32 v8, s53
	v_add_co_u32_e32 v9, vcc, s39, v50
	v_addc_co_u32_e32 v8, vcc, v8, v51, vcc
	v_add_co_u32_e32 v10, vcc, v9, v128
	v_addc_co_u32_e32 v8, vcc, 0, v8, vcc
	v_mov_b32_e32 v13, s37
	v_mov_b32_e32 v12, s36
	v_cndmask_b32_e64 v9, v13, v8, s[30:31]
	v_cndmask_b32_e64 v8, v12, v10, s[30:31]
	flat_load_dwordx4 v[8:11], v[8:9]
	v_mov_b32_e32 v14, s53
	v_add_co_u32_e32 v15, vcc, s39, v52
	v_addc_co_u32_e32 v14, vcc, v14, v53, vcc
	v_add_co_u32_e32 v15, vcc, v15, v128
	v_addc_co_u32_e32 v14, vcc, 0, v14, vcc
	v_cndmask_b32_e64 v12, v12, v15, s[10:11]
	v_cndmask_b32_e64 v13, v13, v14, s[10:11]
	v_add_u32_e32 v17, 0x1000, v25
	s_and_b64 vcc, exec, s[28:29]
	s_waitcnt vmcnt(0) lgkmcnt(0)
	ds_write_b128 v126, v[8:11]
	flat_load_dwordx4 v[8:11], v[12:13]
	s_waitcnt vmcnt(0) lgkmcnt(0)
	ds_write_b128 v127, v[8:11]
	s_waitcnt lgkmcnt(0)
	s_barrier
	ds_read2_b64 v[8:11], v25 offset1:4
	ds_read2_b64 v[134:137], v17 offset0:192 offset1:196
	s_waitcnt lgkmcnt(1)
	v_mfma_f32_16x16x16f16 v[12:15], v[8:9], v[4:5], 0
	s_waitcnt lgkmcnt(0)
	v_mfma_f32_16x16x16f16 v[138:141], v[134:135], v[4:5], 0
	v_mfma_f32_16x16x16f16 v[8:11], v[10:11], v[6:7], v[12:15]
	;; [unrolled: 1-line block ×3, first 2 shown]
	ds_read2_b64 v[134:137], v25 offset0:8 offset1:12
	s_nop 7
	ds_read2_b64 v[138:141], v17 offset0:200 offset1:204
	s_waitcnt lgkmcnt(1)
	v_mfma_f32_16x16x16f16 v[8:11], v[134:135], v[0:1], v[8:11]
	s_waitcnt lgkmcnt(0)
	v_mfma_f32_16x16x16f16 v[12:15], v[138:139], v[0:1], v[12:15]
	v_mfma_f32_16x16x16f16 v[8:11], v[136:137], v[2:3], v[8:11]
	v_mfma_f32_16x16x16f16 v[134:137], v[140:141], v[2:3], v[12:15]
	s_nop 7
	s_nop 0
	ds_read_b64 v[12:13], v25 offset:128
	ds_read_b64 v[138:139], v25 offset:5760
	s_waitcnt lgkmcnt(0)
	s_barrier
	v_mfma_f32_16x16x16f16 v[12:15], v[12:13], v[22:23], v[8:11]
	v_mfma_f32_16x16x16f16 v[8:11], v[138:139], v[22:23], v[134:137]
	s_cbranch_vccnz .LBB9_276
; %bb.275:                              ;   in Loop: Header=BB9_266 Depth=1
	s_nop 5
	ds_read2_b32 v[134:135], v129 offset1:1
	ds_read_b32 v81, v104 offset:11264
	ds_read_b32 v133, v105 offset:11264
	v_mov_b32_e32 v17, v16
	s_waitcnt lgkmcnt(2)
	v_cvt_f32_f16_e32 v136, v134
	v_cvt_f32_f16_sdwa v137, v134 dst_sel:DWORD dst_unused:UNUSED_PAD src0_sel:WORD_1
	v_cvt_f32_f16_e32 v134, v135
	v_cvt_f32_f16_sdwa v135, v135 dst_sel:DWORD dst_unused:UNUSED_PAD src0_sel:WORD_1
	s_waitcnt lgkmcnt(1)
	v_cvt_f32_f16_sdwa v139, v81 dst_sel:DWORD dst_unused:UNUSED_PAD src0_sel:WORD_1
	s_waitcnt lgkmcnt(0)
	v_cvt_f32_f16_sdwa v141, v133 dst_sel:DWORD dst_unused:UNUSED_PAD src0_sel:WORD_1
	v_cvt_f32_f16_e32 v140, v133
	v_cvt_f32_f16_e32 v138, v81
	v_pk_fma_f32 v[14:15], v[16:17], v[134:135], v[14:15]
	v_pk_fma_f32 v[12:13], v[30:31], v[136:137], v[12:13]
	;; [unrolled: 1-line block ×4, first 2 shown]
.LBB9_276:                              ;   in Loop: Header=BB9_266 Depth=1
	s_nop 7
	s_nop 0
	v_add_f32_e32 v17, 0x40051340, v12
	v_max_f32_e32 v81, v131, v131
	v_max_f32_e32 v17, v81, v17
	v_cndmask_b32_e64 v17, v131, v17, s[12:13]
	v_add_f32_e32 v81, 0x40051340, v13
	v_max_f32_e32 v133, v17, v17
	v_max_f32_e32 v81, v133, v81
	v_cndmask_b32_e64 v17, v17, v81, s[14:15]
	;; [unrolled: 4-line block ×8, first 2 shown]
	ds_bpermute_b32 v81, v101, v17
	v_max_f32_e32 v17, v17, v17
	s_mul_hi_i32 s29, s38, s78
	s_mul_i32 s28, s38, s78
	s_lshl_b64 s[28:29], s[28:29], 2
	s_waitcnt lgkmcnt(0)
	v_max_f32_e32 v81, v81, v81
	v_max_f32_e32 v17, v17, v81
	ds_bpermute_b32 v81, v102, v17
	s_add_u32 s39, s33, s28
	s_addc_u32 s40, s42, s29
	buffer_store_dword v90, off, s[0:3], 0
	buffer_store_dword v90, off, s[0:3], 0 offset:4
	buffer_store_dword v90, off, s[0:3], 0 offset:8
	;; [unrolled: 1-line block ×3, first 2 shown]
	s_and_saveexec_b64 s[28:29], s[6:7]
	s_cbranch_execz .LBB9_278
; %bb.277:                              ;   in Loop: Header=BB9_266 Depth=1
	v_mov_b32_e32 v133, s40
	v_add_co_u32_e32 v134, vcc, s39, v54
	v_addc_co_u32_e32 v133, vcc, v133, v55, vcc
	v_lshlrev_b32_e32 v135, 2, v28
	v_add_co_u32_e32 v134, vcc, v134, v135
	v_addc_co_u32_e32 v135, vcc, 0, v133, vcc
	global_load_dwordx4 v[134:137], v[134:135], off offset:128
	s_waitcnt vmcnt(0)
	ds_write_b128 v103, v[134:137]
.LBB9_278:                              ;   in Loop: Header=BB9_266 Depth=1
	s_or_b64 exec, exec, s[28:29]
	s_waitcnt lgkmcnt(0)
	v_max_f32_e32 v81, v81, v81
	v_max_f32_e32 v17, v17, v17
	;; [unrolled: 1-line block ×3, first 2 shown]
	v_sub_f32_e32 v17, v12, v81
	v_mul_f32_e32 v12, 0x3fb8aa3b, v17
	v_fma_f32 v133, v17, s48, -v12
	v_rndne_f32_e32 v134, v12
	v_fmac_f32_e32 v133, 0x32a5705f, v17
	v_sub_f32_e32 v12, v12, v134
	v_add_f32_e32 v12, v12, v133
	v_exp_f32_e32 v12, v12
	v_cvt_i32_f32_e32 v133, v134
	v_cmp_ngt_f32_e32 vcc, s49, v17
	v_sub_f32_e32 v138, v13, v81
	v_mov_b32_e32 v141, s37
	v_ldexp_f32 v12, v12, v133
	v_cndmask_b32_e32 v133, 0, v12, vcc
	v_mul_f32_e32 v12, 0x3fb8aa3b, v138
	v_fma_f32 v13, v138, s48, -v12
	v_rndne_f32_e32 v134, v12
	v_fmac_f32_e32 v13, 0x32a5705f, v138
	v_sub_f32_e32 v12, v12, v134
	v_add_f32_e32 v12, v12, v13
	v_exp_f32_e32 v139, v12
	v_mov_b32_e32 v12, s40
	v_add_co_u32_e32 v13, vcc, s39, v56
	v_addc_co_u32_e32 v12, vcc, v12, v57, vcc
	v_cvt_i32_f32_e32 v140, v134
	v_add_co_u32_e32 v134, vcc, v13, v128
	v_addc_co_u32_e32 v12, vcc, 0, v12, vcc
	v_mov_b32_e32 v142, s36
	v_cndmask_b32_e64 v13, v141, v12, s[30:31]
	v_cndmask_b32_e64 v12, v142, v134, s[30:31]
	flat_load_dwordx4 v[134:137], v[12:13]
	v_cmp_nlt_f32_e32 vcc, s50, v17
	v_cndmask_b32_e64 v14, v14, v14, s[14:15]
	v_cndmask_b32_e32 v12, v130, v133, vcc
	v_ldexp_f32 v13, v139, v140
	v_cmp_ngt_f32_e32 vcc, s49, v138
	v_sub_f32_e32 v14, v14, v81
	v_cndmask_b32_e32 v13, 0, v13, vcc
	v_cmp_nlt_f32_e32 vcc, s50, v138
	v_mul_f32_e32 v138, 0x3fb8aa3b, v14
	v_fma_f32 v139, v14, s48, -v138
	v_rndne_f32_e32 v140, v138
	v_fmac_f32_e32 v139, 0x32a5705f, v14
	v_sub_f32_e32 v138, v138, v140
	v_add_f32_e32 v138, v138, v139
	v_exp_f32_e32 v138, v138
	v_cvt_i32_f32_e32 v139, v140
	v_cndmask_b32_e64 v12, 0, v12, s[12:13]
	v_cndmask_b32_e32 v17, v130, v13, vcc
	v_mov_b32_e32 v13, s47
	v_cndmask_b32_e64 v15, v15, v15, s[14:15]
	v_add_f32_e32 v133, v17, v12
	v_cndmask_b32_e64 v140, v13, v17, s[14:15]
	v_ldexp_f32 v17, v138, v139
	v_cmp_ngt_f32_e32 vcc, s49, v14
	v_sub_f32_e32 v15, v15, v81
	v_cndmask_b32_e32 v17, 0, v17, vcc
	v_cmp_nlt_f32_e32 vcc, s50, v14
	v_mul_f32_e32 v14, 0x3fb8aa3b, v15
	v_fma_f32 v138, v15, s48, -v14
	v_rndne_f32_e32 v139, v14
	v_fmac_f32_e32 v138, 0x32a5705f, v15
	v_sub_f32_e32 v14, v14, v139
	v_add_f32_e32 v14, v14, v138
	v_exp_f32_e32 v138, v14
	v_cvt_i32_f32_e32 v139, v139
	v_cndmask_b32_e64 v13, v12, v133, s[14:15]
	v_cndmask_b32_e32 v17, v130, v17, vcc
	v_mov_b32_e32 v14, s47
	v_sub_f32_e32 v8, v8, v81
	v_add_f32_e32 v133, v13, v17
	v_cndmask_b32_e64 v143, v14, v17, s[16:17]
	v_mul_f32_e32 v17, 0x3fb8aa3b, v8
	v_cndmask_b32_e64 v13, v13, v133, s[16:17]
	v_ldexp_f32 v14, v138, v139
	v_fma_f32 v133, v8, s48, -v17
	v_rndne_f32_e32 v138, v17
	v_fmac_f32_e32 v133, 0x32a5705f, v8
	v_sub_f32_e32 v17, v17, v138
	v_add_f32_e32 v17, v17, v133
	v_cmp_ngt_f32_e32 vcc, s49, v15
	v_exp_f32_e32 v17, v17
	v_cvt_i32_f32_e32 v133, v138
	v_cndmask_b32_e32 v14, 0, v14, vcc
	v_cmp_nlt_f32_e32 vcc, s50, v15
	v_cndmask_b32_e32 v15, v130, v14, vcc
	v_add_f32_e32 v14, v13, v15
	v_cndmask_b32_e64 v13, v13, v14, s[18:19]
	v_ldexp_f32 v14, v17, v133
	v_cmp_ngt_f32_e32 vcc, s49, v8
	v_cndmask_b32_e32 v14, 0, v14, vcc
	v_cmp_nlt_f32_e32 vcc, s50, v8
	v_cndmask_b32_e32 v14, v130, v14, vcc
	v_add_f32_e32 v17, v14, v13
	v_mov_b32_e32 v8, s47
	v_cndmask_b32_e64 v9, v9, v9, s[20:21]
	v_cndmask_b32_e64 v139, v8, v14, s[20:21]
	;; [unrolled: 1-line block ×3, first 2 shown]
	v_sub_f32_e32 v13, v9, v81
	v_mul_f32_e32 v8, 0x3fb8aa3b, v13
	v_cndmask_b32_e64 v138, v10, v10, s[20:21]
	v_fma_f32 v9, v13, s48, -v8
	v_rndne_f32_e32 v10, v8
	v_fmac_f32_e32 v9, 0x32a5705f, v13
	v_sub_f32_e32 v8, v8, v10
	v_add_f32_e32 v8, v8, v9
	v_exp_f32_e32 v17, v8
	v_mov_b32_e32 v8, s40
	v_add_co_u32_e32 v9, vcc, s39, v58
	v_addc_co_u32_e32 v8, vcc, v8, v59, vcc
	v_cvt_i32_f32_e32 v144, v10
	v_add_co_u32_e32 v10, vcc, v9, v128
	v_addc_co_u32_e32 v8, vcc, 0, v8, vcc
	s_waitcnt vmcnt(0) lgkmcnt(0)
	ds_write_b128 v126, v[134:137]
	v_cndmask_b32_e64 v9, v141, v8, s[10:11]
	v_cndmask_b32_e64 v8, v142, v10, s[10:11]
	;; [unrolled: 1-line block ×3, first 2 shown]
	flat_load_dwordx4 v[8:11], v[8:9]
	v_ldexp_f32 v17, v17, v144
	v_cmp_ngt_f32_e32 vcc, s49, v13
	v_sub_f32_e32 v135, v138, v81
	v_cndmask_b32_e32 v17, 0, v17, vcc
	v_cmp_nlt_f32_e32 vcc, s50, v13
	v_mul_f32_e32 v13, 0x3fb8aa3b, v135
	v_fma_f32 v136, v135, s48, -v13
	v_rndne_f32_e32 v137, v13
	v_fmac_f32_e32 v136, 0x32a5705f, v135
	v_sub_f32_e32 v13, v13, v137
	v_add_f32_e32 v13, v13, v136
	v_exp_f32_e32 v136, v13
	v_cvt_i32_f32_e32 v137, v137
	v_cndmask_b32_e32 v17, v130, v17, vcc
	v_add_f32_e32 v134, v17, v14
	v_mov_b32_e32 v13, s47
	v_cndmask_b32_e64 v138, v13, v17, s[22:23]
	v_cndmask_b32_e64 v13, v14, v134, s[22:23]
	v_ldexp_f32 v14, v136, v137
	v_cmp_ngt_f32_e32 vcc, s49, v135
	v_cndmask_b32_e32 v14, 0, v14, vcc
	v_cmp_nlt_f32_e32 vcc, s50, v135
	v_sub_f32_e32 v133, v133, v81
	v_cndmask_b32_e32 v17, v130, v14, vcc
	v_mul_f32_e32 v14, 0x3fb8aa3b, v133
	v_fma_f32 v135, v133, s48, -v14
	v_rndne_f32_e32 v136, v14
	v_fmac_f32_e32 v135, 0x32a5705f, v133
	v_sub_f32_e32 v14, v14, v136
	v_add_f32_e32 v14, v14, v135
	v_exp_f32_e32 v135, v14
	v_cvt_i32_f32_e32 v136, v136
	v_add_f32_e32 v134, v17, v13
	v_sub_f32_e32 v131, v131, v81
	v_mov_b32_e32 v14, s47
	v_cndmask_b32_e64 v13, v13, v134, s[24:25]
	v_mul_f32_e32 v134, 0x3fb8aa3b, v131
	v_cndmask_b32_e64 v14, v14, v17, s[24:25]
	v_ldexp_f32 v17, v135, v136
	v_fma_f32 v135, v131, s48, -v134
	v_rndne_f32_e32 v136, v134
	v_fmac_f32_e32 v135, 0x32a5705f, v131
	v_sub_f32_e32 v134, v134, v136
	v_add_f32_e32 v134, v134, v135
	v_exp_f32_e32 v134, v134
	v_cvt_i32_f32_e32 v135, v136
	v_cmp_ngt_f32_e32 vcc, s49, v133
	v_cndmask_b32_e32 v17, 0, v17, vcc
	v_cmp_nlt_f32_e32 vcc, s50, v133
	v_cndmask_b32_e32 v133, v130, v17, vcc
	v_ldexp_f32 v17, v134, v135
	v_cmp_ngt_f32_e32 vcc, s49, v131
	v_cndmask_b32_e32 v17, 0, v17, vcc
	v_cmp_nlt_f32_e32 vcc, s50, v131
	v_cndmask_b32_e32 v17, v130, v17, vcc
	v_cmp_le_f32_e32 vcc, s51, v131
	v_cndmask_b32_e32 v131, 0, v17, vcc
	v_add_f32_e32 v17, v133, v13
	v_cvt_f16_f32_e32 v136, v131
	v_cndmask_b32_e64 v17, v13, v17, s[26:27]
	v_fmac_f32_e32 v17, v132, v131
	v_cvt_f16_f32_e32 v132, v12
	v_mov_b32_e32 v13, s47
	v_pk_mul_f16 v75, v136, v75 op_sel_hi:[0,1]
	v_pk_mul_f16 v131, v136, v70 op_sel_hi:[0,1]
	v_cndmask_b32_e64 v70, v13, v133, s[26:27]
	v_cndmask_b32_e64 v13, v13, v15, s[18:19]
	v_pk_mul_f16 v137, v136, v71 op_sel_hi:[0,1]
	v_cvt_f16_f32_e32 v15, v139
	v_cvt_f16_f32_e32 v71, v138
	v_cvt_f16_f32_e32 v133, v140
	v_cvt_f16_f32_e32 v134, v143
	v_cvt_f16_f32_e32 v135, v13
	v_pk_mul_f16 v74, v136, v74 op_sel_hi:[0,1]
	v_pack_b32_f16 v132, v132, v133
	v_cvt_f16_f32_e32 v14, v14
	v_pack_b32_f16 v133, v134, v135
	v_cvt_f16_f32_e32 v70, v70
	v_pk_mul_f16 v76, v136, v76 op_sel_hi:[0,1]
	s_waitcnt vmcnt(0) lgkmcnt(0)
	ds_write_b128 v127, v[8:11]
	s_waitcnt lgkmcnt(0)
	s_barrier
	ds_read_u16 v11, v107 offset:176
	ds_read_u16 v12, v107 offset:352
	v_cvt_f32_f16_e32 v8, v75
	v_cvt_f32_f16_sdwa v9, v75 dst_sel:DWORD dst_unused:UNUSED_PAD src0_sel:WORD_1
	ds_read_u16 v75, v109 offset:352
	ds_read_u16 v13, v108
	ds_read_u16 v138, v108 offset:32
	ds_read_u16 v139, v108 offset:64
	;; [unrolled: 1-line block ×6, first 2 shown]
	v_cvt_f32_f16_e32 v10, v74
	s_waitcnt lgkmcnt(6)
	v_perm_b32 v13, v13, v12, s52
	ds_read_u16 v12, v106
	ds_read_u16 v144, v106 offset:32
	ds_read_u16 v145, v106 offset:64
	;; [unrolled: 1-line block ×5, first 2 shown]
	s_waitcnt lgkmcnt(5)
	v_perm_b32 v12, v11, v12, s52
	v_cvt_f32_f16_sdwa v11, v74 dst_sel:DWORD dst_unused:UNUSED_PAD src0_sel:WORD_1
	v_pack_b32_f16 v134, v15, v71
	v_pack_b32_f16 v135, v14, v70
	v_mfma_f32_16x16x16f16 v[8:11], v[12:13], v[132:133], v[8:11]
	v_perm_b32 v13, v142, v75, s52
	s_waitcnt lgkmcnt(1)
	v_perm_b32 v12, v141, v147, s52
	v_cvt_f32_f16_e32 v14, v131
	v_pk_mul_f16 v72, v136, v72 op_sel_hi:[0,1]
	v_pk_mul_f16 v73, v136, v73 op_sel_hi:[0,1]
	;; [unrolled: 1-line block ×3, first 2 shown]
	s_add_i32 s46, s46, 1
	s_nop 2
	v_cvt_f16_f32_e32 v8, v8
	v_cvt_f16_f32_e32 v9, v9
	;; [unrolled: 1-line block ×4, first 2 shown]
	v_cvt_f32_f16_e32 v8, v8
	v_cvt_f32_f16_e32 v9, v9
	;; [unrolled: 1-line block ×4, first 2 shown]
	v_cmp_lt_i32_e32 vcc, s46, v89
	s_and_b64 vcc, exec, vcc
	v_mfma_f32_16x16x16f16 v[8:11], v[12:13], v[134:135], v[8:11]
	v_cvt_f32_f16_e32 v12, v76
	v_cvt_f32_f16_sdwa v13, v76 dst_sel:DWORD dst_unused:UNUSED_PAD src0_sel:WORD_1
	ds_read_u16 v15, v110 offset:176
	ds_read_u16 v70, v110 offset:352
	;; [unrolled: 1-line block ×8, first 2 shown]
	s_waitcnt lgkmcnt(6)
	v_perm_b32 v71, v138, v70, s52
	v_perm_b32 v70, v15, v144, s52
	v_cvt_f32_f16_sdwa v15, v131 dst_sel:DWORD dst_unused:UNUSED_PAD src0_sel:WORD_1
	v_pk_mul_f16 v131, v136, v67 op_sel_hi:[0,1]
	v_cvt_f16_f32_e32 v138, v8
	v_mfma_f32_16x16x16f16 v[12:15], v[70:71], v[132:133], v[12:15]
	v_pk_mul_f16 v136, v136, v66 op_sel_hi:[0,1]
	s_waitcnt lgkmcnt(2)
	v_perm_b32 v67, v141, v76, s52
	v_perm_b32 v66, v75, v74, s52
	v_cvt_f16_f32_e32 v70, v9
	v_cvt_f16_f32_e32 v71, v10
	v_cvt_f16_f32_e32 v74, v11
	s_add_i32 s38, s38, 64
	s_nop 2
	v_cvt_f16_f32_e32 v8, v12
	v_cvt_f16_f32_e32 v13, v13
	;; [unrolled: 1-line block ×4, first 2 shown]
	v_cvt_f32_f16_e32 v12, v8
	v_cvt_f32_f16_e32 v13, v13
	;; [unrolled: 1-line block ×4, first 2 shown]
	v_pack_b32_f16 v75, v138, v70
	v_pack_b32_f16 v74, v71, v74
	v_mfma_f32_16x16x16f16 v[8:11], v[66:67], v[134:135], v[12:15]
	s_waitcnt lgkmcnt(0)
	v_perm_b32 v67, v139, v147, s52
	v_perm_b32 v66, v142, v145, s52
	s_nop 3
	v_cvt_f32_f16_e32 v12, v72
	v_cvt_f32_f16_sdwa v13, v72 dst_sel:DWORD dst_unused:UNUSED_PAD src0_sel:WORD_1
	v_cvt_f32_f16_e32 v14, v137
	v_cvt_f32_f16_sdwa v15, v137 dst_sel:DWORD dst_unused:UNUSED_PAD src0_sel:WORD_1
	v_cvt_f16_f32_e32 v70, v8
	v_cvt_f16_f32_e32 v139, v10
	v_mfma_f32_16x16x16f16 v[12:15], v[66:67], v[132:133], v[12:15]
	v_cvt_f16_f32_e32 v141, v11
	s_nop 7
	s_nop 1
	v_cvt_f16_f32_e32 v8, v12
	v_cvt_f16_f32_e32 v13, v13
	;; [unrolled: 1-line block ×4, first 2 shown]
	v_cvt_f32_f16_e32 v12, v8
	ds_read_u16 v8, v115 offset:5632
	ds_read_u16 v66, v116 offset:176
	ds_read_u16 v67, v116 offset:352
	ds_read_u16 v71, v117 offset:5632
	ds_read_u16 v72, v118 offset:176
	ds_read_u16 v76, v118 offset:352
	ds_read_u16 v137, v119 offset:5632
	ds_read_u16 v138, v120 offset:176
	s_waitcnt lgkmcnt(4)
	v_perm_b32 v67, v71, v67, s52
	v_perm_b32 v66, v66, v8, s52
	v_cvt_f32_f16_e32 v13, v13
	v_cvt_f32_f16_e32 v14, v14
	;; [unrolled: 1-line block ×3, first 2 shown]
	v_cvt_f16_f32_e32 v71, v9
	s_nop 0
	v_mfma_f32_16x16x16f16 v[8:11], v[66:67], v[134:135], v[12:15]
	s_waitcnt lgkmcnt(2)
	v_perm_b32 v67, v140, v76, s52
	v_perm_b32 v66, v72, v146, s52
	v_pack_b32_f16 v76, v70, v71
	v_pack_b32_f16 v70, v139, v141
	s_nop 1
	v_cvt_f32_f16_e32 v12, v73
	v_cvt_f32_f16_sdwa v13, v73 dst_sel:DWORD dst_unused:UNUSED_PAD src0_sel:WORD_1
	v_cvt_f32_f16_e32 v14, v69
	v_cvt_f32_f16_sdwa v15, v69 dst_sel:DWORD dst_unused:UNUSED_PAD src0_sel:WORD_1
	v_cvt_f16_f32_e32 v69, v8
	v_cvt_f16_f32_e32 v142, v11
	v_mfma_f32_16x16x16f16 v[12:15], v[66:67], v[132:133], v[12:15]
	s_nop 7
	s_nop 2
	v_cvt_f16_f32_e32 v8, v12
	v_cvt_f16_f32_e32 v13, v13
	v_cvt_f16_f32_e32 v14, v14
	v_cvt_f16_f32_e32 v15, v15
	v_cvt_f32_f16_e32 v12, v8
	ds_read_u16 v8, v120 offset:352
	ds_read_u16 v66, v121 offset:5632
	;; [unrolled: 1-line block ×8, first 2 shown]
	s_waitcnt lgkmcnt(6)
	v_perm_b32 v67, v66, v8, s52
	v_perm_b32 v66, v138, v137, s52
	v_cvt_f32_f16_e32 v13, v13
	v_cvt_f32_f16_e32 v14, v14
	;; [unrolled: 1-line block ×3, first 2 shown]
	v_cvt_f16_f32_e32 v137, v9
	v_cvt_f16_f32_e32 v138, v10
	v_mfma_f32_16x16x16f16 v[8:11], v[66:67], v[134:135], v[12:15]
	s_waitcnt lgkmcnt(4)
	v_perm_b32 v67, v143, v72, s52
	v_perm_b32 v66, v71, v148, s52
	v_pack_b32_f16 v72, v69, v137
	v_pack_b32_f16 v71, v138, v142
	s_nop 1
	v_cvt_f32_f16_e32 v12, v131
	v_cvt_f32_f16_sdwa v13, v131 dst_sel:DWORD dst_unused:UNUSED_PAD src0_sel:WORD_1
	v_cvt_f32_f16_e32 v14, v136
	v_cvt_f32_f16_sdwa v15, v136 dst_sel:DWORD dst_unused:UNUSED_PAD src0_sel:WORD_1
	v_cvt_f16_f32_e32 v69, v8
	v_cvt_f16_f32_e32 v131, v10
	v_mfma_f32_16x16x16f16 v[12:15], v[66:67], v[132:133], v[12:15]
	s_waitcnt lgkmcnt(0)
	v_perm_b32 v67, v141, v140, s52
	v_perm_b32 v66, v139, v73, s52
	v_cvt_f16_f32_e32 v73, v9
	v_cvt_f16_f32_e32 v132, v11
	s_barrier
	v_pack_b32_f16 v73, v69, v73
	s_nop 3
	v_cvt_f16_f32_e32 v8, v12
	v_cvt_f16_f32_e32 v13, v13
	;; [unrolled: 1-line block ×4, first 2 shown]
	v_cvt_f32_f16_e32 v12, v8
	v_cvt_f32_f16_e32 v13, v13
	;; [unrolled: 1-line block ×4, first 2 shown]
	v_pack_b32_f16 v69, v131, v132
	s_nop 0
	v_mfma_f32_16x16x16f16 v[8:11], v[66:67], v[134:135], v[12:15]
	s_nop 7
	s_nop 2
	v_cvt_f16_f32_e32 v8, v8
	v_cvt_f16_f32_e32 v9, v9
	;; [unrolled: 1-line block ×4, first 2 shown]
	v_pack_b32_f16 v67, v8, v9
	v_pack_b32_f16 v66, v10, v11
	s_cbranch_vccz .LBB9_282
; %bb.279:                              ;   in Loop: Header=BB9_266 Depth=1
	v_mov_b32_e32 v132, v17
	v_mov_b32_e32 v131, v81
	s_branch .LBB9_266
.LBB9_280:
                                        ; implicit-def: $sgpr10_sgpr11
                                        ; kill: killed $sgpr10_sgpr11
	s_load_dwordx2 s[90:91], s[4:5], 0x5c
	s_branch .LBB9_7
.LBB9_281:
	v_mov_b32_e32 v17, 0
	v_mov_b32_e32 v81, 0xfeffffff
	;; [unrolled: 1-line block ×11, first 2 shown]
.LBB9_282:
	s_lshl_b32 s28, s46, 6
	v_readlane_b32 s4, v215, 4
	s_sub_i32 s30, s4, s28
	s_cmp_lg_u64 s[8:9], 0
	s_cselect_b64 s[6:7], -1, 0
	s_ashr_i32 s29, s28, 31
	s_cmp_eq_u64 s[8:9], 0
	v_readlane_b32 s5, v215, 5
	s_cbranch_scc1 .LBB9_300
; %bb.283:
	s_lshl_b64 s[4:5], s[28:29], 1
	s_add_u32 s4, s8, s4
	s_addc_u32 s5, s9, s5
	v_mov_b32_e32 v9, s5
	v_add_co_u32_e64 v8, s[4:5], s4, v88
	v_cmp_gt_i32_e32 vcc, s30, v21
	v_mov_b32_e32 v10, 0
	v_addc_co_u32_e64 v9, s[4:5], 0, v9, s[4:5]
	v_mov_b32_e32 v12, 0
	s_and_saveexec_b64 s[8:9], vcc
	s_cbranch_execz .LBB9_285
; %bb.284:
	v_add_u32_e32 v11, s43, v82
	v_mul_hi_u32 v12, s90, v11
	v_add_u32_e32 v12, v11, v12
	v_lshrrev_b32_e32 v12, s91, v12
	v_mul_lo_u32 v12, v12, s76
	v_sub_u32_e32 v11, v11, v12
	v_mad_i64_i32 v[12:13], s[4:5], v11, s66, 0
	v_lshlrev_b64 v[12:13], 1, v[12:13]
	v_add_co_u32_e64 v12, s[4:5], v8, v12
	v_addc_co_u32_e64 v13, s[4:5], v9, v13, s[4:5]
	flat_load_ushort v12, v[12:13]
.LBB9_285:
	s_or_b64 exec, exec, s[8:9]
	s_movk_i32 s4, 0x90
	v_mad_u32_u24 v11, v82, s4, 0
	v_lshl_add_u32 v13, v21, 1, v11
	s_waitcnt vmcnt(0) lgkmcnt(0)
	ds_write_b16 v13, v12 offset:11264
	s_and_saveexec_b64 s[8:9], vcc
	s_cbranch_execz .LBB9_287
; %bb.286:
	v_add3_u32 v10, v82, s43, 4
	v_mul_hi_u32 v12, s90, v10
	v_add_u32_e32 v12, v10, v12
	v_lshrrev_b32_e32 v12, s91, v12
	v_mul_lo_u32 v12, v12, s76
	v_sub_u32_e32 v10, v10, v12
	v_mad_i64_i32 v[12:13], s[4:5], v10, s66, 0
	v_lshlrev_b64 v[12:13], 1, v[12:13]
	v_add_co_u32_e64 v12, s[4:5], v8, v12
	v_addc_co_u32_e64 v13, s[4:5], v9, v13, s[4:5]
	flat_load_ushort v10, v[12:13]
.LBB9_287:
	s_or_b64 exec, exec, s[8:9]
	v_add_u32_e32 v11, 0x240, v11
	v_lshl_add_u32 v12, v21, 1, v11
	s_waitcnt vmcnt(0) lgkmcnt(0)
	ds_write_b16 v12, v10 offset:11264
	v_mov_b32_e32 v10, 0
	v_mov_b32_e32 v12, 0
	s_and_saveexec_b64 s[8:9], vcc
	s_cbranch_execz .LBB9_289
; %bb.288:
	v_add3_u32 v12, v82, s43, 8
	v_mul_hi_u32 v13, s90, v12
	v_add_u32_e32 v13, v12, v13
	v_lshrrev_b32_e32 v13, s91, v13
	v_mul_lo_u32 v13, v13, s76
	v_sub_u32_e32 v12, v12, v13
	v_mad_i64_i32 v[12:13], s[4:5], v12, s66, 0
	v_lshlrev_b64 v[12:13], 1, v[12:13]
	v_add_co_u32_e64 v12, s[4:5], v8, v12
	v_addc_co_u32_e64 v13, s[4:5], v9, v13, s[4:5]
	flat_load_ushort v12, v[12:13]
.LBB9_289:
	s_or_b64 exec, exec, s[8:9]
	v_add_u32_e32 v11, 0x240, v11
	v_lshl_add_u32 v13, v21, 1, v11
	s_waitcnt vmcnt(0) lgkmcnt(0)
	ds_write_b16 v13, v12 offset:11264
	s_and_saveexec_b64 s[8:9], vcc
	s_cbranch_execz .LBB9_291
; %bb.290:
	v_add3_u32 v10, v82, s43, 12
	v_mul_hi_u32 v12, s90, v10
	v_add_u32_e32 v12, v10, v12
	v_lshrrev_b32_e32 v12, s91, v12
	v_mul_lo_u32 v12, v12, s76
	v_sub_u32_e32 v10, v10, v12
	v_mad_i64_i32 v[12:13], s[4:5], v10, s66, 0
	v_lshlrev_b64 v[12:13], 1, v[12:13]
	v_add_co_u32_e64 v12, s[4:5], v8, v12
	v_addc_co_u32_e64 v13, s[4:5], v9, v13, s[4:5]
	flat_load_ushort v10, v[12:13]
.LBB9_291:
	s_or_b64 exec, exec, s[8:9]
	v_add_u32_e32 v11, 0x240, v11
	v_lshl_add_u32 v12, v21, 1, v11
	s_waitcnt vmcnt(0) lgkmcnt(0)
	ds_write_b16 v12, v10 offset:11264
	v_mov_b32_e32 v10, 0
	v_mov_b32_e32 v12, 0
	s_and_saveexec_b64 s[8:9], vcc
	s_cbranch_execz .LBB9_293
; %bb.292:
	v_add3_u32 v12, v82, s43, 16
	v_mul_hi_u32 v13, s90, v12
	v_add_u32_e32 v13, v12, v13
	v_lshrrev_b32_e32 v13, s91, v13
	v_mul_lo_u32 v13, v13, s76
	v_sub_u32_e32 v12, v12, v13
	v_mad_i64_i32 v[12:13], s[4:5], v12, s66, 0
	v_lshlrev_b64 v[12:13], 1, v[12:13]
	v_add_co_u32_e64 v12, s[4:5], v8, v12
	v_addc_co_u32_e64 v13, s[4:5], v9, v13, s[4:5]
	flat_load_ushort v12, v[12:13]
.LBB9_293:
	s_or_b64 exec, exec, s[8:9]
	v_add_u32_e32 v11, 0x240, v11
	;; [unrolled: 42-line block ×3, first 2 shown]
	v_lshl_add_u32 v11, v21, 1, v11
	s_waitcnt vmcnt(0) lgkmcnt(0)
	ds_write_b16 v11, v12 offset:11264
	s_and_saveexec_b64 s[4:5], vcc
	s_cbranch_execz .LBB9_299
; %bb.298:
	v_add3_u32 v10, v82, s43, 28
	v_mul_hi_u32 v12, s90, v10
	v_add_u32_e32 v12, v10, v12
	v_lshrrev_b32_e32 v12, s91, v12
	v_mul_lo_u32 v12, v12, s76
	v_sub_u32_e32 v10, v10, v12
	v_mad_i64_i32 v[12:13], s[8:9], v10, s66, 0
	v_lshlrev_b64 v[12:13], 1, v[12:13]
	v_add_co_u32_e32 v8, vcc, v8, v12
	v_addc_co_u32_e32 v9, vcc, v9, v13, vcc
	flat_load_ushort v10, v[8:9]
.LBB9_299:
	s_or_b64 exec, exec, s[4:5]
	s_waitcnt vmcnt(0) lgkmcnt(0)
	ds_write_b16 v11, v10 offset:11840
.LBB9_300:
	s_mul_hi_i32 s5, s28, s92
	s_mul_i32 s4, s28, s92
	s_lshl_b64 s[4:5], s[4:5], 2
	s_add_u32 s10, s44, s4
	v_lshl_add_u32 v30, v82, 5, v87
	s_addc_u32 s11, s45, s5
	s_mov_b64 s[4:5], src_private_base
	v_mov_b32_e32 v8, 0
	v_cmp_gt_u32_e64 s[24:25], 64, v30
	buffer_store_dword v8, off, s[0:3], 0
	buffer_store_dword v8, off, s[0:3], 0 offset:4
	buffer_store_dword v8, off, s[0:3], 0 offset:8
	;; [unrolled: 1-line block ×3, first 2 shown]
                                        ; implicit-def: $vgpr31
	s_and_saveexec_b64 s[8:9], s[24:25]
	s_xor_b64 s[8:9], exec, s[8:9]
	s_cbranch_execz .LBB9_302
; %bb.301:
	v_mul_lo_u32 v8, s92, v30
	v_ashrrev_i32_e32 v9, 31, v8
	v_lshlrev_b64 v[8:9], 2, v[8:9]
	v_mov_b32_e32 v10, s11
	v_add_co_u32_e32 v8, vcc, s10, v8
	v_addc_co_u32_e32 v9, vcc, v10, v9, vcc
	v_lshlrev_b32_e32 v10, 4, v21
	v_and_b32_e32 v12, 16, v10
	v_add_co_u32_e32 v8, vcc, v8, v12
	v_addc_co_u32_e32 v9, vcc, 0, v9, vcc
	v_add_co_u32_e32 v8, vcc, 0x80, v8
	v_addc_co_u32_e32 v9, vcc, 0, v9, vcc
	v_mov_b32_e32 v10, s5
	v_cmp_gt_i32_e32 vcc, s30, v30
	v_cndmask_b32_e32 v9, v10, v9, vcc
	v_mov_b32_e32 v10, 0
	v_cndmask_b32_e32 v8, v10, v8, vcc
	flat_load_dwordx4 v[8:11], v[8:9]
	v_mul_u32_u24_e32 v13, 0xb0, v30
	v_add3_u32 v12, 0, v13, v12
	v_lshlrev_b32_e32 v31, 2, v21
	s_waitcnt vmcnt(0) lgkmcnt(0)
	ds_write_b128 v12, v[8:11] offset:128
.LBB9_302:
	s_andn2_saveexec_b64 s[8:9], s[8:9]
; %bb.303:
	v_lshlrev_b32_e32 v31, 2, v21
; %bb.304:
	s_or_b64 exec, exec, s[8:9]
	v_and_b32_e32 v8, 28, v31
	v_lshlrev_b32_e32 v28, 2, v8
	v_lshlrev_b64 v[8:9], 2, v[26:27]
	v_mov_b32_e32 v10, s11
	v_add_co_u32_e32 v8, vcc, s10, v8
	v_addc_co_u32_e32 v9, vcc, v10, v9, vcc
	v_add_co_u32_e32 v8, vcc, v8, v28
	v_addc_co_u32_e32 v9, vcc, 0, v9, vcc
	v_mov_b32_e32 v14, s5
	v_cmp_gt_i32_e64 s[20:21], s30, v77
	v_mov_b32_e32 v15, 0
	v_cndmask_b32_e64 v9, v14, v9, s[20:21]
	v_cndmask_b32_e64 v8, v15, v8, s[20:21]
	flat_load_dwordx4 v[8:11], v[8:9]
	v_ashrrev_i32_e32 v25, 31, v24
	v_lshlrev_b64 v[12:13], 2, v[24:25]
	v_mov_b32_e32 v27, s11
	v_add_co_u32_e32 v12, vcc, s10, v12
	v_addc_co_u32_e32 v13, vcc, v27, v13, vcc
	v_mul_u32_u24_e32 v26, 0xb0, v77
	v_add_co_u32_e32 v12, vcc, v12, v28
	v_add3_u32 v25, 0, v26, v28
	v_addc_co_u32_e32 v13, vcc, 0, v13, vcc
	v_cmp_gt_i32_e64 s[18:19], s30, v68
	v_cndmask_b32_e64 v13, v14, v13, s[18:19]
	v_cndmask_b32_e64 v12, v15, v12, s[18:19]
	v_and_b32_e32 v26, 16, v83
	s_and_b64 vcc, exec, s[6:7]
	s_waitcnt vmcnt(0) lgkmcnt(0)
	ds_write_b128 v25, v[8:11]
	flat_load_dwordx4 v[8:11], v[12:13]
	v_add_u32_e32 v12, 0, v79
	v_mul_u32_u24_e32 v13, 0xb0, v26
	v_add3_u32 v24, v12, v80, v13
	v_add_u32_e32 v27, 0x1000, v24
	s_waitcnt vmcnt(0) lgkmcnt(0)
	ds_write_b128 v25, v[8:11] offset:5632
	s_waitcnt lgkmcnt(0)
	s_barrier
	ds_read2_b64 v[8:11], v24 offset1:4
	ds_read2_b64 v[32:35], v27 offset0:192 offset1:196
	s_waitcnt lgkmcnt(1)
	v_mfma_f32_16x16x16f16 v[12:15], v[8:9], v[4:5], 0
	s_waitcnt lgkmcnt(0)
	v_mfma_f32_16x16x16f16 v[36:39], v[32:33], v[4:5], 0
	v_mfma_f32_16x16x16f16 v[8:11], v[10:11], v[6:7], v[12:15]
	;; [unrolled: 1-line block ×3, first 2 shown]
	s_nop 6
	ds_read2_b64 v[12:15], v24 offset0:8 offset1:12
	ds_read2_b64 v[32:35], v27 offset0:200 offset1:204
	s_waitcnt lgkmcnt(1)
	v_mfma_f32_16x16x16f16 v[8:11], v[12:13], v[0:1], v[8:11]
	s_waitcnt lgkmcnt(0)
	v_mfma_f32_16x16x16f16 v[4:7], v[32:33], v[0:1], v[4:7]
	v_mfma_f32_16x16x16f16 v[8:11], v[14:15], v[2:3], v[8:11]
	;; [unrolled: 1-line block ×3, first 2 shown]
	s_nop 7
	s_nop 0
	ds_read_b64 v[4:5], v24 offset:128
	ds_read_b64 v[6:7], v24 offset:5760
	v_and_b32_e32 v24, 0xfc, v65
	s_waitcnt lgkmcnt(0)
	s_barrier
	v_mfma_f32_16x16x16f16 v[8:11], v[4:5], v[22:23], v[8:11]
	v_mfma_f32_16x16x16f16 v[12:15], v[6:7], v[22:23], v[0:3]
	v_add_u32_e32 v22, v26, v24
	v_add_u32_e32 v26, 32, v22
	;; [unrolled: 1-line block ×3, first 2 shown]
	s_cbranch_vccz .LBB9_322
; %bb.305:
	s_movk_i32 s4, 0x90
	s_nop 1
	v_mad_u32_u24 v2, v78, s4, 0
	v_lshlrev_b32_e32 v0, 1, v22
	s_movk_i32 s4, 0x2c00
	v_add_u32_e32 v27, 32, v22
	v_add3_u32 v0, v2, v0, s4
	v_lshl_add_u32 v3, v27, 1, v2
	v_add_u32_e32 v23, 34, v22
	ds_read2_b32 v[0:1], v0 offset1:1
	v_lshl_add_u32 v2, v23, 1, v2
	ds_read_b32 v4, v3 offset:11264
	ds_read_b32 v5, v2 offset:11264
	s_waitcnt lgkmcnt(2)
	v_cvt_f32_f16_e32 v2, v0
	v_cvt_f32_f16_sdwa v3, v0 dst_sel:DWORD dst_unused:UNUSED_PAD src0_sel:WORD_1
	v_cvt_f32_f16_e32 v0, v1
	v_cvt_f32_f16_sdwa v1, v1 dst_sel:DWORD dst_unused:UNUSED_PAD src0_sel:WORD_1
	s_waitcnt lgkmcnt(1)
	v_cvt_f32_f16_e32 v34, v4
	s_waitcnt lgkmcnt(0)
	v_cvt_f32_f16_e32 v36, v5
	v_cvt_f32_f16_sdwa v37, v5 dst_sel:DWORD dst_unused:UNUSED_PAD src0_sel:WORD_1
	v_cvt_f32_f16_sdwa v35, v4 dst_sel:DWORD dst_unused:UNUSED_PAD src0_sel:WORD_1
	v_pk_fma_f32 v[6:7], v[16:17], v[0:1], v[10:11] op_sel_hi:[0,1,1]
	v_pk_fma_f32 v[4:5], v[16:17], v[2:3], v[8:9] op_sel_hi:[0,1,1]
	;; [unrolled: 1-line block ×4, first 2 shown]
	s_cbranch_execnz .LBB9_307
.LBB9_306:
	s_nop 5
	v_pk_mov_b32 v[0:1], v[12:13], v[12:13] op_sel:[0,1]
	v_pk_mov_b32 v[4:5], v[8:9], v[8:9] op_sel:[0,1]
	v_mov_b32_e32 v23, v32
	v_mov_b32_e32 v27, v26
	v_pk_mov_b32 v[2:3], v[14:15], v[14:15] op_sel:[0,1]
	v_pk_mov_b32 v[6:7], v[10:11], v[10:11] op_sel:[0,1]
.LBB9_307:
	v_add_f32_e32 v8, 0x40051340, v4
	v_max_f32_e32 v9, v81, v81
	v_max_f32_e32 v8, v9, v8
	v_cmp_gt_u32_e64 s[22:23], s30, v22
	v_cndmask_b32_e64 v8, v81, v8, s[22:23]
	v_or_b32_e32 v9, 1, v22
	v_add_f32_e32 v10, 0x40051340, v5
	v_max_f32_e32 v11, v8, v8
	v_max_f32_e32 v10, v11, v10
	v_cmp_gt_u32_e64 s[16:17], s30, v9
	v_cndmask_b32_e64 v8, v8, v10, s[16:17]
	v_or_b32_e32 v9, 2, v22
	;; [unrolled: 6-line block ×3, first 2 shown]
	v_add_f32_e32 v10, 0x40051340, v7
	v_max_f32_e32 v11, v8, v8
	v_max_f32_e32 v10, v11, v10
	v_cmp_gt_u32_e64 s[12:13], s30, v9
	v_cndmask_b32_e64 v8, v8, v10, s[12:13]
	v_add_f32_e32 v9, 0x40051340, v0
	v_max_f32_e32 v10, v8, v8
	v_max_f32_e32 v9, v10, v9
	v_cmp_gt_u32_e64 s[10:11], s30, v27
	v_cndmask_b32_e64 v8, v8, v9, s[10:11]
	v_add_u32_e32 v9, 33, v22
	v_add_f32_e32 v10, 0x40051340, v1
	v_max_f32_e32 v11, v8, v8
	v_max_f32_e32 v10, v11, v10
	v_cmp_gt_u32_e64 s[26:27], s30, v9
	v_cndmask_b32_e64 v8, v8, v10, s[26:27]
	v_add_f32_e32 v9, 0x40051340, v2
	v_max_f32_e32 v10, v8, v8
	v_max_f32_e32 v9, v10, v9
	v_cmp_gt_u32_e64 s[6:7], s30, v23
	v_cndmask_b32_e64 v8, v8, v9, s[6:7]
	v_add_u32_e32 v9, 35, v22
	v_add_f32_e32 v10, 0x40051340, v3
	v_max_f32_e32 v11, v8, v8
	v_max_f32_e32 v10, v11, v10
	v_cmp_gt_u32_e64 s[4:5], s30, v9
	v_cndmask_b32_e64 v9, v8, v10, s[4:5]
	v_mbcnt_hi_u32_b32 v10, -1, v86
	v_and_b32_e32 v8, 64, v10
	v_add_u32_e32 v11, 64, v8
	v_xor_b32_e32 v8, 32, v10
	v_cmp_lt_i32_e32 vcc, v8, v11
	v_cndmask_b32_e32 v8, v10, v8, vcc
	v_lshlrev_b32_e32 v16, 2, v8
	ds_bpermute_b32 v12, v16, v9
	v_max_f32_e32 v9, v9, v9
	s_mul_hi_i32 s9, s28, s78
	s_mul_i32 s8, s28, s78
	s_lshl_b64 s[8:9], s[8:9], 2
	s_waitcnt lgkmcnt(0)
	v_max_f32_e32 v12, v12, v12
	v_max_f32_e32 v9, v9, v12
	v_xor_b32_e32 v12, 16, v10
	v_cmp_lt_i32_e32 vcc, v12, v11
	v_cndmask_b32_e32 v10, v10, v12, vcc
	v_lshlrev_b32_e32 v23, 2, v10
	ds_bpermute_b32 v10, v23, v9
	s_add_u32 s31, s33, s8
	s_addc_u32 s33, s42, s9
	s_mov_b64 s[8:9], src_private_base
	v_add_u32_e32 v8, 0x1600, v25
	s_mov_b32 s8, 0
	v_mov_b32_e32 v11, 0
	buffer_store_dword v11, off, s[0:3], 0
	buffer_store_dword v11, off, s[0:3], 0 offset:4
	buffer_store_dword v11, off, s[0:3], 0 offset:8
	;; [unrolled: 1-line block ×3, first 2 shown]
	s_and_saveexec_b64 s[28:29], s[24:25]
	s_cbranch_execz .LBB9_309
; %bb.308:
	v_mul_lo_u32 v12, s78, v30
	v_ashrrev_i32_e32 v13, 31, v12
	v_lshlrev_b64 v[12:13], 2, v[12:13]
	v_lshlrev_b32_e32 v11, 2, v31
	v_mov_b32_e32 v14, s33
	v_add_co_u32_e32 v12, vcc, s31, v12
	v_and_b32_e32 v11, 16, v11
	v_addc_co_u32_e32 v13, vcc, v14, v13, vcc
	v_add_co_u32_e32 v12, vcc, v12, v11
	v_addc_co_u32_e32 v13, vcc, 0, v13, vcc
	v_add_co_u32_e32 v12, vcc, 0x80, v12
	v_addc_co_u32_e32 v13, vcc, 0, v13, vcc
	v_mov_b32_e32 v14, s9
	v_cmp_gt_i32_e32 vcc, s30, v30
	v_cndmask_b32_e32 v13, v14, v13, vcc
	v_mov_b32_e32 v14, 0
	v_cndmask_b32_e32 v12, v14, v12, vcc
	flat_load_dwordx4 v[12:15], v[12:13]
	v_mul_u32_u24_e32 v22, 0xb0, v30
	v_add3_u32 v11, 0, v22, v11
	s_waitcnt vmcnt(0) lgkmcnt(0)
	ds_write_b128 v11, v[12:15] offset:128
.LBB9_309:
	s_or_b64 exec, exec, s[28:29]
	s_waitcnt lgkmcnt(0)
	v_max_f32_e32 v10, v10, v10
	v_max_f32_e32 v9, v9, v9
	;; [unrolled: 1-line block ×3, first 2 shown]
	v_sub_f32_e32 v4, v4, v22
	s_mov_b32 s28, 0x3fb8aa3b
	v_mul_f32_e32 v9, 0x3fb8aa3b, v4
	v_fma_f32 v10, v4, s28, -v9
	v_rndne_f32_e32 v11, v9
	v_fmac_f32_e32 v10, 0x32a5705f, v4
	v_sub_f32_e32 v9, v9, v11
	v_add_f32_e32 v9, v9, v10
	v_exp_f32_e32 v9, v9
	v_cvt_i32_f32_e32 v10, v11
	s_mov_b32 s24, 0xc2ce8ed0
	v_cmp_ngt_f32_e32 vcc, s24, v4
	v_mov_b32_e32 v12, s33
	v_ldexp_f32 v9, v9, v10
	v_lshlrev_b64 v[10:11], 2, v[18:19]
	v_cndmask_b32_e32 v9, 0, v9, vcc
	v_add_co_u32_e32 v10, vcc, s31, v10
	v_addc_co_u32_e32 v11, vcc, v12, v11, vcc
	v_add_co_u32_e32 v10, vcc, v10, v28
	v_addc_co_u32_e32 v11, vcc, 0, v11, vcc
	v_mov_b32_e32 v14, s9
	v_mov_b32_e32 v15, 0
	v_cndmask_b32_e64 v11, v14, v11, s[20:21]
	v_cndmask_b32_e64 v10, v15, v10, s[20:21]
	flat_load_dwordx4 v[10:13], v[10:11]
	v_sub_f32_e32 v5, v5, v22
	v_mul_f32_e32 v19, 0x3fb8aa3b, v5
	v_fma_f32 v26, v5, s28, -v19
	v_rndne_f32_e32 v27, v19
	v_fmac_f32_e32 v26, 0x32a5705f, v5
	v_sub_f32_e32 v19, v19, v27
	v_add_f32_e32 v19, v19, v26
	v_exp_f32_e32 v19, v19
	v_cvt_i32_f32_e32 v26, v27
	s_mov_b32 s25, 0x42b17218
	v_mov_b32_e32 v18, 0x7f800000
	v_cmp_nlt_f32_e32 vcc, s25, v4
	v_cndmask_b32_e32 v4, v18, v9, vcc
	v_ldexp_f32 v9, v19, v26
	v_cmp_ngt_f32_e32 vcc, s24, v5
	v_cndmask_b32_e32 v9, 0, v9, vcc
	v_cmp_nlt_f32_e32 vcc, s25, v5
	v_cndmask_b32_e64 v5, v6, v6, s[16:17]
	v_sub_f32_e32 v6, v5, v22
	v_mul_f32_e32 v5, 0x3fb8aa3b, v6
	v_fma_f32 v19, v6, s28, -v5
	v_rndne_f32_e32 v27, v5
	v_fmac_f32_e32 v19, 0x32a5705f, v6
	v_sub_f32_e32 v5, v5, v27
	v_add_f32_e32 v5, v5, v19
	v_exp_f32_e32 v19, v5
	v_cvt_i32_f32_e32 v27, v27
	v_cndmask_b32_e64 v7, v7, v7, s[16:17]
	v_cndmask_b32_e64 v4, 0, v4, s[22:23]
	v_cndmask_b32_e32 v9, v18, v9, vcc
	v_mov_b32_e32 v5, s8
	v_sub_f32_e32 v7, v7, v22
	v_add_f32_e32 v26, v9, v4
	v_cndmask_b32_e64 v5, v5, v9, s[16:17]
	v_ldexp_f32 v9, v19, v27
	v_mul_f32_e32 v19, 0x3fb8aa3b, v7
	v_fma_f32 v27, v7, s28, -v19
	v_rndne_f32_e32 v30, v19
	v_fmac_f32_e32 v27, 0x32a5705f, v7
	v_sub_f32_e32 v19, v19, v30
	v_add_f32_e32 v19, v19, v27
	v_exp_f32_e32 v19, v19
	v_cvt_i32_f32_e32 v27, v30
	v_cmp_ngt_f32_e32 vcc, s24, v6
	v_cndmask_b32_e32 v9, 0, v9, vcc
	v_cmp_nlt_f32_e32 vcc, s25, v6
	v_cndmask_b32_e32 v32, v18, v9, vcc
	v_mov_b32_e32 v6, s8
	v_sub_f32_e32 v0, v0, v22
	v_cndmask_b32_e64 v9, v6, v32, s[14:15]
	v_ldexp_f32 v6, v19, v27
	v_mul_f32_e32 v19, 0x3fb8aa3b, v0
	v_fma_f32 v27, v0, s28, -v19
	v_rndne_f32_e32 v30, v19
	v_fmac_f32_e32 v27, 0x32a5705f, v0
	v_sub_f32_e32 v19, v19, v30
	v_add_f32_e32 v19, v19, v27
	v_exp_f32_e32 v19, v19
	v_cvt_i32_f32_e32 v27, v30
	v_cmp_ngt_f32_e32 vcc, s24, v7
	v_cndmask_b32_e32 v6, 0, v6, vcc
	v_cmp_nlt_f32_e32 vcc, s25, v7
	v_cndmask_b32_e32 v33, v18, v6, vcc
	v_ldexp_f32 v6, v19, v27
	v_cmp_ngt_f32_e32 vcc, s24, v0
	v_cndmask_b32_e64 v1, v1, v1, s[10:11]
	v_cndmask_b32_e32 v6, 0, v6, vcc
	v_cmp_nlt_f32_e32 vcc, s25, v0
	v_sub_f32_e32 v1, v1, v22
	v_cndmask_b32_e32 v27, v18, v6, vcc
	v_mul_f32_e32 v6, 0x3fb8aa3b, v1
	v_fma_f32 v7, v1, s28, -v6
	v_rndne_f32_e32 v19, v6
	v_fmac_f32_e32 v7, 0x32a5705f, v1
	v_sub_f32_e32 v6, v6, v19
	v_add_f32_e32 v30, v6, v7
	v_mul_lo_u32 v6, s78, v68
	v_ashrrev_i32_e32 v7, 31, v6
	v_lshlrev_b64 v[6:7], 2, v[6:7]
	s_waitcnt vmcnt(0) lgkmcnt(0)
	ds_write_b128 v25, v[10:13]
	v_mov_b32_e32 v10, s33
	v_add_co_u32_e32 v6, vcc, s31, v6
	v_addc_co_u32_e32 v7, vcc, v10, v7, vcc
	v_add_co_u32_e32 v6, vcc, v6, v28
	v_addc_co_u32_e32 v7, vcc, 0, v7, vcc
	v_cndmask_b32_e64 v7, v14, v7, s[18:19]
	v_cndmask_b32_e64 v6, v15, v6, s[18:19]
	flat_load_dwordx4 v[10:13], v[6:7]
	v_exp_f32_e32 v6, v30
	v_cvt_i32_f32_e32 v7, v19
	v_cndmask_b32_e64 v2, v2, v2, s[10:11]
	v_sub_f32_e32 v2, v2, v22
	v_cmp_ngt_f32_e32 vcc, s24, v1
	v_ldexp_f32 v6, v6, v7
	v_mul_f32_e32 v7, 0x3fb8aa3b, v2
	v_fma_f32 v14, v2, s28, -v7
	v_rndne_f32_e32 v15, v7
	v_fmac_f32_e32 v14, 0x32a5705f, v2
	v_sub_f32_e32 v7, v7, v15
	v_add_f32_e32 v7, v7, v14
	v_exp_f32_e32 v7, v7
	v_cvt_i32_f32_e32 v14, v15
	v_cndmask_b32_e64 v3, v3, v3, s[10:11]
	v_cndmask_b32_e32 v6, 0, v6, vcc
	v_cmp_nlt_f32_e32 vcc, s25, v1
	v_cndmask_b32_e32 v28, v18, v6, vcc
	v_ldexp_f32 v6, v7, v14
	v_cmp_ngt_f32_e32 vcc, s24, v2
	v_sub_f32_e32 v3, v3, v22
	v_cndmask_b32_e32 v6, 0, v6, vcc
	v_cmp_nlt_f32_e32 vcc, s25, v2
	v_mul_f32_e32 v2, 0x3fb8aa3b, v3
	v_cndmask_b32_e32 v34, v18, v6, vcc
	v_fma_f32 v6, v3, s28, -v2
	v_rndne_f32_e32 v7, v2
	v_fmac_f32_e32 v6, 0x32a5705f, v3
	v_sub_f32_e32 v2, v2, v7
	v_add_f32_e32 v2, v2, v6
	v_sub_f32_e32 v14, v81, v22
	v_exp_f32_e32 v6, v2
	v_mul_f32_e32 v2, 0x3fb8aa3b, v14
	v_fma_f32 v15, v14, s28, -v2
	v_rndne_f32_e32 v19, v2
	v_fmac_f32_e32 v15, 0x32a5705f, v14
	v_sub_f32_e32 v2, v2, v19
	v_add_f32_e32 v2, v2, v15
	v_cvt_i32_f32_e32 v7, v7
	v_exp_f32_e32 v15, v2
	v_cvt_i32_f32_e32 v19, v19
	v_cmp_ngt_f32_e32 vcc, s24, v14
	v_ldexp_f32 v6, v6, v7
	s_mov_b32 s9, 0xc1a00000
	v_ldexp_f32 v7, v15, v19
	v_cndmask_b32_e32 v7, 0, v7, vcc
	v_cmp_nlt_f32_e32 vcc, s25, v14
	v_cndmask_b32_e32 v7, v18, v7, vcc
	v_cmp_le_f32_e32 vcc, s9, v14
	v_cndmask_b32_e32 v35, 0, v7, vcc
	v_cvt_f16_f32_e32 v36, v35
	v_mov_b32_e32 v0, s8
	v_cmp_ngt_f32_e32 vcc, s24, v3
	v_or_b32_e32 v7, 3, v65
	v_cndmask_b32_e64 v0, v0, v27, s[10:11]
	v_cndmask_b32_e32 v6, 0, v6, vcc
	v_cmp_nlt_f32_e32 vcc, s25, v3
	v_mul_u32_u24_e32 v38, 0xb0, v7
	v_mul_u32_u24_e32 v7, 0x58, v24
	s_movk_i32 s9, 0x160
	v_mov_b32_e32 v1, s8
	v_cndmask_b32_e32 v37, v18, v6, vcc
	v_mov_b32_e32 v3, s8
	v_mul_u32_u24_e32 v39, 0xb0, v24
	v_or_b32_e32 v7, v7, v61
	v_cvt_f16_f32_e32 v24, v0
	v_mad_u32_u24 v0, v64, s9, 0
	v_cndmask_b32_e64 v1, v1, v28, s[26:27]
	v_pk_mul_f16 v6, v36, v75 op_sel_hi:[0,1]
	v_cndmask_b32_e64 v18, v3, v37, s[4:5]
	v_cndmask_b32_e64 v3, v3, v33, s[12:13]
	v_lshlrev_b32_e32 v40, 1, v7
	v_add3_u32 v7, v0, v38, v63
	v_mov_b32_e32 v2, s8
	v_cvt_f16_f32_e32 v25, v1
	v_cvt_f16_f32_e32 v30, v3
	v_add_u32_e32 v3, v0, v40
	v_cvt_f32_f16_sdwa v1, v6 dst_sel:DWORD dst_unused:UNUSED_PAD src0_sel:WORD_1
	s_mov_b32 s8, 0x5040100
	s_waitcnt vmcnt(0) lgkmcnt(0)
	ds_write_b128 v8, v[10:13]
	v_add3_u32 v8, v0, v39, v63
	s_waitcnt lgkmcnt(0)
	s_barrier
	v_cvt_f32_f16_e32 v0, v6
	ds_read_u16 v10, v8 offset:5808
	ds_read_u16 v11, v7 offset:32
	;; [unrolled: 1-line block ×6, first 2 shown]
	ds_read_u16 v6, v7
	ds_read_u16 v43, v8 offset:5984
	ds_read_u16 v44, v8 offset:240
	ds_read_u16 v45, v8 offset:272
	ds_read_u16 v7, v8 offset:352
	ds_read_u16 v46, v8 offset:384
	ds_read_u16 v47, v8 offset:416
	ds_read_u16 v48, v8 offset:448
	ds_read_u16 v49, v8 offset:480
	ds_read_u16 v50, v8 offset:304
	s_waitcnt lgkmcnt(5)
	v_perm_b32 v7, v6, v7, s8
	ds_read_u16 v6, v8 offset:176
	ds_read_u16 v51, v8 offset:208
	ds_read_u16 v8, v3
	ds_read_u16 v52, v3 offset:32
	ds_read_u16 v53, v3 offset:64
	;; [unrolled: 1-line block ×5, first 2 shown]
	v_cndmask_b32_e64 v2, v2, v34, s[6:7]
	v_pk_mul_f16 v14, v36, v74 op_sel_hi:[0,1]
	v_cvt_f16_f32_e32 v19, v4
	v_cvt_f16_f32_e32 v5, v5
	;; [unrolled: 1-line block ×3, first 2 shown]
	s_waitcnt lgkmcnt(5)
	v_perm_b32 v6, v6, v8, s8
	v_cvt_f16_f32_e32 v31, v2
	v_cvt_f32_f16_e32 v2, v14
	v_cvt_f32_f16_sdwa v3, v14 dst_sel:DWORD dst_unused:UNUSED_PAD src0_sel:WORD_1
	v_cvt_f16_f32_e32 v8, v18
	v_pack_b32_f16 v18, v19, v5
	v_pack_b32_f16 v19, v9, v30
	v_pk_mul_f16 v15, v36, v76 op_sel_hi:[0,1]
	v_pk_mul_f16 v5, v36, v70 op_sel_hi:[0,1]
	v_mfma_f32_16x16x16f16 v[0:3], v[6:7], v[18:19], v[0:3]
	v_perm_b32 v7, v13, v43, s8
	s_waitcnt lgkmcnt(1)
	v_perm_b32 v6, v10, v55, s8
	v_pack_b32_f16 v30, v24, v25
	v_pack_b32_f16 v31, v31, v8
	v_perm_b32 v11, v11, v46, s8
	v_perm_b32 v10, v51, v52, s8
	v_cvt_f32_f16_e32 v8, v5
	s_nop 2
	v_cvt_f16_f32_e32 v0, v0
	v_cvt_f16_f32_e32 v1, v1
	;; [unrolled: 1-line block ×4, first 2 shown]
	v_cvt_f32_f16_e32 v0, v0
	v_cvt_f32_f16_e32 v1, v1
	;; [unrolled: 1-line block ×4, first 2 shown]
	v_cvt_f32_f16_sdwa v9, v5 dst_sel:DWORD dst_unused:UNUSED_PAD src0_sel:WORD_1
	v_cndmask_b32_e64 v13, v4, v26, s[16:17]
	v_mfma_f32_16x16x16f16 v[0:3], v[6:7], v[30:31], v[0:3]
	v_cvt_f32_f16_e32 v6, v15
	v_cvt_f32_f16_sdwa v7, v15 dst_sel:DWORD dst_unused:UNUSED_PAD src0_sel:WORD_1
	v_mul_u32_u24_e32 v15, 0x160, v64
	v_add_f32_e32 v14, v13, v32
	v_cndmask_b32_e64 v14, v13, v14, s[14:15]
	v_perm_b32 v13, v12, v47, s8
	v_perm_b32 v12, v44, v53, s8
	v_mfma_f32_16x16x16f16 v[4:7], v[10:11], v[18:19], v[6:9]
	v_add3_u32 v11, 0, 64, v15
	v_add3_u32 v24, v11, v39, v63
	s_nop 4
	v_add3_u32 v8, 0, 32, v15
	s_nop 2
	v_cvt_f16_f32_e32 v4, v4
	v_cvt_f16_f32_e32 v5, v5
	;; [unrolled: 1-line block ×4, first 2 shown]
	v_add_u32_e32 v9, v8, v40
	v_add3_u32 v10, v8, v39, v63
	v_add3_u32 v8, v8, v38, v63
	v_add_u32_e32 v15, v11, v40
	v_add3_u32 v11, v11, v38, v63
	ds_read_u16 v25, v9 offset:5632
	ds_read_u16 v26, v10 offset:5808
	;; [unrolled: 1-line block ×8, first 2 shown]
	s_waitcnt lgkmcnt(4)
	v_perm_b32 v9, v8, v9, s8
	v_perm_b32 v8, v26, v25, s8
	v_cvt_f32_f16_e32 v4, v4
	v_cvt_f32_f16_e32 v5, v5
	;; [unrolled: 1-line block ×4, first 2 shown]
	v_pk_mul_f16 v10, v36, v72 op_sel_hi:[0,1]
	v_pk_mul_f16 v11, v36, v71 op_sel_hi:[0,1]
	v_mfma_f32_16x16x16f16 v[4:7], v[8:9], v[30:31], v[4:7]
	v_cvt_f32_f16_e32 v8, v10
	v_cvt_f32_f16_sdwa v9, v10 dst_sel:DWORD dst_unused:UNUSED_PAD src0_sel:WORD_1
	v_cvt_f32_f16_e32 v10, v11
	v_cvt_f32_f16_sdwa v11, v11 dst_sel:DWORD dst_unused:UNUSED_PAD src0_sel:WORD_1
	v_add_f32_e32 v25, v14, v33
	v_cndmask_b32_e64 v14, v14, v25, s[12:13]
	v_add_f32_e32 v25, v27, v14
	v_mfma_f32_16x16x16f16 v[8:11], v[12:13], v[18:19], v[8:11]
	s_waitcnt lgkmcnt(0)
	v_perm_b32 v13, v43, v24, s8
	v_perm_b32 v12, v32, v15, s8
	v_cndmask_b32_e64 v26, v14, v25, s[10:11]
	v_pk_mul_f16 v14, v36, v73 op_sel_hi:[0,1]
	v_pk_mul_f16 v15, v36, v69 op_sel_hi:[0,1]
	v_perm_b32 v25, v41, v48, s8
	v_perm_b32 v24, v45, v54, s8
	s_nop 2
	v_cvt_f16_f32_e32 v8, v8
	v_cvt_f16_f32_e32 v9, v9
	;; [unrolled: 1-line block ×4, first 2 shown]
	v_cvt_f32_f16_e32 v8, v8
	v_cvt_f32_f16_e32 v9, v9
	;; [unrolled: 1-line block ×4, first 2 shown]
	s_add_i32 s10, 0, 0x60
	v_add_f32_e32 v27, v28, v26
	v_mfma_f32_16x16x16f16 v[8:11], v[12:13], v[30:31], v[8:11]
	v_cvt_f32_f16_e32 v12, v14
	v_cvt_f32_f16_sdwa v13, v14 dst_sel:DWORD dst_unused:UNUSED_PAD src0_sel:WORD_1
	v_cvt_f32_f16_e32 v14, v15
	v_cvt_f32_f16_sdwa v15, v15 dst_sel:DWORD dst_unused:UNUSED_PAD src0_sel:WORD_1
	v_cndmask_b32_e64 v26, v26, v27, s[26:27]
	v_add_f32_e32 v27, v34, v26
	v_mfma_f32_16x16x16f16 v[12:15], v[24:25], v[18:19], v[12:15]
	v_mov_b32_e32 v24, s10
	s_add_i32 s10, 0, 0x80
	v_mov_b32_e32 v32, s10
	v_mad_u32_u24 v24, v64, s9, v24
	v_mad_u32_u24 v32, v64, s9, v32
	v_add_u32_e32 v25, v24, v40
	v_add3_u32 v28, v24, v39, v63
	s_nop 3
	v_cvt_f16_f32_e32 v12, v12
	v_cvt_f16_f32_e32 v13, v13
	;; [unrolled: 1-line block ×4, first 2 shown]
	v_add3_u32 v24, v24, v38, v63
	v_add3_u32 v34, v32, v39, v63
	v_add_u32_e32 v33, v32, v40
	v_add3_u32 v32, v32, v38, v63
	ds_read_u16 v38, v25 offset:5632
	ds_read_u16 v39, v28 offset:5808
	;; [unrolled: 1-line block ×8, first 2 shown]
	s_waitcnt lgkmcnt(4)
	v_perm_b32 v25, v24, v25, s8
	v_perm_b32 v24, v39, v38, s8
	v_cvt_f32_f16_e32 v12, v12
	v_cvt_f32_f16_e32 v13, v13
	;; [unrolled: 1-line block ×4, first 2 shown]
	v_cndmask_b32_e64 v38, v26, v27, s[6:7]
	v_pk_mul_f16 v26, v36, v67 op_sel_hi:[0,1]
	v_pk_mul_f16 v27, v36, v66 op_sel_hi:[0,1]
	v_perm_b32 v33, v42, v49, s8
	v_perm_b32 v32, v50, v56, s8
	v_mfma_f32_16x16x16f16 v[12:15], v[24:25], v[30:31], v[12:15]
	v_cvt_f32_f16_e32 v24, v26
	v_cvt_f32_f16_sdwa v25, v26 dst_sel:DWORD dst_unused:UNUSED_PAD src0_sel:WORD_1
	v_cvt_f32_f16_e32 v26, v27
	v_cvt_f32_f16_sdwa v27, v27 dst_sel:DWORD dst_unused:UNUSED_PAD src0_sel:WORD_1
	v_add_f32_e32 v36, v37, v38
	v_cndmask_b32_e64 v36, v38, v36, s[4:5]
	v_fmac_f32_e32 v36, v17, v35
	v_mfma_f32_16x16x16f16 v[24:27], v[32:33], v[18:19], v[24:27]
	v_cmp_gt_u32_e64 s[4:5], 16, v21
	s_waitcnt lgkmcnt(0)
	s_barrier
	s_nop 7
	v_cvt_f16_f32_e32 v18, v25
	v_cvt_f16_f32_e32 v19, v26
	;; [unrolled: 1-line block ×4, first 2 shown]
	v_cvt_f32_f16_e32 v25, v18
	v_cvt_f32_f16_e32 v26, v19
	v_perm_b32 v19, v41, v34, s8
	v_perm_b32 v18, v40, v28, s8
	v_cvt_f32_f16_e32 v24, v17
	v_cvt_f32_f16_e32 v27, v27
	ds_bpermute_b32 v28, v16, v36
	s_movk_i32 s8, 0xb0
	v_mfma_f32_16x16x16f16 v[16:19], v[18:19], v[30:31], v[24:27]
	s_waitcnt lgkmcnt(0)
	s_nop 5
	v_add_f32_e32 v24, v36, v28
	ds_bpermute_b32 v25, v23, v24
	s_and_saveexec_b64 s[6:7], s[4:5]
	v_readlane_b32 s12, v215, 24
	v_readlane_b32 s18, v215, 30
	;; [unrolled: 1-line block ×5, first 2 shown]
	s_mov_b64 s[18:19], s[26:27]
	v_readlane_b32 s13, v215, 25
	v_readlane_b32 s14, v215, 26
	;; [unrolled: 1-line block ×11, first 2 shown]
	s_cbranch_execz .LBB9_311
; %bb.310:
	s_waitcnt lgkmcnt(0)
	v_add_f32_e32 v24, v24, v25
	v_or_b32_e32 v25, v83, v21
	v_mad_u32_u24 v25, v25, s8, 0
	ds_write2_b32 v25, v22, v24 offset0:40 offset1:41
.LBB9_311:
	s_or_b64 exec, exec, s[6:7]
	v_cmp_eq_u32_e32 vcc, 0, v85
	v_cmp_eq_u32_e64 s[6:7], 1, v85
	s_waitcnt lgkmcnt(0)
	s_barrier
	s_and_saveexec_b64 s[8:9], s[6:7]
	s_xor_b64 s[6:7], exec, s[8:9]
	s_cbranch_execz .LBB9_313
; %bb.312:
	s_barrier
	s_waitcnt lgkmcnt(0)
                                        ; implicit-def: $vgpr84
                                        ; implicit-def: $vgpr23
.LBB9_313:
	s_andn2_saveexec_b64 s[8:9], s[6:7]
	s_cbranch_execz .LBB9_319
; %bb.314:
	v_or_b32_e32 v26, v83, v20
	s_movk_i32 s6, 0xb0
	v_mad_u32_u24 v22, v26, s6, 0
	ds_read_b64 v[30:31], v22 offset:160
	s_mov_b32 s6, 0x3fb8aa3b
	s_mov_b32 s10, 0x42b17218
	s_waitcnt lgkmcnt(0)
	s_barrier
	ds_bpermute_b32 v22, v23, v30
	v_max_f32_e32 v24, v30, v30
	s_waitcnt lgkmcnt(0)
	v_max_f32_e32 v22, v22, v22
	v_max_f32_e32 v22, v24, v22
	v_sub_f32_e32 v24, v30, v22
	v_mul_f32_e32 v25, 0x3fb8aa3b, v24
	v_fma_f32 v27, v24, s6, -v25
	v_rndne_f32_e32 v28, v25
	v_fmac_f32_e32 v27, 0x32a5705f, v24
	v_sub_f32_e32 v25, v25, v28
	v_add_f32_e32 v25, v25, v27
	v_cvt_i32_f32_e32 v28, v28
	v_exp_f32_e32 v25, v25
	s_mov_b32 s6, 0xc2ce8ed0
	v_cmp_ngt_f32_e64 s[6:7], s6, v24
	v_mov_b32_e32 v27, 0x7f800000
	v_ldexp_f32 v25, v25, v28
	v_cndmask_b32_e64 v25, 0, v25, s[6:7]
	v_cmp_nlt_f32_e64 s[6:7], s10, v24
	v_cndmask_b32_e64 v24, v27, v25, s[6:7]
	v_mul_f32_e32 v25, v31, v24
	ds_bpermute_b32 v25, v23, v25
	v_cmp_gt_u32_e64 s[6:7], 32, v21
	s_waitcnt lgkmcnt(0)
	v_fmac_f32_e32 v25, v31, v24
	s_and_saveexec_b64 s[10:11], s[6:7]
	s_cbranch_execz .LBB9_316
; %bb.315:
	v_mul_u32_u24_e32 v23, 0xb0, v26
	v_add_u32_e32 v23, 0, v23
	ds_write_b64 v23, v[24:25] offset:160
.LBB9_316:
	s_or_b64 exec, exec, s[10:11]
	s_and_saveexec_b64 s[6:7], s[4:5]
	s_cbranch_execz .LBB9_318
; %bb.317:
	s_add_i32 s4, s65, s64
	s_lshl_b32 s4, s4, 5
	s_mov_b32 s5, 0
	s_lshl_b64 s[4:5], s[4:5], 3
	s_add_u32 s4, s18, s4
	v_or_b32_e32 v23, v84, v21
	s_addc_u32 s5, s19, s5
	v_lshlrev_b32_e32 v24, 3, v23
	v_mov_b32_e32 v23, v25
	global_store_dwordx2 v24, v[22:23], s[4:5]
.LBB9_318:
	s_or_b64 exec, exec, s[6:7]
.LBB9_319:
	s_or_b64 exec, exec, s[8:9]
	v_cvt_f16_f32_e32 v0, v0
	v_cvt_f16_f32_e32 v2, v2
	;; [unrolled: 1-line block ×5, first 2 shown]
	s_mov_b32 s7, 0
	v_pack_b32_f16 v2, v2, v3
	v_pack_b32_f16 v0, v0, v1
	v_cvt_f16_f32_e32 v1, v4
	v_cvt_f16_f32_e32 v3, v5
	;; [unrolled: 1-line block ×7, first 2 shown]
	v_pack_b32_f16 v4, v4, v5
	v_pack_b32_f16 v1, v1, v3
	;; [unrolled: 1-line block ×4, first 2 shown]
	v_cvt_f16_f32_e32 v7, v13
	v_cvt_f16_f32_e32 v8, v14
	;; [unrolled: 1-line block ×8, first 2 shown]
	v_pack_b32_f16 v8, v8, v9
	v_pack_b32_f16 v9, v10, v13
	v_or_b32_e32 v10, v83, v61
	v_mad_u32_u24 v10, v10, 44, v62
	v_lshl_add_u32 v10, v10, 2, 0
	v_pack_b32_f16 v6, v6, v7
	v_pack_b32_f16 v7, v11, v12
	ds_write2_b32 v10, v0, v2 offset1:1
	ds_write2_b32 v10, v1, v4 offset0:8 offset1:9
	ds_write2_b32 v10, v5, v3 offset0:16 offset1:17
	;; [unrolled: 1-line block ×4, first 2 shown]
	s_waitcnt lgkmcnt(0)
	s_barrier
	s_and_saveexec_b64 s[4:5], vcc
	s_cbranch_execz .LBB9_321
; %bb.320:
	s_mul_i32 s6, s64, 0x500
	v_add_u32_e32 v12, v60, v82
	s_lshl_b64 s[8:9], s[6:7], 3
	v_lshlrev_b32_e32 v13, 1, v12
	v_and_b32_e32 v14, 15, v12
	s_movk_i32 s6, 0xfe0
	s_add_u32 s10, s18, s8
	v_and_or_b32 v0, v13, s6, v14
	s_movk_i32 s8, 0xb0
	v_mad_u32_u24 v2, v0, s8, 0
	v_lshlrev_b32_e32 v15, 2, v20
	v_add_u32_e32 v0, v2, v15
	ds_read2st64_b32 v[0:1], v0 offset1:11
	v_add_u32_e32 v2, 0xa0, v2
	ds_read2st64_b32 v[2:3], v2 offset1:11
	s_addc_u32 s9, s19, s9
	s_lshl_b32 s6, s65, 6
	s_waitcnt lgkmcnt(1)
	v_cvt_f32_f16_e32 v4, v0
	v_cvt_f32_f16_sdwa v5, v0 dst_sel:DWORD dst_unused:UNUSED_PAD src0_sel:WORD_1
	s_lshl_b64 s[6:7], s[6:7], 3
	s_add_u32 s6, s10, s6
	s_addc_u32 s7, s9, s7
	s_waitcnt lgkmcnt(0)
	v_pk_fma_f32 v[4:5], v[2:3], v[4:5], 0 op_sel_hi:[0,1,0]
	v_add_u32_e32 v2, 4, v12
	v_lshlrev_b32_e32 v6, 1, v2
	v_and_b32_e32 v2, 15, v2
	s_movk_i32 s9, 0x1fe0
	v_and_or_b32 v2, v6, s9, v2
	v_mad_u32_u24 v8, v2, s8, 0
	v_add_u32_e32 v2, v8, v15
	ds_read2st64_b32 v[6:7], v2 offset1:11
	v_cvt_f32_f16_e32 v0, v1
	v_cvt_f32_f16_sdwa v1, v1 dst_sel:DWORD dst_unused:UNUSED_PAD src0_sel:WORD_1
	v_mov_b32_e32 v2, v3
	v_add_u32_e32 v3, 0xa0, v8
	ds_read2st64_b32 v[8:9], v3 offset1:11
	s_waitcnt lgkmcnt(1)
	v_cvt_f32_f16_e32 v10, v6
	v_cvt_f32_f16_sdwa v11, v6 dst_sel:DWORD dst_unused:UNUSED_PAD src0_sel:WORD_1
	v_pk_fma_f32 v[0:1], v[2:3], v[0:1], v[4:5] op_sel_hi:[0,1,1]
	v_add_u32_e32 v3, 8, v12
	v_mul_u32_u24_e32 v16, 40, v12
	v_lshlrev_b32_e32 v4, 1, v3
	v_and_b32_e32 v3, 15, v3
	v_add_lshl_u32 v16, v16, v20, 3
	v_and_or_b32 v3, v4, s9, v3
	global_store_dwordx2 v16, v[0:1], s[6:7]
	s_waitcnt lgkmcnt(0)
	v_pk_fma_f32 v[0:1], v[8:9], v[10:11], 0 op_sel_hi:[0,1,0]
	v_mad_u32_u24 v8, v3, s8, 0
	v_add_u32_e32 v3, v8, v15
	ds_read2st64_b32 v[4:5], v3 offset1:11
	v_cvt_f32_f16_e32 v2, v7
	v_cvt_f32_f16_sdwa v3, v7 dst_sel:DWORD dst_unused:UNUSED_PAD src0_sel:WORD_1
	v_add_u32_e32 v7, 0xa0, v8
	v_mov_b32_e32 v6, v9
	ds_read2st64_b32 v[8:9], v7 offset1:11
	s_waitcnt lgkmcnt(1)
	v_cvt_f32_f16_e32 v10, v4
	v_cvt_f32_f16_sdwa v11, v4 dst_sel:DWORD dst_unused:UNUSED_PAD src0_sel:WORD_1
	v_pk_fma_f32 v[0:1], v[6:7], v[2:3], v[0:1] op_sel_hi:[0,1,1]
	v_add_u32_e32 v3, 12, v12
	v_lshlrev_b32_e32 v4, 1, v3
	v_and_b32_e32 v3, 15, v3
	v_and_or_b32 v3, v4, s9, v3
	global_store_dwordx2 v16, v[0:1], s[6:7] offset:1280
	s_waitcnt lgkmcnt(0)
	v_pk_fma_f32 v[0:1], v[8:9], v[10:11], 0 op_sel_hi:[0,1,0]
	v_mad_u32_u24 v8, v3, s8, 0
	v_add_u32_e32 v3, v8, v15
	ds_read2st64_b32 v[6:7], v3 offset1:11
	v_cvt_f32_f16_e32 v2, v5
	v_cvt_f32_f16_sdwa v3, v5 dst_sel:DWORD dst_unused:UNUSED_PAD src0_sel:WORD_1
	v_add_u32_e32 v5, 0xa0, v8
	v_mov_b32_e32 v4, v9
	ds_read2st64_b32 v[8:9], v5 offset1:11
	s_waitcnt lgkmcnt(1)
	v_cvt_f32_f16_e32 v10, v6
	v_cvt_f32_f16_sdwa v11, v6 dst_sel:DWORD dst_unused:UNUSED_PAD src0_sel:WORD_1
	v_pk_fma_f32 v[0:1], v[4:5], v[2:3], v[0:1] op_sel_hi:[0,1,1]
	v_add_u32_e32 v3, 32, v13
	v_add_u32_e32 v17, 0xa00, v16
	v_and_or_b32 v3, v3, s9, v14
	global_store_dwordx2 v17, v[0:1], s[6:7]
	s_waitcnt lgkmcnt(0)
	v_pk_fma_f32 v[0:1], v[8:9], v[10:11], 0 op_sel_hi:[0,1,0]
	v_mad_u32_u24 v8, v3, s8, 0
	v_add_u32_e32 v3, v8, v15
	ds_read2st64_b32 v[4:5], v3 offset1:11
	v_cvt_f32_f16_e32 v2, v7
	v_cvt_f32_f16_sdwa v3, v7 dst_sel:DWORD dst_unused:UNUSED_PAD src0_sel:WORD_1
	v_add_u32_e32 v7, 0xa0, v8
	v_mov_b32_e32 v6, v9
	ds_read2st64_b32 v[8:9], v7 offset1:11
	s_waitcnt lgkmcnt(1)
	v_cvt_f32_f16_e32 v10, v4
	v_cvt_f32_f16_sdwa v11, v4 dst_sel:DWORD dst_unused:UNUSED_PAD src0_sel:WORD_1
	v_pk_fma_f32 v[0:1], v[6:7], v[2:3], v[0:1] op_sel_hi:[0,1,1]
	v_add_u32_e32 v3, 20, v12
	v_lshlrev_b32_e32 v4, 1, v3
	v_and_b32_e32 v3, 15, v3
	v_add_u32_e32 v17, 0xf00, v16
	v_and_or_b32 v3, v4, s9, v3
	global_store_dwordx2 v17, v[0:1], s[6:7]
	s_waitcnt lgkmcnt(0)
	v_pk_fma_f32 v[0:1], v[8:9], v[10:11], 0 op_sel_hi:[0,1,0]
	v_mad_u32_u24 v8, v3, s8, 0
	v_add_u32_e32 v3, v8, v15
	ds_read2st64_b32 v[6:7], v3 offset1:11
	v_cvt_f32_f16_e32 v2, v5
	v_cvt_f32_f16_sdwa v3, v5 dst_sel:DWORD dst_unused:UNUSED_PAD src0_sel:WORD_1
	v_add_u32_e32 v5, 0xa0, v8
	v_mov_b32_e32 v4, v9
	ds_read2st64_b32 v[8:9], v5 offset1:11
	s_waitcnt lgkmcnt(1)
	v_cvt_f32_f16_e32 v10, v6
	v_cvt_f32_f16_sdwa v11, v6 dst_sel:DWORD dst_unused:UNUSED_PAD src0_sel:WORD_1
	v_pk_fma_f32 v[0:1], v[4:5], v[2:3], v[0:1] op_sel_hi:[0,1,1]
	v_add_u32_e32 v3, 24, v12
	v_lshlrev_b32_e32 v4, 1, v3
	v_and_b32_e32 v3, 15, v3
	;; [unrolled: 20-line block ×3, first 2 shown]
	v_add_u32_e32 v13, 0x1900, v16
	v_and_or_b32 v3, v4, s9, v3
	global_store_dwordx2 v13, v[0:1], s[6:7]
	s_waitcnt lgkmcnt(0)
	v_pk_fma_f32 v[0:1], v[8:9], v[10:11], 0 op_sel_hi:[0,1,0]
	v_mad_u32_u24 v8, v3, s8, 0
	v_add_u32_e32 v3, v8, v15
	ds_read2st64_b32 v[6:7], v3 offset1:11
	v_cvt_f32_f16_e32 v2, v5
	v_cvt_f32_f16_sdwa v3, v5 dst_sel:DWORD dst_unused:UNUSED_PAD src0_sel:WORD_1
	v_add_u32_e32 v5, 0xa0, v8
	v_mov_b32_e32 v4, v9
	ds_read2st64_b32 v[8:9], v5 offset1:11
	s_waitcnt lgkmcnt(1)
	v_cvt_f32_f16_e32 v10, v6
	v_cvt_f32_f16_sdwa v11, v6 dst_sel:DWORD dst_unused:UNUSED_PAD src0_sel:WORD_1
	v_add_u32_e32 v13, 0x1e00, v16
	v_pk_fma_f32 v[0:1], v[4:5], v[2:3], v[0:1] op_sel_hi:[0,1,1]
	global_store_dwordx2 v13, v[0:1], s[6:7]
	s_waitcnt lgkmcnt(0)
	v_pk_fma_f32 v[0:1], v[8:9], v[10:11], 0 op_sel_hi:[0,1,0]
	v_mov_b32_e32 v4, v9
	v_lshl_add_u32 v9, v82, 2, v29
	v_lshlrev_b32_e32 v10, 1, v9
	v_and_b32_e32 v11, 15, v9
	s_movk_i32 s9, 0x3fe0
	v_and_b32_e32 v8, 7, v21
	v_and_or_b32 v6, v10, s9, v11
	v_mad_u32_u24 v12, v6, s8, 0
	v_lshlrev_b32_e32 v13, 2, v8
	v_cvt_f32_f16_e32 v2, v7
	v_cvt_f32_f16_sdwa v3, v7 dst_sel:DWORD dst_unused:UNUSED_PAD src0_sel:WORD_1
	v_add_u32_e32 v6, v12, v13
	v_add_u32_e32 v6, 0x80, v6
	ds_read2st64_b32 v[6:7], v6 offset1:11
	v_add_u32_e32 v5, 0x2300, v16
	v_pk_fma_f32 v[0:1], v[4:5], v[2:3], v[0:1] op_sel_hi:[0,1,1]
	global_store_dwordx2 v5, v[0:1], s[6:7]
	v_add_u32_e32 v0, 0xa0, v12
	ds_read2st64_b32 v[0:1], v0 offset1:11
	s_waitcnt lgkmcnt(1)
	v_cvt_f32_f16_e32 v2, v6
	v_cvt_f32_f16_sdwa v3, v6 dst_sel:DWORD dst_unused:UNUSED_PAD src0_sel:WORD_1
	v_cvt_f32_f16_e32 v4, v7
	v_cvt_f32_f16_sdwa v5, v7 dst_sel:DWORD dst_unused:UNUSED_PAD src0_sel:WORD_1
	s_movk_i32 s9, 0x7fe0
	s_waitcnt lgkmcnt(0)
	v_pk_fma_f32 v[2:3], v[0:1], v[2:3], 0 op_sel_hi:[0,1,0]
	v_mov_b32_e32 v0, v1
	v_pk_fma_f32 v[0:1], v[0:1], v[4:5], v[2:3] op_sel_hi:[0,1,1]
	v_add_u32_e32 v2, 32, v10
	v_and_or_b32 v2, v2, s9, v11
	v_mad_u32_u24 v5, v2, s8, 0
	v_add_u32_e32 v2, v5, v13
	v_add_u32_e32 v2, 0x80, v2
	v_mul_u32_u24_e32 v6, 40, v9
	ds_read2st64_b32 v[2:3], v2 offset1:11
	v_or_b32_e32 v4, v6, v8
	v_lshlrev_b32_e32 v6, 3, v4
	global_store_dwordx2 v6, v[0:1], s[6:7] offset:256
	v_add_u32_e32 v0, 0xa0, v5
	ds_read2st64_b32 v[0:1], v0 offset1:11
	s_waitcnt lgkmcnt(1)
	v_cvt_f32_f16_e32 v4, v2
	v_cvt_f32_f16_sdwa v5, v2 dst_sel:DWORD dst_unused:UNUSED_PAD src0_sel:WORD_1
	v_cvt_f32_f16_e32 v2, v3
	v_cvt_f32_f16_sdwa v3, v3 dst_sel:DWORD dst_unused:UNUSED_PAD src0_sel:WORD_1
	v_add_u32_e32 v6, 0x1400, v6
	s_waitcnt lgkmcnt(0)
	v_pk_fma_f32 v[4:5], v[0:1], v[4:5], 0 op_sel_hi:[0,1,0]
	v_mov_b32_e32 v0, v1
	v_pk_fma_f32 v[0:1], v[0:1], v[2:3], v[4:5] op_sel_hi:[0,1,1]
	global_store_dwordx2 v6, v[0:1], s[6:7] offset:256
.LBB9_321:
	s_or_b64 exec, exec, s[4:5]
	s_barrier
	s_endpgm
.LBB9_322:
                                        ; implicit-def: $vgpr4_vgpr5_vgpr6_vgpr7
                                        ; implicit-def: $vgpr0_vgpr1_vgpr2_vgpr3
                                        ; implicit-def: $vgpr27
                                        ; implicit-def: $vgpr23
	s_branch .LBB9_306
	.section	.rodata,"a",@progbits
	.p2align	6, 0x0
	.amdhsa_kernel _ZL18flash_attn_ext_f16ILi80ELi80ELi32ELi1ELb0ELb0EEvPKcS1_S1_S1_S1_PKiPfP15HIP_vector_typeIfLj2EEffffjfiS5_IjLj3EEiiiiiiiiiiiliiliiiiil
		.amdhsa_group_segment_fixed_size 0
		.amdhsa_private_segment_fixed_size 32
		.amdhsa_kernarg_size 464
		.amdhsa_user_sgpr_count 8
		.amdhsa_user_sgpr_private_segment_buffer 1
		.amdhsa_user_sgpr_dispatch_ptr 0
		.amdhsa_user_sgpr_queue_ptr 0
		.amdhsa_user_sgpr_kernarg_segment_ptr 1
		.amdhsa_user_sgpr_dispatch_id 0
		.amdhsa_user_sgpr_flat_scratch_init 1
		.amdhsa_user_sgpr_kernarg_preload_length 0
		.amdhsa_user_sgpr_kernarg_preload_offset 0
		.amdhsa_user_sgpr_private_segment_size 0
		.amdhsa_uses_dynamic_stack 0
		.amdhsa_system_sgpr_private_segment_wavefront_offset 1
		.amdhsa_system_sgpr_workgroup_id_x 1
		.amdhsa_system_sgpr_workgroup_id_y 0
		.amdhsa_system_sgpr_workgroup_id_z 0
		.amdhsa_system_sgpr_workgroup_info 0
		.amdhsa_system_vgpr_workitem_id 1
		.amdhsa_next_free_vgpr 216
		.amdhsa_next_free_sgpr 100
		.amdhsa_accum_offset 216
		.amdhsa_reserve_vcc 1
		.amdhsa_reserve_flat_scratch 1
		.amdhsa_float_round_mode_32 0
		.amdhsa_float_round_mode_16_64 0
		.amdhsa_float_denorm_mode_32 3
		.amdhsa_float_denorm_mode_16_64 3
		.amdhsa_dx10_clamp 1
		.amdhsa_ieee_mode 1
		.amdhsa_fp16_overflow 0
		.amdhsa_tg_split 0
		.amdhsa_exception_fp_ieee_invalid_op 0
		.amdhsa_exception_fp_denorm_src 0
		.amdhsa_exception_fp_ieee_div_zero 0
		.amdhsa_exception_fp_ieee_overflow 0
		.amdhsa_exception_fp_ieee_underflow 0
		.amdhsa_exception_fp_ieee_inexact 0
		.amdhsa_exception_int_div_zero 0
	.end_amdhsa_kernel
	.section	.text._ZL18flash_attn_ext_f16ILi80ELi80ELi32ELi1ELb0ELb0EEvPKcS1_S1_S1_S1_PKiPfP15HIP_vector_typeIfLj2EEffffjfiS5_IjLj3EEiiiiiiiiiiiliiliiiiil,"axG",@progbits,_ZL18flash_attn_ext_f16ILi80ELi80ELi32ELi1ELb0ELb0EEvPKcS1_S1_S1_S1_PKiPfP15HIP_vector_typeIfLj2EEffffjfiS5_IjLj3EEiiiiiiiiiiiliiliiiiil,comdat
.Lfunc_end9:
	.size	_ZL18flash_attn_ext_f16ILi80ELi80ELi32ELi1ELb0ELb0EEvPKcS1_S1_S1_S1_PKiPfP15HIP_vector_typeIfLj2EEffffjfiS5_IjLj3EEiiiiiiiiiiiliiliiiiil, .Lfunc_end9-_ZL18flash_attn_ext_f16ILi80ELi80ELi32ELi1ELb0ELb0EEvPKcS1_S1_S1_S1_PKiPfP15HIP_vector_typeIfLj2EEffffjfiS5_IjLj3EEiiiiiiiiiiiliiliiiiil
                                        ; -- End function
	.section	.AMDGPU.csdata,"",@progbits
; Kernel info:
; codeLenInByte = 47132
; NumSgprs: 106
; NumVgprs: 216
; NumAgprs: 0
; TotalNumVgprs: 216
; ScratchSize: 32
; MemoryBound: 0
; FloatMode: 240
; IeeeMode: 1
; LDSByteSize: 0 bytes/workgroup (compile time only)
; SGPRBlocks: 13
; VGPRBlocks: 26
; NumSGPRsForWavesPerEU: 106
; NumVGPRsForWavesPerEU: 216
; AccumOffset: 216
; Occupancy: 2
; WaveLimiterHint : 1
; COMPUTE_PGM_RSRC2:SCRATCH_EN: 1
; COMPUTE_PGM_RSRC2:USER_SGPR: 8
; COMPUTE_PGM_RSRC2:TRAP_HANDLER: 0
; COMPUTE_PGM_RSRC2:TGID_X_EN: 1
; COMPUTE_PGM_RSRC2:TGID_Y_EN: 0
; COMPUTE_PGM_RSRC2:TGID_Z_EN: 0
; COMPUTE_PGM_RSRC2:TIDIG_COMP_CNT: 1
; COMPUTE_PGM_RSRC3_GFX90A:ACCUM_OFFSET: 53
; COMPUTE_PGM_RSRC3_GFX90A:TG_SPLIT: 0
	.section	.text._ZL18flash_attn_ext_f16ILi80ELi80ELi32ELi1ELb1ELb0EEvPKcS1_S1_S1_S1_PKiPfP15HIP_vector_typeIfLj2EEffffjfiS5_IjLj3EEiiiiiiiiiiiliiliiiiil,"axG",@progbits,_ZL18flash_attn_ext_f16ILi80ELi80ELi32ELi1ELb1ELb0EEvPKcS1_S1_S1_S1_PKiPfP15HIP_vector_typeIfLj2EEffffjfiS5_IjLj3EEiiiiiiiiiiiliiliiiiil,comdat
	.globl	_ZL18flash_attn_ext_f16ILi80ELi80ELi32ELi1ELb1ELb0EEvPKcS1_S1_S1_S1_PKiPfP15HIP_vector_typeIfLj2EEffffjfiS5_IjLj3EEiiiiiiiiiiiliiliiiiil ; -- Begin function _ZL18flash_attn_ext_f16ILi80ELi80ELi32ELi1ELb1ELb0EEvPKcS1_S1_S1_S1_PKiPfP15HIP_vector_typeIfLj2EEffffjfiS5_IjLj3EEiiiiiiiiiiiliiliiiiil
	.p2align	8
	.type	_ZL18flash_attn_ext_f16ILi80ELi80ELi32ELi1ELb1ELb0EEvPKcS1_S1_S1_S1_PKiPfP15HIP_vector_typeIfLj2EEffffjfiS5_IjLj3EEiiiiiiiiiiiliiliiiiil,@function
_ZL18flash_attn_ext_f16ILi80ELi80ELi32ELi1ELb1ELb0EEvPKcS1_S1_S1_S1_PKiPfP15HIP_vector_typeIfLj2EEffffjfiS5_IjLj3EEiiiiiiiiiiiliiliiiiil: ; @_ZL18flash_attn_ext_f16ILi80ELi80ELi32ELi1ELb1ELb0EEvPKcS1_S1_S1_S1_PKiPfP15HIP_vector_typeIfLj2EEffffjfiS5_IjLj3EEiiiiiiiiiiiliiliiiiil
; %bb.0:
	s_add_u32 flat_scratch_lo, s6, s9
	s_addc_u32 flat_scratch_hi, s7, 0
	s_add_u32 s0, s0, s9
	s_addc_u32 s1, s1, 0
	s_add_u32 s8, s4, 0xd0
	s_addc_u32 s9, s5, 0
	s_mov_b32 s32, 0
	s_getpc_b64 s[4:5]
	s_add_u32 s4, s4, _ZL14no_device_codePKciS0_iS0_@rel32@lo+4
	s_addc_u32 s5, s5, _ZL14no_device_codePKciS0_iS0_@rel32@hi+12
	s_swappc_b64 s[30:31], s[4:5]
	.section	.rodata,"a",@progbits
	.p2align	6, 0x0
	.amdhsa_kernel _ZL18flash_attn_ext_f16ILi80ELi80ELi32ELi1ELb1ELb0EEvPKcS1_S1_S1_S1_PKiPfP15HIP_vector_typeIfLj2EEffffjfiS5_IjLj3EEiiiiiiiiiiiliiliiiiil
		.amdhsa_group_segment_fixed_size 0
		.amdhsa_private_segment_fixed_size 16
		.amdhsa_kernarg_size 464
		.amdhsa_user_sgpr_count 8
		.amdhsa_user_sgpr_private_segment_buffer 1
		.amdhsa_user_sgpr_dispatch_ptr 0
		.amdhsa_user_sgpr_queue_ptr 0
		.amdhsa_user_sgpr_kernarg_segment_ptr 1
		.amdhsa_user_sgpr_dispatch_id 0
		.amdhsa_user_sgpr_flat_scratch_init 1
		.amdhsa_user_sgpr_kernarg_preload_length 0
		.amdhsa_user_sgpr_kernarg_preload_offset 0
		.amdhsa_user_sgpr_private_segment_size 0
		.amdhsa_uses_dynamic_stack 0
		.amdhsa_system_sgpr_private_segment_wavefront_offset 1
		.amdhsa_system_sgpr_workgroup_id_x 1
		.amdhsa_system_sgpr_workgroup_id_y 0
		.amdhsa_system_sgpr_workgroup_id_z 0
		.amdhsa_system_sgpr_workgroup_info 0
		.amdhsa_system_vgpr_workitem_id 0
		.amdhsa_next_free_vgpr 39
		.amdhsa_next_free_sgpr 34
		.amdhsa_accum_offset 40
		.amdhsa_reserve_vcc 1
		.amdhsa_reserve_flat_scratch 1
		.amdhsa_float_round_mode_32 0
		.amdhsa_float_round_mode_16_64 0
		.amdhsa_float_denorm_mode_32 3
		.amdhsa_float_denorm_mode_16_64 3
		.amdhsa_dx10_clamp 1
		.amdhsa_ieee_mode 1
		.amdhsa_fp16_overflow 0
		.amdhsa_tg_split 0
		.amdhsa_exception_fp_ieee_invalid_op 0
		.amdhsa_exception_fp_denorm_src 0
		.amdhsa_exception_fp_ieee_div_zero 0
		.amdhsa_exception_fp_ieee_overflow 0
		.amdhsa_exception_fp_ieee_underflow 0
		.amdhsa_exception_fp_ieee_inexact 0
		.amdhsa_exception_int_div_zero 0
	.end_amdhsa_kernel
	.section	.text._ZL18flash_attn_ext_f16ILi80ELi80ELi32ELi1ELb1ELb0EEvPKcS1_S1_S1_S1_PKiPfP15HIP_vector_typeIfLj2EEffffjfiS5_IjLj3EEiiiiiiiiiiiliiliiiiil,"axG",@progbits,_ZL18flash_attn_ext_f16ILi80ELi80ELi32ELi1ELb1ELb0EEvPKcS1_S1_S1_S1_PKiPfP15HIP_vector_typeIfLj2EEffffjfiS5_IjLj3EEiiiiiiiiiiiliiliiiiil,comdat
.Lfunc_end10:
	.size	_ZL18flash_attn_ext_f16ILi80ELi80ELi32ELi1ELb1ELb0EEvPKcS1_S1_S1_S1_PKiPfP15HIP_vector_typeIfLj2EEffffjfiS5_IjLj3EEiiiiiiiiiiiliiliiiiil, .Lfunc_end10-_ZL18flash_attn_ext_f16ILi80ELi80ELi32ELi1ELb1ELb0EEvPKcS1_S1_S1_S1_PKiPfP15HIP_vector_typeIfLj2EEffffjfiS5_IjLj3EEiiiiiiiiiiiliiliiiiil
                                        ; -- End function
	.section	.AMDGPU.csdata,"",@progbits
; Kernel info:
; codeLenInByte = 56
; NumSgprs: 40
; NumVgprs: 39
; NumAgprs: 0
; TotalNumVgprs: 39
; ScratchSize: 16
; MemoryBound: 0
; FloatMode: 240
; IeeeMode: 1
; LDSByteSize: 0 bytes/workgroup (compile time only)
; SGPRBlocks: 4
; VGPRBlocks: 4
; NumSGPRsForWavesPerEU: 40
; NumVGPRsForWavesPerEU: 39
; AccumOffset: 40
; Occupancy: 8
; WaveLimiterHint : 1
; COMPUTE_PGM_RSRC2:SCRATCH_EN: 1
; COMPUTE_PGM_RSRC2:USER_SGPR: 8
; COMPUTE_PGM_RSRC2:TRAP_HANDLER: 0
; COMPUTE_PGM_RSRC2:TGID_X_EN: 1
; COMPUTE_PGM_RSRC2:TGID_Y_EN: 0
; COMPUTE_PGM_RSRC2:TGID_Z_EN: 0
; COMPUTE_PGM_RSRC2:TIDIG_COMP_CNT: 0
; COMPUTE_PGM_RSRC3_GFX90A:ACCUM_OFFSET: 9
; COMPUTE_PGM_RSRC3_GFX90A:TG_SPLIT: 0
	.section	.text._ZL33flash_attn_stream_k_fixup_uniformILi80ELi32ELi1EEvPfPK15HIP_vector_typeIfLj2EEiiiiiiS1_IjLj3EES5_S5_,"axG",@progbits,_ZL33flash_attn_stream_k_fixup_uniformILi80ELi32ELi1EEvPfPK15HIP_vector_typeIfLj2EEiiiiiiS1_IjLj3EES5_S5_,comdat
	.globl	_ZL33flash_attn_stream_k_fixup_uniformILi80ELi32ELi1EEvPfPK15HIP_vector_typeIfLj2EEiiiiiiS1_IjLj3EES5_S5_ ; -- Begin function _ZL33flash_attn_stream_k_fixup_uniformILi80ELi32ELi1EEvPfPK15HIP_vector_typeIfLj2EEiiiiiiS1_IjLj3EES5_S5_
	.p2align	8
	.type	_ZL33flash_attn_stream_k_fixup_uniformILi80ELi32ELi1EEvPfPK15HIP_vector_typeIfLj2EEiiiiiiS1_IjLj3EES5_S5_,@function
_ZL33flash_attn_stream_k_fixup_uniformILi80ELi32ELi1EEvPfPK15HIP_vector_typeIfLj2EEiiiiiiS1_IjLj3EES5_S5_: ; @_ZL33flash_attn_stream_k_fixup_uniformILi80ELi32ELi1EEvPfPK15HIP_vector_typeIfLj2EEiiiiiiS1_IjLj3EES5_S5_
; %bb.0:
	s_load_dwordx8 s[12:19], s[4:5], 0x1c
	s_load_dwordx2 s[10:11], s[4:5], 0x10
	s_load_dwordx4 s[0:3], s[4:5], 0x3c
	s_waitcnt lgkmcnt(0)
	s_mul_hi_u32 s9, s15, s6
	s_add_i32 s9, s6, s9
	s_lshr_b32 s9, s9, s16
	s_mul_i32 s15, s9, s17
	s_sub_i32 s16, s6, s15
	s_mul_hi_u32 s15, s16, s18
	s_add_i32 s15, s16, s15
	s_lshr_b32 s15, s15, s19
	s_mul_i32 s0, s15, s0
	s_sub_i32 s0, s16, s0
	;; [unrolled: 5-line block ×3, first 2 shown]
	s_lshl_b32 s0, s16, 5
	s_add_i32 s0, s0, s7
	s_cmp_lt_i32 s0, s10
	s_cselect_b64 s[0:1], -1, 0
	s_add_i32 s17, s17, s8
	s_cmp_lt_i32 s17, s13
	s_cselect_b64 s[2:3], -1, 0
	s_and_b64 s[0:1], s[0:1], s[2:3]
	s_andn2_b64 vcc, exec, s[0:1]
	s_cbranch_vccnz .LBB11_6
; %bb.1:
	s_load_dwordx4 s[0:3], s[4:5], 0x0
	s_mul_i32 s4, s9, s10
	s_mul_i32 s15, s15, s13
	s_add_i32 s4, s4, s7
	s_mul_i32 s4, s4, s11
	s_add_i32 s9, s17, s15
	;; [unrolled: 2-line block ×3, first 2 shown]
	s_mulk_i32 s5, 0xa00
	s_mulk_i32 s4, 0x50
	s_add_i32 s4, s4, s5
	v_add_u32_e32 v2, s4, v0
	v_ashrrev_i32_e32 v3, 31, v2
	v_lshlrev_b64 v[2:3], 2, v[2:3]
	s_waitcnt lgkmcnt(0)
	v_mov_b32_e32 v1, s1
	v_add_co_u32_e32 v2, vcc, s0, v2
	v_addc_co_u32_e32 v3, vcc, v1, v3, vcc
	global_load_dword v8, v[2:3], off
	s_add_i32 s4, s7, s8
	s_mul_i32 s7, s6, s14
	s_add_i32 s5, s7, s14
	s_lshl_b32 s0, s5, 5
	s_add_i32 s0, s4, s0
	s_sub_i32 s0, s0, 32
	s_ashr_i32 s1, s0, 31
	s_lshl_b64 s[0:1], s[0:1], 3
	s_add_u32 s0, s2, s0
	s_addc_u32 s1, s3, s1
	s_load_dword s10, s[0:1], 0x4
	s_add_i32 s8, s5, -2
	s_cmp_lt_i32 s8, s7
	s_cbranch_scc1 .LBB11_4
; %bb.2:
	s_lshl_b32 s8, s12, 7
	s_ashr_i32 s9, s8, 31
	s_lshl_b64 s[8:9], s[8:9], 2
	s_add_u32 s8, s2, s8
	s_addc_u32 s11, s3, s9
	s_load_dword s0, s[0:1], 0x0
	s_add_i32 s6, s6, 1
	s_add_i32 s9, s5, -1
	s_mul_i32 s5, s14, s6
	s_mul_i32 s1, s4, 0x50
	s_lshl_b32 s6, s5, 5
	s_mulk_i32 s5, 0xa00
	s_add_i32 s4, s4, s6
	s_lshl_b32 s6, s12, 5
	s_add_i32 s1, s1, s5
	s_add_i32 s4, s4, s6
	v_add_u32_e32 v0, s1, v0
	s_sub_i32 s4, s4, 64
	v_add_u32_e32 v0, 0xffffec00, v0
	s_waitcnt lgkmcnt(0)
	v_mov_b32_e32 v7, s10
	v_mov_b32_e32 v6, s0
	;; [unrolled: 1-line block ×3, first 2 shown]
	s_mov_b32 s6, 0x3fb8aa3b
	s_mov_b32 s10, 0xc2ce8ed0
	;; [unrolled: 1-line block ×3, first 2 shown]
	v_mov_b32_e32 v5, 0x7f800000
	s_mov_b32 s12, 0xc1a00000
.LBB11_3:                               ; =>This Inner Loop Header: Depth=1
	v_ashrrev_i32_e32 v1, 31, v0
	v_lshlrev_b64 v[10:11], 2, v[0:1]
	v_add_co_u32_e32 v10, vcc, s8, v10
	v_addc_co_u32_e32 v11, vcc, v4, v11, vcc
	global_load_dword v1, v[10:11], off
	s_ashr_i32 s5, s4, 31
	s_lshl_b64 s[0:1], s[4:5], 3
	s_add_u32 s0, s2, s0
	s_addc_u32 s1, s3, s1
	s_load_dwordx2 s[14:15], s[0:1], 0x0
	s_waitcnt vmcnt(1)
	v_mov_b32_e32 v9, v8
	v_max_f32_e32 v8, v6, v6
	v_mov_b32_e32 v10, v7
	s_add_i32 s9, s9, -1
	s_waitcnt lgkmcnt(0)
	v_max_f32_e64 v7, s14, s14
	v_max_f32_e32 v7, v8, v7
	v_sub_f32_e32 v11, s14, v7
	v_sub_f32_e32 v8, v6, v7
	v_mul_f32_e32 v12, 0x3fb8aa3b, v11
	v_mov_b32_e32 v6, v7
	v_mul_f32_e32 v7, 0x3fb8aa3b, v8
	v_fma_f32 v15, v11, s6, -v12
	v_rndne_f32_e32 v16, v12
	v_fma_f32 v13, v8, s6, -v7
	v_rndne_f32_e32 v14, v7
	v_fmac_f32_e32 v15, 0x32a5705f, v11
	v_sub_f32_e32 v12, v12, v16
	v_fmac_f32_e32 v13, 0x32a5705f, v8
	v_sub_f32_e32 v7, v7, v14
	v_add_f32_e32 v12, v12, v15
	v_cvt_i32_f32_e32 v16, v16
	v_add_f32_e32 v7, v7, v13
	v_exp_f32_e32 v12, v12
	v_cvt_i32_f32_e32 v14, v14
	v_exp_f32_e32 v7, v7
	v_cmp_ngt_f32_e32 vcc, s10, v11
	v_ldexp_f32 v12, v12, v16
	v_cmp_ngt_f32_e64 s[0:1], s10, v8
	v_ldexp_f32 v7, v7, v14
	v_cndmask_b32_e32 v12, 0, v12, vcc
	v_cmp_nlt_f32_e32 vcc, s11, v11
	v_cndmask_b32_e64 v7, 0, v7, s[0:1]
	v_cmp_nlt_f32_e64 s[0:1], s11, v8
	v_cndmask_b32_e32 v12, v5, v12, vcc
	v_cmp_le_f32_e32 vcc, s12, v11
	v_cndmask_b32_e64 v7, v5, v7, s[0:1]
	v_cmp_le_f32_e64 s[0:1], s12, v8
	v_cndmask_b32_e32 v8, 0, v12, vcc
	s_sub_i32 s4, s4, 32
	v_cndmask_b32_e64 v11, 0, v7, s[0:1]
	v_mul_f32_e32 v7, s15, v8
	v_add_u32_e32 v0, 0xfffff600, v0
	s_cmp_le_i32 s9, s7
	v_fmac_f32_e32 v7, v10, v11
	s_waitcnt vmcnt(0)
	v_mul_f32_e32 v8, v1, v8
	v_fmac_f32_e32 v8, v9, v11
	s_cbranch_scc0 .LBB11_3
	s_branch .LBB11_5
.LBB11_4:
	s_waitcnt lgkmcnt(0)
	v_mov_b32_e32 v7, s10
.LBB11_5:
	s_waitcnt vmcnt(0)
	v_div_scale_f32 v0, s[0:1], v7, v7, v8
	v_rcp_f32_e32 v1, v0
	v_div_scale_f32 v4, vcc, v8, v7, v8
	v_fma_f32 v5, -v0, v1, 1.0
	v_fmac_f32_e32 v1, v5, v1
	v_mul_f32_e32 v5, v4, v1
	v_fma_f32 v6, -v0, v5, v4
	v_fmac_f32_e32 v5, v6, v1
	v_fma_f32 v0, -v0, v5, v4
	v_div_fmas_f32 v0, v0, v1, v5
	v_div_fixup_f32 v0, v0, v7, v8
	global_store_dword v[2:3], v0, off
.LBB11_6:
	s_endpgm
	.section	.rodata,"a",@progbits
	.p2align	6, 0x0
	.amdhsa_kernel _ZL33flash_attn_stream_k_fixup_uniformILi80ELi32ELi1EEvPfPK15HIP_vector_typeIfLj2EEiiiiiiS1_IjLj3EES5_S5_
		.amdhsa_group_segment_fixed_size 0
		.amdhsa_private_segment_fixed_size 0
		.amdhsa_kernarg_size 76
		.amdhsa_user_sgpr_count 6
		.amdhsa_user_sgpr_private_segment_buffer 1
		.amdhsa_user_sgpr_dispatch_ptr 0
		.amdhsa_user_sgpr_queue_ptr 0
		.amdhsa_user_sgpr_kernarg_segment_ptr 1
		.amdhsa_user_sgpr_dispatch_id 0
		.amdhsa_user_sgpr_flat_scratch_init 0
		.amdhsa_user_sgpr_kernarg_preload_length 0
		.amdhsa_user_sgpr_kernarg_preload_offset 0
		.amdhsa_user_sgpr_private_segment_size 0
		.amdhsa_uses_dynamic_stack 0
		.amdhsa_system_sgpr_private_segment_wavefront_offset 0
		.amdhsa_system_sgpr_workgroup_id_x 1
		.amdhsa_system_sgpr_workgroup_id_y 1
		.amdhsa_system_sgpr_workgroup_id_z 1
		.amdhsa_system_sgpr_workgroup_info 0
		.amdhsa_system_vgpr_workitem_id 0
		.amdhsa_next_free_vgpr 17
		.amdhsa_next_free_sgpr 20
		.amdhsa_accum_offset 20
		.amdhsa_reserve_vcc 1
		.amdhsa_reserve_flat_scratch 0
		.amdhsa_float_round_mode_32 0
		.amdhsa_float_round_mode_16_64 0
		.amdhsa_float_denorm_mode_32 3
		.amdhsa_float_denorm_mode_16_64 3
		.amdhsa_dx10_clamp 1
		.amdhsa_ieee_mode 1
		.amdhsa_fp16_overflow 0
		.amdhsa_tg_split 0
		.amdhsa_exception_fp_ieee_invalid_op 0
		.amdhsa_exception_fp_denorm_src 0
		.amdhsa_exception_fp_ieee_div_zero 0
		.amdhsa_exception_fp_ieee_overflow 0
		.amdhsa_exception_fp_ieee_underflow 0
		.amdhsa_exception_fp_ieee_inexact 0
		.amdhsa_exception_int_div_zero 0
	.end_amdhsa_kernel
	.section	.text._ZL33flash_attn_stream_k_fixup_uniformILi80ELi32ELi1EEvPfPK15HIP_vector_typeIfLj2EEiiiiiiS1_IjLj3EES5_S5_,"axG",@progbits,_ZL33flash_attn_stream_k_fixup_uniformILi80ELi32ELi1EEvPfPK15HIP_vector_typeIfLj2EEiiiiiiS1_IjLj3EES5_S5_,comdat
.Lfunc_end11:
	.size	_ZL33flash_attn_stream_k_fixup_uniformILi80ELi32ELi1EEvPfPK15HIP_vector_typeIfLj2EEiiiiiiS1_IjLj3EES5_S5_, .Lfunc_end11-_ZL33flash_attn_stream_k_fixup_uniformILi80ELi32ELi1EEvPfPK15HIP_vector_typeIfLj2EEiiiiiiS1_IjLj3EES5_S5_
                                        ; -- End function
	.section	.AMDGPU.csdata,"",@progbits
; Kernel info:
; codeLenInByte = 836
; NumSgprs: 24
; NumVgprs: 17
; NumAgprs: 0
; TotalNumVgprs: 17
; ScratchSize: 0
; MemoryBound: 0
; FloatMode: 240
; IeeeMode: 1
; LDSByteSize: 0 bytes/workgroup (compile time only)
; SGPRBlocks: 2
; VGPRBlocks: 2
; NumSGPRsForWavesPerEU: 24
; NumVGPRsForWavesPerEU: 17
; AccumOffset: 20
; Occupancy: 8
; WaveLimiterHint : 0
; COMPUTE_PGM_RSRC2:SCRATCH_EN: 0
; COMPUTE_PGM_RSRC2:USER_SGPR: 6
; COMPUTE_PGM_RSRC2:TRAP_HANDLER: 0
; COMPUTE_PGM_RSRC2:TGID_X_EN: 1
; COMPUTE_PGM_RSRC2:TGID_Y_EN: 1
; COMPUTE_PGM_RSRC2:TGID_Z_EN: 1
; COMPUTE_PGM_RSRC2:TIDIG_COMP_CNT: 0
; COMPUTE_PGM_RSRC3_GFX90A:ACCUM_OFFSET: 4
; COMPUTE_PGM_RSRC3_GFX90A:TG_SPLIT: 0
	.section	.text._ZL33flash_attn_stream_k_fixup_generalILi80ELi32ELi1EEvPfPK15HIP_vector_typeIfLj2EEiiiiS1_IjLj3EES5_S5_S5_,"axG",@progbits,_ZL33flash_attn_stream_k_fixup_generalILi80ELi32ELi1EEvPfPK15HIP_vector_typeIfLj2EEiiiiS1_IjLj3EES5_S5_S5_,comdat
	.globl	_ZL33flash_attn_stream_k_fixup_generalILi80ELi32ELi1EEvPfPK15HIP_vector_typeIfLj2EEiiiiS1_IjLj3EES5_S5_S5_ ; -- Begin function _ZL33flash_attn_stream_k_fixup_generalILi80ELi32ELi1EEvPfPK15HIP_vector_typeIfLj2EEiiiiS1_IjLj3EES5_S5_S5_
	.p2align	8
	.type	_ZL33flash_attn_stream_k_fixup_generalILi80ELi32ELi1EEvPfPK15HIP_vector_typeIfLj2EEiiiiS1_IjLj3EES5_S5_S5_,@function
_ZL33flash_attn_stream_k_fixup_generalILi80ELi32ELi1EEvPfPK15HIP_vector_typeIfLj2EEiiiiS1_IjLj3EES5_S5_S5_: ; @_ZL33flash_attn_stream_k_fixup_generalILi80ELi32ELi1EEvPfPK15HIP_vector_typeIfLj2EEiiiiS1_IjLj3EES5_S5_S5_
; %bb.0:
	s_load_dwordx4 s[12:15], s[4:5], 0x10
	s_load_dword s9, s[4:5], 0x50
	s_mov_b32 s2, 0
	s_waitcnt lgkmcnt(0)
	s_mul_hi_i32 s3, s15, s6
	s_cmp_lg_u64 s[2:3], 0
	s_mul_i32 s2, s15, s6
	s_cbranch_scc0 .LBB12_21
; %bb.1:
	v_cvt_f32_u32_e32 v1, s9
	v_cvt_f32_ubyte0_e32 v2, 0
	s_sub_u32 s10, 0, s9
	s_subb_u32 s11, 0, 0
	v_madmk_f32 v1, v2, 0x4f800000, v1
	v_rcp_f32_e32 v1, v1
	v_mul_f32_e32 v1, 0x5f7ffffc, v1
	v_mul_f32_e32 v2, 0x2f800000, v1
	v_trunc_f32_e32 v2, v2
	v_madmk_f32 v1, v2, 0xcf800000, v1
	v_cvt_u32_f32_e32 v2, v2
	v_cvt_u32_f32_e32 v1, v1
	v_readfirstlane_b32 s16, v2
	v_readfirstlane_b32 s17, v1
	s_mul_i32 s18, s10, s16
	s_mul_hi_u32 s20, s10, s17
	s_mul_i32 s19, s11, s17
	s_add_i32 s18, s20, s18
	s_add_i32 s18, s18, s19
	s_mul_i32 s21, s10, s17
	s_mul_hi_u32 s19, s17, s18
	s_mul_i32 s20, s17, s18
	s_mul_hi_u32 s17, s17, s21
	s_add_u32 s17, s17, s20
	s_addc_u32 s19, 0, s19
	s_mul_hi_u32 s22, s16, s21
	s_mul_i32 s21, s16, s21
	s_add_u32 s17, s17, s21
	s_mul_hi_u32 s20, s16, s18
	s_addc_u32 s17, s19, s22
	s_addc_u32 s19, s20, 0
	s_mul_i32 s18, s16, s18
	s_add_u32 s17, s17, s18
	s_addc_u32 s18, 0, s19
	v_add_co_u32_e32 v1, vcc, s17, v1
	s_cmp_lg_u64 vcc, 0
	s_addc_u32 s16, s16, s18
	v_readfirstlane_b32 s18, v1
	s_mul_i32 s17, s10, s16
	s_mul_hi_u32 s19, s10, s18
	s_add_i32 s17, s19, s17
	s_mul_i32 s11, s11, s18
	s_add_i32 s17, s17, s11
	s_mul_i32 s10, s10, s18
	s_mul_hi_u32 s19, s16, s10
	s_mul_i32 s20, s16, s10
	s_mul_i32 s22, s18, s17
	s_mul_hi_u32 s10, s18, s10
	s_mul_hi_u32 s21, s18, s17
	s_add_u32 s10, s10, s22
	s_addc_u32 s18, 0, s21
	s_add_u32 s10, s10, s20
	s_mul_hi_u32 s11, s16, s17
	s_addc_u32 s10, s18, s19
	s_addc_u32 s11, s11, 0
	s_mul_i32 s17, s16, s17
	s_add_u32 s10, s10, s17
	s_addc_u32 s11, 0, s11
	v_add_co_u32_e32 v1, vcc, s10, v1
	s_cmp_lg_u64 vcc, 0
	s_addc_u32 s18, s16, s11
	s_ashr_i32 s10, s3, 31
	s_add_u32 s16, s2, s10
	s_mov_b32 s11, s10
	s_addc_u32 s17, s3, s10
	s_xor_b64 s[16:17], s[16:17], s[10:11]
	v_readfirstlane_b32 s20, v1
	s_mul_i32 s19, s16, s18
	s_mul_hi_u32 s21, s16, s20
	s_mul_hi_u32 s3, s16, s18
	s_add_u32 s19, s21, s19
	s_addc_u32 s3, 0, s3
	s_mul_hi_u32 s22, s17, s20
	s_mul_i32 s20, s17, s20
	s_add_u32 s19, s19, s20
	s_mul_hi_u32 s21, s17, s18
	s_addc_u32 s3, s3, s22
	s_addc_u32 s19, s21, 0
	s_mul_i32 s18, s17, s18
	s_add_u32 s3, s3, s18
	s_addc_u32 s18, 0, s19
	s_add_u32 s19, s3, 1
	s_addc_u32 s20, s18, 0
	s_add_u32 s21, s3, 2
	s_mul_i32 s23, s9, s18
	s_mul_hi_u32 s24, s9, s3
	s_addc_u32 s22, s18, 0
	s_add_i32 s24, s24, s23
	s_mul_i32 s23, s9, s3
	v_mov_b32_e32 v1, s23
	v_sub_co_u32_e32 v1, vcc, s16, v1
	s_cmp_lg_u64 vcc, 0
	s_subb_u32 s16, s17, s24
	v_subrev_co_u32_e32 v2, vcc, s9, v1
	s_cmp_lg_u64 vcc, 0
	s_subb_u32 s17, s16, 0
	v_readfirstlane_b32 s23, v2
	s_cmp_ge_u32 s23, s9
	s_cselect_b32 s23, -1, 0
	s_cmp_eq_u32 s17, 0
	s_cselect_b32 s17, s23, -1
	s_cmp_lg_u32 s17, 0
	s_cselect_b32 s17, s22, s20
	v_readfirstlane_b32 s20, v1
	s_cselect_b32 s19, s21, s19
	s_cmp_ge_u32 s20, s9
	s_cselect_b32 s20, -1, 0
	s_cmp_eq_u32 s16, 0
	s_cselect_b32 s16, s20, -1
	s_cmp_lg_u32 s16, 0
	s_cselect_b32 s17, s17, s18
	s_cselect_b32 s16, s19, s3
	s_xor_b64 s[16:17], s[16:17], s[10:11]
	s_sub_u32 s20, s16, s10
	s_load_dwordx4 s[16:19], s[4:5], 0x44
	s_cbranch_execnz .LBB12_3
.LBB12_2:
	v_cvt_f32_u32_e32 v1, s9
	s_sub_i32 s0, 0, s9
	v_rcp_iflag_f32_e32 v1, v1
	v_mul_f32_e32 v1, 0x4f7ffffe, v1
	v_cvt_u32_f32_e32 v1, v1
	v_readfirstlane_b32 s1, v1
	s_mul_i32 s0, s0, s1
	s_mul_hi_u32 s0, s1, s0
	s_add_i32 s1, s1, s0
	s_mul_hi_u32 s0, s2, s1
	s_mul_i32 s3, s0, s9
	s_sub_i32 s2, s2, s3
	s_add_i32 s1, s0, 1
	s_sub_i32 s3, s2, s9
	s_cmp_ge_u32 s2, s9
	s_cselect_b32 s0, s1, s0
	s_cselect_b32 s2, s3, s2
	s_add_i32 s1, s0, 1
	s_cmp_ge_u32 s2, s9
	s_cselect_b32 s20, s1, s0
.LBB12_3:
	s_add_i32 s0, s6, 1
	s_mul_hi_i32 s3, s15, s0
	s_mov_b32 s2, 0
	s_cmp_lg_u64 s[2:3], 0
	s_mul_i32 s2, s15, s0
	s_cbranch_scc0 .LBB12_22
; %bb.4:
	v_cvt_f32_u32_e32 v1, s9
	v_cvt_f32_ubyte0_e32 v2, 0
	s_sub_u32 s10, 0, s9
	s_subb_u32 s11, 0, 0
	v_madmk_f32 v1, v2, 0x4f800000, v1
	v_rcp_f32_e32 v1, v1
	v_mul_f32_e32 v1, 0x5f7ffffc, v1
	v_mul_f32_e32 v2, 0x2f800000, v1
	v_trunc_f32_e32 v2, v2
	v_madmk_f32 v1, v2, 0xcf800000, v1
	v_cvt_u32_f32_e32 v2, v2
	v_cvt_u32_f32_e32 v1, v1
	s_waitcnt lgkmcnt(0)
	v_readfirstlane_b32 s19, v2
	v_readfirstlane_b32 s21, v1
	s_mul_i32 s22, s10, s19
	s_mul_hi_u32 s24, s10, s21
	s_mul_i32 s23, s11, s21
	s_add_i32 s22, s24, s22
	s_add_i32 s22, s22, s23
	s_mul_i32 s25, s10, s21
	s_mul_hi_u32 s23, s21, s22
	s_mul_i32 s24, s21, s22
	s_mul_hi_u32 s21, s21, s25
	s_add_u32 s21, s21, s24
	s_addc_u32 s23, 0, s23
	s_mul_hi_u32 s26, s19, s25
	s_mul_i32 s25, s19, s25
	s_add_u32 s21, s21, s25
	s_mul_hi_u32 s24, s19, s22
	s_addc_u32 s21, s23, s26
	s_addc_u32 s23, s24, 0
	s_mul_i32 s22, s19, s22
	s_add_u32 s21, s21, s22
	s_addc_u32 s22, 0, s23
	v_add_co_u32_e32 v1, vcc, s21, v1
	s_cmp_lg_u64 vcc, 0
	s_addc_u32 s19, s19, s22
	v_readfirstlane_b32 s22, v1
	s_mul_i32 s21, s10, s19
	s_mul_hi_u32 s23, s10, s22
	s_add_i32 s21, s23, s21
	s_mul_i32 s11, s11, s22
	s_add_i32 s21, s21, s11
	s_mul_i32 s10, s10, s22
	s_mul_hi_u32 s23, s19, s10
	s_mul_i32 s24, s19, s10
	s_mul_i32 s26, s22, s21
	s_mul_hi_u32 s10, s22, s10
	s_mul_hi_u32 s25, s22, s21
	s_add_u32 s10, s10, s26
	s_addc_u32 s22, 0, s25
	s_add_u32 s10, s10, s24
	s_mul_hi_u32 s11, s19, s21
	s_addc_u32 s10, s22, s23
	s_addc_u32 s11, s11, 0
	s_mul_i32 s21, s19, s21
	s_add_u32 s10, s10, s21
	s_addc_u32 s11, 0, s11
	v_add_co_u32_e32 v1, vcc, s10, v1
	s_cmp_lg_u64 vcc, 0
	s_addc_u32 s19, s19, s11
	s_ashr_i32 s10, s3, 31
	s_add_u32 s22, s2, s10
	s_mov_b32 s11, s10
	s_addc_u32 s23, s3, s10
	s_xor_b64 s[22:23], s[22:23], s[10:11]
	v_readfirstlane_b32 s21, v1
	s_mul_i32 s11, s22, s19
	s_mul_hi_u32 s24, s22, s21
	s_mul_hi_u32 s3, s22, s19
	s_add_u32 s11, s24, s11
	s_addc_u32 s3, 0, s3
	s_mul_hi_u32 s25, s23, s21
	s_mul_i32 s21, s23, s21
	s_add_u32 s11, s11, s21
	s_mul_hi_u32 s24, s23, s19
	s_addc_u32 s3, s3, s25
	s_addc_u32 s11, s24, 0
	s_mul_i32 s19, s23, s19
	s_add_u32 s3, s3, s19
	s_addc_u32 s11, 0, s11
	s_mul_i32 s11, s9, s11
	s_mul_hi_u32 s24, s9, s3
	s_add_i32 s24, s24, s11
	s_mul_i32 s11, s9, s3
	v_mov_b32_e32 v1, s11
	s_add_u32 s19, s3, 1
	s_add_u32 s21, s3, 2
	v_sub_co_u32_e32 v1, vcc, s22, v1
	s_cmp_lg_u64 vcc, 0
	s_subb_u32 s11, s23, s24
	v_subrev_co_u32_e32 v2, vcc, s9, v1
	s_cmp_lg_u64 vcc, 0
	s_subb_u32 s22, s11, 0
	v_cmp_le_u32_e32 vcc, s9, v2
	s_cmp_eq_u32 s22, 0
	v_cndmask_b32_e64 v2, 0, -1, vcc
	s_cselect_b64 vcc, -1, 0
	v_cndmask_b32_e32 v2, -1, v2, vcc
	v_mov_b32_e32 v3, s19
	v_mov_b32_e32 v4, s21
	v_cmp_ne_u32_e32 vcc, 0, v2
	v_cndmask_b32_e32 v2, v3, v4, vcc
	v_cmp_le_u32_e32 vcc, s9, v1
	s_cmp_eq_u32 s11, 0
	v_cndmask_b32_e64 v1, 0, -1, vcc
	s_cselect_b64 vcc, -1, 0
	v_cndmask_b32_e32 v1, -1, v1, vcc
	v_mov_b32_e32 v3, s3
	v_cmp_ne_u32_e32 vcc, 0, v1
	v_cndmask_b32_e32 v1, v3, v2, vcc
	v_xor_b32_e32 v1, s10, v1
	v_subrev_co_u32_e32 v2, vcc, s10, v1
	s_cbranch_execnz .LBB12_6
.LBB12_5:
	v_cvt_f32_u32_e32 v1, s9
	s_sub_i32 s0, 0, s9
	s_mov_b32 s1, 0
	v_rcp_iflag_f32_e32 v1, v1
	v_mul_f32_e32 v1, 0x4f7ffffe, v1
	v_cvt_u32_f32_e32 v1, v1
	v_readfirstlane_b32 s3, v1
	s_mul_i32 s0, s0, s3
	s_mul_hi_u32 s0, s3, s0
	s_add_i32 s3, s3, s0
	s_mul_hi_u32 s0, s2, s3
	s_mul_i32 s10, s0, s9
	s_sub_i32 s2, s2, s10
	s_add_i32 s3, s0, 1
	s_sub_i32 s10, s2, s9
	s_cmp_ge_u32 s2, s9
	s_cselect_b32 s0, s3, s0
	s_cselect_b32 s2, s10, s2
	s_add_i32 s3, s0, 1
	s_cmp_ge_u32 s2, s9
	s_cselect_b32 s0, s3, s0
	v_pk_mov_b32 v[2:3], s[0:1], s[0:1] op_sel:[0,1]
.LBB12_6:
	s_waitcnt lgkmcnt(0)
	s_mul_hi_u32 s0, s20, s16
	s_add_i32 s0, s0, s20
	v_mul_hi_u32 v1, v2, s16
	s_lshr_b32 s19, s0, s17
	v_add_u32_e32 v1, v1, v2
	s_mul_i32 s0, s19, s18
	v_lshrrev_b32_e32 v1, s17, v1
	s_cmp_eq_u32 s0, s20
	v_cmp_eq_u32_e64 s[0:1], s19, v1
	v_mul_lo_u32 v1, v1, s18
	v_cmp_eq_u32_e32 vcc, s20, v2
	s_cselect_b64 s[10:11], -1, 0
	v_cmp_ne_u32_e64 s[2:3], v1, v2
	s_and_b64 s[0:1], s[0:1], s[2:3]
	s_or_b64 s[2:3], vcc, s[10:11]
	s_or_b64 s[0:1], s[2:3], s[0:1]
	s_and_b64 vcc, exec, s[0:1]
	s_cbranch_vccnz .LBB12_24
; %bb.7:
	s_load_dwordx8 s[24:31], s[4:5], 0x20
	s_load_dword s0, s[4:5], 0x40
	s_mov_b32 s10, 0
	s_waitcnt lgkmcnt(0)
	s_mul_hi_u32 s1, s20, s24
	s_add_i32 s1, s1, s20
	s_lshr_b32 s11, s1, s25
	s_mul_i32 s1, s11, s26
	s_sub_i32 s1, s20, s1
	s_mul_hi_u32 s2, s1, s27
	s_add_i32 s2, s1, s2
	s_lshr_b32 s23, s2, s28
	s_mul_i32 s2, s23, s29
	s_sub_i32 s1, s1, s2
	;; [unrolled: 5-line block ×3, first 2 shown]
	s_mul_hi_u32 s1, s0, s16
	s_add_i32 s0, s0, s1
	s_lshr_b32 s24, s0, s17
	s_lshl_b32 s0, s24, 5
	s_add_i32 s0, s0, s7
	s_cmp_lt_i32 s0, s12
	s_cselect_b64 s[0:1], -1, 0
	s_add_i32 s25, s25, s8
	s_cmp_lt_i32 s25, s14
	s_cselect_b64 s[2:3], -1, 0
	s_and_b64 s[0:1], s[0:1], s[2:3]
	s_andn2_b64 vcc, exec, s[0:1]
	s_cbranch_vccnz .LBB12_24
; %bb.8:
	s_load_dwordx4 s[0:3], s[4:5], 0x0
	s_lshl_b32 s4, s9, 7
	s_mov_b32 s5, s10
	s_add_i32 s8, s7, s8
	s_lshl_b64 s[4:5], s[4:5], 2
	s_waitcnt lgkmcnt(0)
	s_add_u32 s21, s2, s4
	s_mul_i32 s4, s11, s12
	s_addc_u32 s22, s3, s5
	s_mul_i32 s23, s23, s14
	s_add_i32 s4, s4, s7
	s_mul_i32 s4, s4, s13
	s_add_i32 s7, s25, s23
	;; [unrolled: 2-line block ×3, first 2 shown]
	s_mulk_i32 s5, 0xa00
	s_mulk_i32 s4, 0x50
	s_add_i32 s5, s5, s4
	v_add_u32_e32 v2, s5, v0
	v_ashrrev_i32_e32 v3, 31, v2
	v_lshlrev_b64 v[2:3], 2, v[2:3]
	v_mov_b32_e32 v1, s1
	v_add_co_u32_e32 v2, vcc, s0, v2
	v_addc_co_u32_e32 v3, vcc, v1, v3, vcc
	global_load_dword v5, v[2:3], off
	s_mul_i32 s4, s8, 0x50
	v_add_u32_e32 v4, s4, v0
	v_cvt_f32_u32_e32 v0, s9
	v_cvt_f32_ubyte0_e32 v1, 0
	s_lshl_b32 s0, s6, 5
	s_add_i32 s0, s0, s8
	v_mac_f32_e32 v0, 0x4f800000, v1
	v_rcp_f32_e32 v0, v0
	v_cvt_f32_u32_e32 v1, s9
	s_ashr_i32 s1, s0, 31
	s_lshl_b64 s[0:1], s[0:1], 3
	v_mul_f32_e32 v0, 0x5f7ffffc, v0
	v_rcp_iflag_f32_e32 v1, v1
	s_add_u32 s0, s2, s0
	v_mul_f32_e32 v9, 0x2f800000, v0
	s_addc_u32 s1, s3, s1
	v_trunc_f32_e32 v10, v9
	s_load_dwordx2 s[0:1], s[0:1], 0x0
	v_mac_f32_e32 v0, 0xcf800000, v10
	v_cvt_u32_f32_e32 v9, v0
	v_mul_f32_e32 v0, 0x4f7ffffe, v1
	v_cvt_u32_f32_e32 v10, v10
	v_cvt_u32_f32_e32 v11, v0
	s_add_i32 s12, s6, -1
	s_waitcnt lgkmcnt(0)
	v_mov_b32_e32 v6, s1
	v_mov_b32_e32 v7, s0
	;; [unrolled: 1-line block ×3, first 2 shown]
	s_mov_b32 s6, 0x3fb8aa3b
	s_mov_b32 s7, 0xc2ce8ed0
	;; [unrolled: 1-line block ×4, first 2 shown]
	v_mov_b32_e32 v12, 0x7f800000
	s_mul_hi_i32 s11, s12, s15
	s_cmp_lg_u64 s[10:11], 0
	s_mul_i32 s4, s12, s15
	s_cbranch_scc0 .LBB12_15
.LBB12_9:
	s_sub_u32 s0, 0, s9
	v_readfirstlane_b32 s5, v9
	v_readfirstlane_b32 s24, v10
	s_subb_u32 s1, 0, 0
	s_mul_hi_u32 s23, s0, s5
	s_mul_i32 s25, s0, s24
	s_mul_i32 s20, s1, s5
	s_add_i32 s23, s23, s25
	s_add_i32 s23, s23, s20
	s_mul_i32 s26, s0, s5
	s_mul_hi_u32 s20, s5, s23
	s_mul_i32 s25, s5, s23
	s_mul_hi_u32 s5, s5, s26
	s_add_u32 s5, s5, s25
	s_addc_u32 s20, 0, s20
	s_mul_hi_u32 s27, s24, s26
	s_mul_i32 s26, s24, s26
	s_add_u32 s5, s5, s26
	s_mul_hi_u32 s25, s24, s23
	s_addc_u32 s5, s20, s27
	s_addc_u32 s20, s25, 0
	s_mul_i32 s23, s24, s23
	s_add_u32 s5, s5, s23
	s_addc_u32 s20, 0, s20
	v_add_co_u32_e32 v0, vcc, s5, v9
	s_cmp_lg_u64 vcc, 0
	s_addc_u32 s5, s24, s20
	v_readfirstlane_b32 s23, v0
	s_mul_i32 s20, s0, s5
	s_mul_hi_u32 s24, s0, s23
	s_add_i32 s20, s24, s20
	s_mul_i32 s1, s1, s23
	s_add_i32 s20, s20, s1
	s_mul_i32 s0, s0, s23
	s_mul_hi_u32 s24, s5, s0
	s_mul_i32 s25, s5, s0
	s_mul_i32 s27, s23, s20
	s_mul_hi_u32 s0, s23, s0
	s_mul_hi_u32 s26, s23, s20
	s_add_u32 s0, s0, s27
	s_addc_u32 s23, 0, s26
	s_add_u32 s0, s0, s25
	s_mul_hi_u32 s1, s5, s20
	s_addc_u32 s0, s23, s24
	s_addc_u32 s1, s1, 0
	s_mul_i32 s20, s5, s20
	s_add_u32 s0, s0, s20
	s_addc_u32 s1, 0, s1
	v_add_co_u32_e32 v0, vcc, s0, v0
	s_cmp_lg_u64 vcc, 0
	s_addc_u32 s5, s5, s1
	s_ashr_i32 s0, s11, 31
	s_add_u32 s24, s4, s0
	s_mov_b32 s1, s0
	s_addc_u32 s25, s11, s0
	s_xor_b64 s[24:25], s[24:25], s[0:1]
	v_readfirstlane_b32 s20, v0
	s_mul_i32 s11, s24, s5
	s_mul_hi_u32 s23, s24, s20
	s_mul_hi_u32 s1, s24, s5
	s_add_u32 s11, s23, s11
	s_addc_u32 s1, 0, s1
	s_mul_hi_u32 s26, s25, s20
	s_mul_i32 s20, s25, s20
	s_add_u32 s11, s11, s20
	s_mul_hi_u32 s23, s25, s5
	s_addc_u32 s1, s1, s26
	s_addc_u32 s11, s23, 0
	s_mul_i32 s5, s25, s5
	s_add_u32 s1, s1, s5
	s_addc_u32 s5, 0, s11
	s_mul_i32 s5, s9, s5
	s_mul_hi_u32 s23, s9, s1
	s_add_i32 s23, s23, s5
	s_mul_i32 s5, s9, s1
	v_mov_b32_e32 v0, s5
	s_add_u32 s11, s1, 1
	s_add_u32 s20, s1, 2
	v_sub_co_u32_e32 v0, vcc, s24, v0
	s_cmp_lg_u64 vcc, 0
	s_subb_u32 s5, s25, s23
	v_subrev_co_u32_e32 v1, vcc, s9, v0
	s_cmp_lg_u64 vcc, 0
	s_subb_u32 s23, s5, 0
	v_cmp_le_u32_e32 vcc, s9, v1
	s_cmp_eq_u32 s23, 0
	v_cndmask_b32_e64 v1, 0, -1, vcc
	s_cselect_b64 vcc, -1, 0
	v_cndmask_b32_e32 v1, -1, v1, vcc
	v_mov_b32_e32 v13, s11
	v_mov_b32_e32 v14, s20
	v_cmp_ne_u32_e32 vcc, 0, v1
	v_cndmask_b32_e32 v1, v13, v14, vcc
	v_cmp_le_u32_e32 vcc, s9, v0
	s_cmp_eq_u32 s5, 0
	v_cndmask_b32_e64 v0, 0, -1, vcc
	s_cselect_b64 vcc, -1, 0
	v_cndmask_b32_e32 v0, -1, v0, vcc
	v_mov_b32_e32 v13, s1
	v_cmp_ne_u32_e32 vcc, 0, v0
	v_cndmask_b32_e32 v0, v13, v1, vcc
	v_xor_b32_e32 v0, s0, v0
	v_subrev_co_u32_e32 v0, vcc, s0, v0
	s_cbranch_execnz .LBB12_11
.LBB12_10:
	s_sub_i32 s0, 0, s9
	v_mul_lo_u32 v0, s0, v11
	v_mul_hi_u32 v0, v11, v0
	v_add_u32_e32 v0, v11, v0
	v_mul_hi_u32 v0, s4, v0
	v_mul_lo_u32 v13, v0, s9
	v_sub_u32_e32 v13, s4, v13
	v_add_u32_e32 v1, 1, v0
	v_subrev_u32_e32 v14, s9, v13
	v_cmp_le_u32_e32 vcc, s9, v13
	v_cndmask_b32_e32 v13, v13, v14, vcc
	v_cndmask_b32_e32 v0, v0, v1, vcc
	v_add_u32_e32 v1, 1, v0
	v_cmp_le_u32_e32 vcc, s9, v13
	v_cndmask_b32_e32 v0, v0, v1, vcc
.LBB12_11:
	v_cmp_ne_u32_e32 vcc, v8, v0
	s_cbranch_vccz .LBB12_14
; %bb.12:
	s_add_i32 s0, s12, s9
	s_lshl_b32 s0, s0, 5
	v_mul_hi_u32 v1, v0, s16
	s_add_i32 s0, s0, s8
	s_mov_b32 s1, s10
	v_add_u32_e32 v1, v1, v0
	s_lshl_b64 s[0:1], s[0:1], 3
	v_lshrrev_b32_e32 v1, s17, v1
	s_add_u32 s4, s2, s0
	v_mul_lo_u32 v13, v1, s18
	s_addc_u32 s5, s3, s1
	v_cmp_eq_u32_e32 vcc, v13, v0
	v_cmp_gt_u32_e64 s[0:1], s19, v1
	s_or_b64 s[0:1], s[0:1], vcc
	s_and_b64 vcc, exec, s[0:1]
	s_cbranch_vccnz .LBB12_16
; %bb.13:
	s_add_i32 s11, s12, -1
	s_mov_b64 s[0:1], 0
	s_branch .LBB12_17
.LBB12_14:
                                        ; implicit-def: $sgpr0_sgpr1
                                        ; implicit-def: $vgpr14
                                        ; implicit-def: $vgpr1
                                        ; implicit-def: $vgpr13
                                        ; implicit-def: $sgpr11
                                        ; implicit-def: $vgpr0
	s_branch .LBB12_18
.LBB12_15:
                                        ; implicit-def: $vgpr0_vgpr1
	s_branch .LBB12_10
.LBB12_16:
	s_mov_b64 s[0:1], -1
	s_mov_b32 s11, s12
	v_mov_b32_e32 v0, v8
.LBB12_17:
	s_mul_i32 s20, s12, 0xa00
	v_add_u32_e32 v14, s20, v4
	v_ashrrev_i32_e32 v15, 31, v14
	v_lshlrev_b64 v[14:15], 2, v[14:15]
	v_mov_b32_e32 v1, s22
	v_add_co_u32_e32 v14, vcc, s21, v14
	v_addc_co_u32_e32 v15, vcc, v1, v15, vcc
	global_load_dword v14, v[14:15], off
	s_load_dwordx2 s[4:5], s[4:5], 0x0
	v_max_f32_e32 v1, v7, v7
	s_waitcnt lgkmcnt(0)
	v_max_f32_e64 v13, s4, s4
	v_max_f32_e32 v1, v1, v13
	v_sub_f32_e32 v13, v7, v1
	v_sub_f32_e32 v15, s4, v1
	v_mul_f32_e32 v16, 0x3fb8aa3b, v13
	v_mul_f32_e32 v17, 0x3fb8aa3b, v15
	v_fma_f32 v18, v13, s6, -v16
	v_rndne_f32_e32 v19, v16
	v_fma_f32 v20, v15, s6, -v17
	v_rndne_f32_e32 v21, v17
	v_fmac_f32_e32 v18, 0x32a5705f, v13
	v_sub_f32_e32 v16, v16, v19
	v_fmac_f32_e32 v20, 0x32a5705f, v15
	v_sub_f32_e32 v17, v17, v21
	v_add_f32_e32 v16, v16, v18
	v_cvt_i32_f32_e32 v19, v19
	v_add_f32_e32 v17, v17, v20
	v_exp_f32_e32 v16, v16
	v_cvt_i32_f32_e32 v21, v21
	v_exp_f32_e32 v17, v17
	v_cmp_ngt_f32_e32 vcc, s7, v13
	v_ldexp_f32 v16, v16, v19
	v_cndmask_b32_e32 v16, 0, v16, vcc
	v_ldexp_f32 v17, v17, v21
	v_cmp_ngt_f32_e32 vcc, s7, v15
	v_cndmask_b32_e32 v17, 0, v17, vcc
	v_cmp_nlt_f32_e32 vcc, s13, v13
	v_cndmask_b32_e32 v16, v12, v16, vcc
	v_cmp_nlt_f32_e32 vcc, s13, v15
	v_cndmask_b32_e32 v17, v12, v17, vcc
	v_cmp_le_f32_e32 vcc, s14, v13
	v_cndmask_b32_e32 v16, 0, v16, vcc
	v_cmp_le_f32_e32 vcc, s14, v15
	v_cndmask_b32_e32 v15, 0, v17, vcc
	v_mul_f32_e32 v13, s5, v15
	v_fmac_f32_e32 v13, v6, v16
	s_waitcnt vmcnt(0)
	v_mul_f32_e32 v14, v14, v15
	v_fmac_f32_e32 v14, v5, v16
	s_cbranch_execnz .LBB12_19
.LBB12_18:
	s_add_i32 s11, s12, -1
	s_mov_b64 s[0:1], 0
	v_mov_b32_e32 v0, v8
	v_mov_b32_e32 v13, v6
	;; [unrolled: 1-line block ×3, first 2 shown]
	s_waitcnt vmcnt(0)
	v_mov_b32_e32 v14, v5
.LBB12_19:
	s_andn2_b64 vcc, exec, s[0:1]
	s_cbranch_vccz .LBB12_23
; %bb.20:
	v_mov_b32_e32 v8, v0
	s_mov_b32 s12, s11
	v_mov_b32_e32 v6, v13
	v_mov_b32_e32 v7, v1
	s_waitcnt vmcnt(0)
	v_mov_b32_e32 v5, v14
	s_mul_hi_i32 s11, s12, s15
	s_cmp_lg_u64 s[10:11], 0
	s_mul_i32 s4, s12, s15
	s_cbranch_scc1 .LBB12_9
	s_branch .LBB12_15
.LBB12_21:
                                        ; implicit-def: $sgpr20_sgpr21
	s_load_dwordx4 s[16:19], s[4:5], 0x44
	s_branch .LBB12_2
.LBB12_22:
                                        ; implicit-def: $vgpr2_vgpr3
	s_branch .LBB12_5
.LBB12_23:
	v_div_scale_f32 v0, s[0:1], v13, v13, v14
	v_rcp_f32_e32 v1, v0
	v_div_scale_f32 v4, vcc, v14, v13, v14
	s_waitcnt vmcnt(0)
	v_fma_f32 v5, -v0, v1, 1.0
	v_fmac_f32_e32 v1, v5, v1
	v_mul_f32_e32 v5, v4, v1
	v_fma_f32 v6, -v0, v5, v4
	v_fmac_f32_e32 v5, v6, v1
	v_fma_f32 v0, -v0, v5, v4
	v_div_fmas_f32 v0, v0, v1, v5
	v_div_fixup_f32 v0, v0, v13, v14
	global_store_dword v[2:3], v0, off
.LBB12_24:
	s_endpgm
	.section	.rodata,"a",@progbits
	.p2align	6, 0x0
	.amdhsa_kernel _ZL33flash_attn_stream_k_fixup_generalILi80ELi32ELi1EEvPfPK15HIP_vector_typeIfLj2EEiiiiS1_IjLj3EES5_S5_S5_
		.amdhsa_group_segment_fixed_size 0
		.amdhsa_private_segment_fixed_size 0
		.amdhsa_kernarg_size 336
		.amdhsa_user_sgpr_count 6
		.amdhsa_user_sgpr_private_segment_buffer 1
		.amdhsa_user_sgpr_dispatch_ptr 0
		.amdhsa_user_sgpr_queue_ptr 0
		.amdhsa_user_sgpr_kernarg_segment_ptr 1
		.amdhsa_user_sgpr_dispatch_id 0
		.amdhsa_user_sgpr_flat_scratch_init 0
		.amdhsa_user_sgpr_kernarg_preload_length 0
		.amdhsa_user_sgpr_kernarg_preload_offset 0
		.amdhsa_user_sgpr_private_segment_size 0
		.amdhsa_uses_dynamic_stack 0
		.amdhsa_system_sgpr_private_segment_wavefront_offset 0
		.amdhsa_system_sgpr_workgroup_id_x 1
		.amdhsa_system_sgpr_workgroup_id_y 1
		.amdhsa_system_sgpr_workgroup_id_z 1
		.amdhsa_system_sgpr_workgroup_info 0
		.amdhsa_system_vgpr_workitem_id 0
		.amdhsa_next_free_vgpr 22
		.amdhsa_next_free_sgpr 32
		.amdhsa_accum_offset 24
		.amdhsa_reserve_vcc 1
		.amdhsa_reserve_flat_scratch 0
		.amdhsa_float_round_mode_32 0
		.amdhsa_float_round_mode_16_64 0
		.amdhsa_float_denorm_mode_32 3
		.amdhsa_float_denorm_mode_16_64 3
		.amdhsa_dx10_clamp 1
		.amdhsa_ieee_mode 1
		.amdhsa_fp16_overflow 0
		.amdhsa_tg_split 0
		.amdhsa_exception_fp_ieee_invalid_op 0
		.amdhsa_exception_fp_denorm_src 0
		.amdhsa_exception_fp_ieee_div_zero 0
		.amdhsa_exception_fp_ieee_overflow 0
		.amdhsa_exception_fp_ieee_underflow 0
		.amdhsa_exception_fp_ieee_inexact 0
		.amdhsa_exception_int_div_zero 0
	.end_amdhsa_kernel
	.section	.text._ZL33flash_attn_stream_k_fixup_generalILi80ELi32ELi1EEvPfPK15HIP_vector_typeIfLj2EEiiiiS1_IjLj3EES5_S5_S5_,"axG",@progbits,_ZL33flash_attn_stream_k_fixup_generalILi80ELi32ELi1EEvPfPK15HIP_vector_typeIfLj2EEiiiiS1_IjLj3EES5_S5_S5_,comdat
.Lfunc_end12:
	.size	_ZL33flash_attn_stream_k_fixup_generalILi80ELi32ELi1EEvPfPK15HIP_vector_typeIfLj2EEiiiiS1_IjLj3EES5_S5_S5_, .Lfunc_end12-_ZL33flash_attn_stream_k_fixup_generalILi80ELi32ELi1EEvPfPK15HIP_vector_typeIfLj2EEiiiiS1_IjLj3EES5_S5_S5_
                                        ; -- End function
	.section	.AMDGPU.csdata,"",@progbits
; Kernel info:
; codeLenInByte = 2820
; NumSgprs: 36
; NumVgprs: 22
; NumAgprs: 0
; TotalNumVgprs: 22
; ScratchSize: 0
; MemoryBound: 0
; FloatMode: 240
; IeeeMode: 1
; LDSByteSize: 0 bytes/workgroup (compile time only)
; SGPRBlocks: 4
; VGPRBlocks: 2
; NumSGPRsForWavesPerEU: 36
; NumVGPRsForWavesPerEU: 22
; AccumOffset: 24
; Occupancy: 8
; WaveLimiterHint : 0
; COMPUTE_PGM_RSRC2:SCRATCH_EN: 0
; COMPUTE_PGM_RSRC2:USER_SGPR: 6
; COMPUTE_PGM_RSRC2:TRAP_HANDLER: 0
; COMPUTE_PGM_RSRC2:TGID_X_EN: 1
; COMPUTE_PGM_RSRC2:TGID_Y_EN: 1
; COMPUTE_PGM_RSRC2:TGID_Z_EN: 1
; COMPUTE_PGM_RSRC2:TIDIG_COMP_CNT: 0
; COMPUTE_PGM_RSRC3_GFX90A:ACCUM_OFFSET: 5
; COMPUTE_PGM_RSRC3_GFX90A:TG_SPLIT: 0
	.section	.text._ZL26flash_attn_combine_resultsILi80EEvPKfPK15HIP_vector_typeIfLj2EEPfi,"axG",@progbits,_ZL26flash_attn_combine_resultsILi80EEvPKfPK15HIP_vector_typeIfLj2EEPfi,comdat
	.globl	_ZL26flash_attn_combine_resultsILi80EEvPKfPK15HIP_vector_typeIfLj2EEPfi ; -- Begin function _ZL26flash_attn_combine_resultsILi80EEvPKfPK15HIP_vector_typeIfLj2EEPfi
	.p2align	8
	.type	_ZL26flash_attn_combine_resultsILi80EEvPKfPK15HIP_vector_typeIfLj2EEPfi,@function
_ZL26flash_attn_combine_resultsILi80EEvPKfPK15HIP_vector_typeIfLj2EEPfi: ; @_ZL26flash_attn_combine_resultsILi80EEvPKfPK15HIP_vector_typeIfLj2EEPfi
; %bb.0:
	s_load_dwordx2 s[0:1], s[4:5], 0x20
	s_load_dword s21, s[4:5], 0x18
	s_load_dwordx4 s[16:19], s[4:5], 0x0
	s_load_dwordx2 s[14:15], s[4:5], 0x10
	s_waitcnt lgkmcnt(0)
	s_mul_i32 s0, s0, s8
	s_add_i32 s0, s0, s6
	s_mul_i32 s20, s0, s1
	s_add_i32 s20, s20, s7
	s_lshl_b32 s10, s21, 1
	s_mul_i32 s0, s20, s21
	v_cmp_gt_i32_e32 vcc, s10, v0
	s_and_saveexec_b64 s[2:3], vcc
	s_cbranch_execz .LBB13_13
; %bb.1:
	v_xad_u32 v1, v0, -1, s10
	s_movk_i32 s4, 0x4f
	s_ashr_i32 s1, s0, 31
	v_cmp_lt_u32_e32 vcc, s4, v1
	s_mov_b64 s[6:7], -1
	v_mov_b32_e32 v2, v0
	s_and_saveexec_b64 s[4:5], vcc
	s_cbranch_execz .LBB13_10
; %bb.2:
	s_mov_b32 s6, 0xcccccccd
	v_mul_hi_u32 v1, v1, s6
	v_lshrrev_b32_e32 v6, 6, v1
	s_lshl_b64 s[6:7], s[0:1], 3
	v_add_u32_e32 v2, -1, v6
	s_add_u32 s11, s18, s6
	v_add_u32_e32 v1, 0x50, v0
	v_lshrrev_b32_e32 v3, 1, v2
	s_addc_u32 s12, s19, s7
	v_add_u32_e32 v7, 1, v3
	v_cmp_lt_u32_e32 vcc, 13, v2
	v_mov_b32_e32 v4, 0
	v_pk_mov_b32 v[2:3], v[0:1], v[0:1] op_sel:[0,1]
	s_and_saveexec_b64 s[6:7], vcc
	s_cbranch_execz .LBB13_6
; %bb.3:
	v_and_b32_e32 v8, -8, v7
	s_mov_b32 s13, 0
	v_lshl_add_u32 v9, v0, 2, 0
	s_mov_b64 s[8:9], 0
	v_mov_b32_e32 v10, s12
	v_mov_b32_e32 v5, 0
	v_pk_mov_b32 v[2:3], v[0:1], v[0:1] op_sel:[0,1]
.LBB13_4:                               ; =>This Inner Loop Header: Depth=1
	v_mov_b32_e32 v4, v2
	v_lshlrev_b64 v[26:27], 2, v[4:5]
	v_add_u32_e32 v12, 0xa0, v3
	v_mov_b32_e32 v13, v5
	v_add_co_u32_e32 v26, vcc, s11, v26
	v_lshlrev_b64 v[12:13], 2, v[12:13]
	v_addc_co_u32_e32 v27, vcc, v10, v27, vcc
	v_add_u32_e32 v14, 0x140, v3
	v_mov_b32_e32 v15, v5
	v_add_co_u32_e32 v12, vcc, s11, v12
	v_lshlrev_b64 v[14:15], 2, v[14:15]
	v_addc_co_u32_e32 v13, vcc, v10, v13, vcc
	;; [unrolled: 5-line block ×7, first 2 shown]
	v_mov_b32_e32 v4, v3
	v_add_co_u32_e32 v24, vcc, s11, v24
	v_lshlrev_b64 v[28:29], 2, v[4:5]
	v_addc_co_u32_e32 v25, vcc, v10, v25, vcc
	v_add_u32_e32 v4, 0xa0, v2
	v_add_co_u32_e32 v28, vcc, s11, v28
	v_addc_co_u32_e32 v29, vcc, v10, v29, vcc
	global_load_dword v1, v[26:27], off
	v_lshlrev_b64 v[26:27], 2, v[4:5]
	v_add_u32_e32 v4, 0x140, v2
	v_add_co_u32_e32 v26, vcc, s11, v26
	v_addc_co_u32_e32 v27, vcc, v10, v27, vcc
	v_lshlrev_b64 v[30:31], 2, v[4:5]
	v_add_u32_e32 v4, 0x1e0, v2
	global_load_dword v11, v[28:29], off
	global_load_dword v32, v[26:27], off
	;; [unrolled: 1-line block ×3, first 2 shown]
	v_add_co_u32_e32 v12, vcc, s11, v30
	v_addc_co_u32_e32 v13, vcc, v10, v31, vcc
	v_lshlrev_b64 v[26:27], 2, v[4:5]
	v_add_u32_e32 v4, 0x280, v2
	v_add_co_u32_e32 v26, vcc, s11, v26
	v_addc_co_u32_e32 v27, vcc, v10, v27, vcc
	v_lshlrev_b64 v[28:29], 2, v[4:5]
	v_add_u32_e32 v4, 0x320, v2
	global_load_dword v30, v[12:13], off
	global_load_dword v31, v[14:15], off
	;; [unrolled: 1-line block ×4, first 2 shown]
	v_add_co_u32_e32 v12, vcc, s11, v28
	v_addc_co_u32_e32 v13, vcc, v10, v29, vcc
	v_lshlrev_b64 v[14:15], 2, v[4:5]
	v_add_u32_e32 v4, 0x3c0, v2
	v_add_co_u32_e32 v14, vcc, s11, v14
	v_addc_co_u32_e32 v15, vcc, v10, v15, vcc
	v_lshlrev_b64 v[16:17], 2, v[4:5]
	v_add_u32_e32 v4, 0x460, v2
	global_load_dword v26, v[12:13], off
	global_load_dword v27, v[18:19], off
	;; [unrolled: 1-line block ×4, first 2 shown]
	v_add_co_u32_e32 v12, vcc, s11, v16
	v_addc_co_u32_e32 v13, vcc, v10, v17, vcc
	v_lshlrev_b64 v[14:15], 2, v[4:5]
	v_add_co_u32_e32 v14, vcc, s11, v14
	v_addc_co_u32_e32 v15, vcc, v10, v15, vcc
	global_load_dword v16, v[12:13], off
	global_load_dword v17, v[22:23], off
	;; [unrolled: 1-line block ×4, first 2 shown]
	v_add_u32_e32 v8, -8, v8
	s_add_i32 s13, s13, 16
	v_cmp_eq_u32_e32 vcc, 0, v8
	v_add_u32_e32 v12, 0x400, v9
	v_add_u32_e32 v13, 0x600, v9
	;; [unrolled: 1-line block ×7, first 2 shown]
	v_mov_b32_e32 v4, s13
	s_or_b64 s[8:9], vcc, s[8:9]
	v_add_u32_e32 v2, 0x500, v2
	s_waitcnt vmcnt(14)
	ds_write2_b32 v9, v1, v11 offset1:80
	s_waitcnt vmcnt(12)
	ds_write2_b32 v9, v32, v33 offset0:160 offset1:240
	v_add_u32_e32 v9, 0x1400, v9
	s_waitcnt vmcnt(10)
	ds_write2_b32 v12, v30, v31 offset0:64 offset1:144
	s_waitcnt vmcnt(8)
	ds_write2_b32 v13, v34, v35 offset0:96 offset1:176
	;; [unrolled: 2-line block ×6, first 2 shown]
	s_andn2_b64 exec, exec, s[8:9]
	s_cbranch_execnz .LBB13_4
; %bb.5:
	s_or_b64 exec, exec, s[8:9]
.LBB13_6:
	s_or_b64 exec, exec, s[6:7]
	v_and_b32_e32 v1, 7, v7
	v_cmp_ne_u32_e32 vcc, 0, v1
	s_and_saveexec_b64 s[6:7], vcc
	s_cbranch_execz .LBB13_9
; %bb.7:
	s_movk_i32 s8, 0x140
	v_mul_lo_u32 v4, v4, s8
	v_lshlrev_b32_e32 v5, 2, v0
	v_add3_u32 v7, v4, v5, 0
	s_mov_b64 s[8:9], 0
	v_mov_b32_e32 v8, s12
	v_mov_b32_e32 v5, 0
.LBB13_8:                               ; =>This Inner Loop Header: Depth=1
	v_mov_b32_e32 v4, v2
	v_lshlrev_b64 v[10:11], 2, v[4:5]
	v_mov_b32_e32 v4, v3
	v_add_co_u32_e32 v10, vcc, s11, v10
	v_addc_co_u32_e32 v11, vcc, v8, v11, vcc
	v_lshlrev_b64 v[12:13], 2, v[4:5]
	v_add_co_u32_e32 v12, vcc, s11, v12
	v_addc_co_u32_e32 v13, vcc, v8, v13, vcc
	global_load_dword v4, v[10:11], off
	global_load_dword v9, v[12:13], off
	v_add_u32_e32 v1, -1, v1
	v_cmp_eq_u32_e32 vcc, 0, v1
	v_add_u32_e32 v2, 0xa0, v2
	v_add_u32_e32 v3, 0xa0, v3
	s_or_b64 s[8:9], vcc, s[8:9]
	s_waitcnt vmcnt(0)
	ds_write2_b32 v7, v4, v9 offset1:80
	v_add_u32_e32 v7, 0x280, v7
	s_andn2_b64 exec, exec, s[8:9]
	s_cbranch_execnz .LBB13_8
.LBB13_9:
	s_or_b64 exec, exec, s[6:7]
	v_add_u32_e32 v1, 1, v6
	v_and_b32_e32 v4, 0x7fffffe, v1
	s_movk_i32 s6, 0x50
	v_mad_u64_u32 v[2:3], s[6:7], v4, s6, v[0:1]
	v_cmp_ne_u32_e32 vcc, v1, v4
	s_orn2_b64 s[6:7], vcc, exec
.LBB13_10:
	s_or_b64 exec, exec, s[4:5]
	s_and_b64 exec, exec, s[6:7]
	s_cbranch_execz .LBB13_13
; %bb.11:
	s_lshl_b64 s[4:5], s[0:1], 3
	v_mov_b32_e32 v3, 0
	s_add_u32 s1, s18, s4
	v_lshlrev_b64 v[4:5], 2, v[2:3]
	s_addc_u32 s4, s19, s5
	v_mov_b32_e32 v1, s4
	v_add_co_u32_e32 v4, vcc, s1, v4
	v_addc_co_u32_e32 v5, vcc, v1, v5, vcc
	v_lshl_add_u32 v1, v2, 2, 0
	s_mov_b64 s[4:5], 0
.LBB13_12:                              ; =>This Inner Loop Header: Depth=1
	global_load_dword v3, v[4:5], off
	v_add_co_u32_e32 v4, vcc, 0x140, v4
	v_add_u32_e32 v2, 0x50, v2
	v_addc_co_u32_e32 v5, vcc, 0, v5, vcc
	v_cmp_le_i32_e32 vcc, s10, v2
	s_or_b64 s[4:5], vcc, s[4:5]
	s_waitcnt vmcnt(0)
	ds_write_b32 v1, v3
	v_add_u32_e32 v1, 0x140, v1
	s_andn2_b64 exec, exec, s[4:5]
	s_cbranch_execnz .LBB13_12
.LBB13_13:
	s_or_b64 exec, exec, s[2:3]
	v_mov_b32_e32 v1, 0
	s_waitcnt lgkmcnt(0)
	s_barrier
	ds_read_b32 v1, v1
	s_cmp_lt_i32 s21, 2
	s_cbranch_scc1 .LBB13_21
; %bb.14:
	s_add_i32 s1, s21, -1
	s_add_i32 s2, s21, -2
	s_cmp_lt_u32 s2, 7
	s_cbranch_scc1 .LBB13_18
; %bb.15:
	s_mov_b32 s4, 0
	s_add_i32 s2, 0, 8
	s_and_b32 s3, s1, -8
.LBB13_16:                              ; =>This Inner Loop Header: Depth=1
	v_mov_b32_e32 v8, s2
	ds_read2_b32 v[2:3], v8 offset1:2
	ds_read2_b32 v[4:5], v8 offset0:4 offset1:6
	ds_read2_b32 v[6:7], v8 offset0:8 offset1:10
	;; [unrolled: 1-line block ×3, first 2 shown]
	s_mov_b32 s5, s4
	s_waitcnt lgkmcnt(3)
	v_max3_f32 v1, v1, v2, v3
	s_waitcnt lgkmcnt(2)
	v_max3_f32 v1, v1, v4, v5
	s_add_i32 s2, s2, 64
	s_add_i32 s4, s4, 8
	s_waitcnt lgkmcnt(1)
	v_max3_f32 v1, v1, v6, v7
	s_cmp_eq_u32 s3, s4
	s_waitcnt lgkmcnt(0)
	v_max3_f32 v1, v1, v8, v9
	s_cbranch_scc0 .LBB13_16
; %bb.17:
	s_add_i32 s2, s5, 9
	s_and_b32 s1, s1, 7
	s_cmp_eq_u32 s1, 0
	s_cbranch_scc0 .LBB13_19
	s_branch .LBB13_21
.LBB13_18:
	s_mov_b32 s2, 1
	s_and_b32 s1, s1, 7
	s_cmp_eq_u32 s1, 0
	s_cbranch_scc1 .LBB13_21
.LBB13_19:
	s_lshl_b32 s2, s2, 3
	s_add_i32 s2, s2, 0
.LBB13_20:                              ; =>This Inner Loop Header: Depth=1
	v_mov_b32_e32 v2, s2
	ds_read_b32 v2, v2
	s_waitcnt lgkmcnt(1)
	v_max_f32_e32 v1, v1, v1
	s_add_i32 s2, s2, 8
	s_add_i32 s1, s1, -1
	s_cmp_lg_u32 s1, 0
	s_waitcnt lgkmcnt(0)
	v_max_f32_e32 v2, v2, v2
	v_max_f32_e32 v1, v1, v2
	s_cbranch_scc1 .LBB13_20
.LBB13_21:
	s_cmp_lt_i32 s21, 1
	s_cbranch_scc1 .LBB13_26
; %bb.22:
	s_mul_i32 s18, s0, 0x50
	s_ashr_i32 s19, s18, 31
	s_cmp_lt_u32 s21, 8
	v_mov_b32_e32 v8, 0
	s_cbranch_scc1 .LBB13_27
; %bb.23:
	s_lshl_b64 s[0:1], s[18:19], 2
	s_add_u32 s23, s16, s0
	s_addc_u32 s0, s17, s1
	v_lshlrev_b32_e32 v2, 2, v0
	v_mov_b32_e32 v10, s0
	v_add_co_u32_e32 v2, vcc, s23, v2
	v_addc_co_u32_e32 v3, vcc, 0, v10, vcc
	v_add_co_u32_e32 v2, vcc, 0x140, v2
	s_and_b32 s22, s21, 0x7ffffff8
	v_addc_co_u32_e32 v3, vcc, 0, v3, vcc
	v_add_u32_e32 v4, 0x140, v0
	s_mov_b32 s24, 0
	v_mov_b32_e32 v7, 0
	s_mov_b32 s25, 0x3fb8aa3b
	s_mov_b32 s26, 0xc2ce8ed0
	s_mov_b32 s27, 0x42b17218
	v_mov_b32_e32 v11, 0x7f800000
	s_mov_b32 s28, 0
	v_mov_b32_e32 v9, 0
	v_mov_b32_e32 v8, 0
.LBB13_24:                              ; =>This Inner Loop Header: Depth=1
	v_add_u32_e32 v6, 0xfffffec0, v4
	global_load_dword v36, v[2:3], off
	global_load_dword v37, v[2:3], off offset:320
	v_add_co_u32_e32 v2, vcc, 0xa00, v2
	v_lshlrev_b64 v[28:29], 2, v[6:7]
	v_addc_co_u32_e32 v3, vcc, 0, v3, vcc
	v_mov_b32_e32 v5, v7
	v_add_co_u32_e32 v28, vcc, s23, v28
	v_lshlrev_b64 v[30:31], 2, v[4:5]
	v_addc_co_u32_e32 v29, vcc, v10, v29, vcc
	v_add_u32_e32 v6, 0xffffffb0, v4
	v_add_co_u32_e32 v30, vcc, s23, v30
	v_mov_b32_e32 v24, s24
	v_lshlrev_b64 v[32:33], 2, v[6:7]
	v_addc_co_u32_e32 v31, vcc, v10, v31, vcc
	ds_read2_b64 v[12:15], v24 offset1:1
	ds_read2_b64 v[16:19], v24 offset0:2 offset1:3
	ds_read2_b64 v[20:23], v24 offset0:4 offset1:5
	;; [unrolled: 1-line block ×3, first 2 shown]
	v_add_u32_e32 v6, 0x50, v4
	global_load_dword v5, v[28:29], off
	v_add_co_u32_e32 v28, vcc, s23, v32
	v_addc_co_u32_e32 v29, vcc, v10, v33, vcc
	v_lshlrev_b64 v[32:33], 2, v[6:7]
	v_add_u32_e32 v6, 0xa0, v4
	v_add_co_u32_e32 v32, vcc, s23, v32
	v_addc_co_u32_e32 v33, vcc, v10, v33, vcc
	v_lshlrev_b64 v[34:35], 2, v[6:7]
	v_add_u32_e32 v6, 0xf0, v4
	global_load_dword v38, v[28:29], off
	global_load_dword v39, v[30:31], off
	;; [unrolled: 1-line block ×3, first 2 shown]
	v_add_co_u32_e32 v28, vcc, s23, v34
	v_addc_co_u32_e32 v29, vcc, v10, v35, vcc
	v_lshlrev_b64 v[30:31], 2, v[6:7]
	v_add_co_u32_e32 v30, vcc, s23, v30
	s_waitcnt lgkmcnt(3)
	v_sub_f32_e32 v6, v12, v1
	v_sub_f32_e32 v12, v14, v1
	s_waitcnt lgkmcnt(2)
	v_sub_f32_e32 v14, v16, v1
	v_sub_f32_e32 v16, v18, v1
	;; [unrolled: 3-line block ×4, first 2 shown]
	v_addc_co_u32_e32 v31, vcc, v10, v31, vcc
	global_load_dword v26, v[28:29], off
	v_mul_f32_e32 v32, 0x3fb8aa3b, v14
	global_load_dword v30, v[30:31], off
	v_mul_f32_e32 v28, 0x3fb8aa3b, v6
	v_fma_f32 v31, v6, s25, -v28
	v_rndne_f32_e32 v43, v28
	v_mul_f32_e32 v29, 0x3fb8aa3b, v12
	v_mul_f32_e32 v33, 0x3fb8aa3b, v16
	;; [unrolled: 1-line block ×3, first 2 shown]
	v_fmac_f32_e32 v31, 0x32a5705f, v6
	v_sub_f32_e32 v28, v28, v43
	v_fma_f32 v44, v12, s25, -v29
	v_rndne_f32_e32 v45, v29
	v_fma_f32 v46, v14, s25, -v32
	v_rndne_f32_e32 v47, v32
	;; [unrolled: 2-line block ×3, first 2 shown]
	v_fma_f32 v50, v18, s25, -v34
	v_add_f32_e32 v28, v28, v31
	v_rndne_f32_e32 v31, v34
	v_mul_f32_e32 v35, 0x3fb8aa3b, v20
	v_mul_f32_e32 v41, 0x3fb8aa3b, v22
	v_fmac_f32_e32 v44, 0x32a5705f, v12
	v_sub_f32_e32 v29, v29, v45
	v_fmac_f32_e32 v46, 0x32a5705f, v14
	v_sub_f32_e32 v32, v32, v47
	;; [unrolled: 2-line block ×4, first 2 shown]
	v_add_f32_e32 v29, v29, v44
	v_fma_f32 v44, v20, s25, -v35
	v_add_f32_e32 v32, v32, v46
	v_rndne_f32_e32 v46, v35
	v_add_f32_e32 v33, v33, v48
	v_fma_f32 v48, v22, s25, -v41
	v_add_f32_e32 v34, v34, v50
	v_rndne_f32_e32 v50, v41
	v_mul_f32_e32 v42, 0x3fb8aa3b, v24
	v_fmac_f32_e32 v44, 0x32a5705f, v20
	v_sub_f32_e32 v35, v35, v46
	v_fmac_f32_e32 v48, 0x32a5705f, v22
	v_sub_f32_e32 v41, v41, v50
	v_add_f32_e32 v35, v35, v44
	v_fma_f32 v44, v24, s25, -v42
	v_add_f32_e32 v41, v41, v48
	v_rndne_f32_e32 v48, v42
	v_cvt_i32_f32_e32 v43, v43
	v_fmac_f32_e32 v44, 0x32a5705f, v24
	v_sub_f32_e32 v42, v42, v48
	v_exp_f32_e32 v28, v28
	v_cvt_i32_f32_e32 v45, v45
	v_add_f32_e32 v42, v42, v44
	v_exp_f32_e32 v29, v29
	v_cvt_i32_f32_e32 v47, v47
	v_cvt_i32_f32_e32 v49, v49
	;; [unrolled: 1-line block ×6, first 2 shown]
	v_exp_f32_e32 v32, v32
	v_exp_f32_e32 v33, v33
	;; [unrolled: 1-line block ×6, first 2 shown]
	v_ldexp_f32 v28, v28, v43
	v_cmp_ngt_f32_e64 s[12:13], s26, v6
	v_ldexp_f32 v29, v29, v45
	v_cmp_ngt_f32_e32 vcc, s26, v12
	v_cndmask_b32_e64 v28, 0, v28, s[12:13]
	v_cmp_nlt_f32_e64 s[12:13], s27, v6
	v_ldexp_f32 v32, v32, v47
	v_cmp_ngt_f32_e64 s[0:1], s26, v14
	v_ldexp_f32 v33, v33, v49
	v_cmp_ngt_f32_e64 s[2:3], s26, v16
	v_ldexp_f32 v31, v34, v31
	v_cmp_ngt_f32_e64 s[4:5], s26, v18
	v_ldexp_f32 v34, v35, v46
	v_cmp_ngt_f32_e64 s[6:7], s26, v20
	v_ldexp_f32 v35, v41, v50
	v_cmp_ngt_f32_e64 s[8:9], s26, v22
	v_ldexp_f32 v41, v42, v48
	v_cmp_ngt_f32_e64 s[10:11], s26, v24
	v_cndmask_b32_e32 v29, 0, v29, vcc
	v_cmp_nlt_f32_e32 vcc, s27, v12
	v_cndmask_b32_e64 v6, v11, v28, s[12:13]
	v_cndmask_b32_e64 v12, 0, v32, s[0:1]
	v_cmp_nlt_f32_e64 s[0:1], s27, v14
	v_cndmask_b32_e64 v14, 0, v33, s[2:3]
	v_cmp_nlt_f32_e64 s[2:3], s27, v16
	;; [unrolled: 2-line block ×6, first 2 shown]
	v_cndmask_b32_e32 v24, v11, v29, vcc
	v_fmac_f32_e32 v9, v6, v13
	s_waitcnt vmcnt(5)
	v_fmac_f32_e32 v8, v5, v6
	v_cndmask_b32_e64 v12, v11, v12, s[0:1]
	v_fmac_f32_e32 v9, v24, v15
	v_fmac_f32_e32 v8, v36, v24
	v_cndmask_b32_e64 v14, v11, v14, s[2:3]
	v_fmac_f32_e32 v9, v12, v17
	;; [unrolled: 3-line block ×3, first 2 shown]
	s_waitcnt vmcnt(4)
	v_fmac_f32_e32 v8, v38, v14
	v_cndmask_b32_e64 v18, v11, v18, s[6:7]
	v_fmac_f32_e32 v9, v16, v21
	s_waitcnt vmcnt(3)
	v_fmac_f32_e32 v8, v39, v16
	v_cndmask_b32_e64 v20, v11, v20, s[8:9]
	v_fmac_f32_e32 v9, v18, v23
	s_waitcnt vmcnt(2)
	v_fmac_f32_e32 v8, v40, v18
	s_add_i32 s28, s28, 8
	s_add_i32 s24, s24, 64
	v_cndmask_b32_e64 v22, v11, v22, s[10:11]
	v_fmac_f32_e32 v9, v20, v25
	s_waitcnt vmcnt(1)
	v_fmac_f32_e32 v8, v26, v20
	s_cmp_eq_u32 s22, s28
	v_add_u32_e32 v4, 0x280, v4
	v_fmac_f32_e32 v9, v22, v27
	s_waitcnt vmcnt(0)
	v_fmac_f32_e32 v8, v30, v22
	s_cbranch_scc0 .LBB13_24
; %bb.25:
	s_and_b32 s0, s21, 7
	s_cmp_eq_u32 s0, 0
	s_cbranch_scc0 .LBB13_28
	s_branch .LBB13_30
.LBB13_26:
	s_waitcnt lgkmcnt(0)
	v_mov_b32_e32 v1, 0x7fc00000
	s_branch .LBB13_31
.LBB13_27:
	s_mov_b32 s22, 0
	v_mov_b32_e32 v9, 0
	s_and_b32 s0, s21, 7
	s_cmp_eq_u32 s0, 0
	s_cbranch_scc1 .LBB13_30
.LBB13_28:
	s_lshl_b64 s[2:3], s[18:19], 2
	s_mul_i32 s1, s22, 0x50
	v_add_u32_e32 v2, s1, v0
	v_mov_b32_e32 v3, 0
	s_add_u32 s1, s16, s2
	v_lshlrev_b64 v[2:3], 2, v[2:3]
	s_addc_u32 s2, s17, s3
	v_mov_b32_e32 v4, s2
	v_add_co_u32_e32 v2, vcc, s1, v2
	s_lshl_b32 s1, s22, 3
	v_addc_co_u32_e32 v3, vcc, v4, v3, vcc
	s_add_i32 s1, s1, 0
	s_mov_b32 s2, 0x3fb8aa3b
	s_mov_b32 s3, 0xc2ce8ed0
	;; [unrolled: 1-line block ×3, first 2 shown]
	v_mov_b32_e32 v4, 0x7f800000
.LBB13_29:                              ; =>This Inner Loop Header: Depth=1
	global_load_dword v5, v[2:3], off
	v_mov_b32_e32 v6, s1
	ds_read_b64 v[6:7], v6
	v_add_co_u32_e32 v2, vcc, 0x140, v2
	v_addc_co_u32_e32 v3, vcc, 0, v3, vcc
	s_waitcnt lgkmcnt(0)
	v_sub_f32_e32 v6, v6, v1
	v_mul_f32_e32 v10, 0x3fb8aa3b, v6
	v_fma_f32 v11, v6, s2, -v10
	v_rndne_f32_e32 v12, v10
	v_fmac_f32_e32 v11, 0x32a5705f, v6
	v_sub_f32_e32 v10, v10, v12
	v_add_f32_e32 v10, v10, v11
	v_cvt_i32_f32_e32 v12, v12
	v_exp_f32_e32 v10, v10
	v_cmp_ngt_f32_e32 vcc, s3, v6
	s_add_i32 s1, s1, 8
	s_add_i32 s0, s0, -1
	v_ldexp_f32 v10, v10, v12
	v_cndmask_b32_e32 v10, 0, v10, vcc
	v_cmp_nlt_f32_e32 vcc, s4, v6
	v_cndmask_b32_e32 v6, v4, v10, vcc
	s_cmp_lg_u32 s0, 0
	v_fmac_f32_e32 v9, v6, v7
	s_waitcnt vmcnt(0)
	v_fmac_f32_e32 v8, v5, v6
	s_cbranch_scc1 .LBB13_29
.LBB13_30:
	s_waitcnt lgkmcnt(0)
	v_div_scale_f32 v1, s[0:1], v9, v9, v8
	v_rcp_f32_e32 v2, v1
	v_div_scale_f32 v3, vcc, v8, v9, v8
	v_fma_f32 v4, -v1, v2, 1.0
	v_fmac_f32_e32 v2, v4, v2
	v_mul_f32_e32 v4, v3, v2
	v_fma_f32 v5, -v1, v4, v3
	v_fmac_f32_e32 v4, v5, v2
	v_fma_f32 v1, -v1, v4, v3
	v_div_fmas_f32 v1, v1, v2, v4
	v_div_fixup_f32 v1, v1, v9, v8
.LBB13_31:
	s_mul_i32 s0, s20, 0x50
	s_ashr_i32 s1, s0, 31
	s_lshl_b64 s[0:1], s[0:1], 2
	s_add_u32 s0, s14, s0
	s_addc_u32 s1, s15, s1
	v_lshlrev_b32_e32 v0, 2, v0
	global_store_dword v0, v1, s[0:1]
	s_endpgm
	.section	.rodata,"a",@progbits
	.p2align	6, 0x0
	.amdhsa_kernel _ZL26flash_attn_combine_resultsILi80EEvPKfPK15HIP_vector_typeIfLj2EEPfi
		.amdhsa_group_segment_fixed_size 0
		.amdhsa_private_segment_fixed_size 0
		.amdhsa_kernarg_size 288
		.amdhsa_user_sgpr_count 6
		.amdhsa_user_sgpr_private_segment_buffer 1
		.amdhsa_user_sgpr_dispatch_ptr 0
		.amdhsa_user_sgpr_queue_ptr 0
		.amdhsa_user_sgpr_kernarg_segment_ptr 1
		.amdhsa_user_sgpr_dispatch_id 0
		.amdhsa_user_sgpr_flat_scratch_init 0
		.amdhsa_user_sgpr_kernarg_preload_length 0
		.amdhsa_user_sgpr_kernarg_preload_offset 0
		.amdhsa_user_sgpr_private_segment_size 0
		.amdhsa_uses_dynamic_stack 0
		.amdhsa_system_sgpr_private_segment_wavefront_offset 0
		.amdhsa_system_sgpr_workgroup_id_x 1
		.amdhsa_system_sgpr_workgroup_id_y 1
		.amdhsa_system_sgpr_workgroup_id_z 1
		.amdhsa_system_sgpr_workgroup_info 0
		.amdhsa_system_vgpr_workitem_id 0
		.amdhsa_next_free_vgpr 51
		.amdhsa_next_free_sgpr 29
		.amdhsa_accum_offset 52
		.amdhsa_reserve_vcc 1
		.amdhsa_reserve_flat_scratch 0
		.amdhsa_float_round_mode_32 0
		.amdhsa_float_round_mode_16_64 0
		.amdhsa_float_denorm_mode_32 3
		.amdhsa_float_denorm_mode_16_64 3
		.amdhsa_dx10_clamp 1
		.amdhsa_ieee_mode 1
		.amdhsa_fp16_overflow 0
		.amdhsa_tg_split 0
		.amdhsa_exception_fp_ieee_invalid_op 0
		.amdhsa_exception_fp_denorm_src 0
		.amdhsa_exception_fp_ieee_div_zero 0
		.amdhsa_exception_fp_ieee_overflow 0
		.amdhsa_exception_fp_ieee_underflow 0
		.amdhsa_exception_fp_ieee_inexact 0
		.amdhsa_exception_int_div_zero 0
	.end_amdhsa_kernel
	.section	.text._ZL26flash_attn_combine_resultsILi80EEvPKfPK15HIP_vector_typeIfLj2EEPfi,"axG",@progbits,_ZL26flash_attn_combine_resultsILi80EEvPKfPK15HIP_vector_typeIfLj2EEPfi,comdat
.Lfunc_end13:
	.size	_ZL26flash_attn_combine_resultsILi80EEvPKfPK15HIP_vector_typeIfLj2EEPfi, .Lfunc_end13-_ZL26flash_attn_combine_resultsILi80EEvPKfPK15HIP_vector_typeIfLj2EEPfi
                                        ; -- End function
	.section	.AMDGPU.csdata,"",@progbits
; Kernel info:
; codeLenInByte = 3136
; NumSgprs: 33
; NumVgprs: 51
; NumAgprs: 0
; TotalNumVgprs: 51
; ScratchSize: 0
; MemoryBound: 0
; FloatMode: 240
; IeeeMode: 1
; LDSByteSize: 0 bytes/workgroup (compile time only)
; SGPRBlocks: 4
; VGPRBlocks: 6
; NumSGPRsForWavesPerEU: 33
; NumVGPRsForWavesPerEU: 51
; AccumOffset: 52
; Occupancy: 8
; WaveLimiterHint : 1
; COMPUTE_PGM_RSRC2:SCRATCH_EN: 0
; COMPUTE_PGM_RSRC2:USER_SGPR: 6
; COMPUTE_PGM_RSRC2:TRAP_HANDLER: 0
; COMPUTE_PGM_RSRC2:TGID_X_EN: 1
; COMPUTE_PGM_RSRC2:TGID_Y_EN: 1
; COMPUTE_PGM_RSRC2:TGID_Z_EN: 1
; COMPUTE_PGM_RSRC2:TIDIG_COMP_CNT: 0
; COMPUTE_PGM_RSRC3_GFX90A:ACCUM_OFFSET: 12
; COMPUTE_PGM_RSRC3_GFX90A:TG_SPLIT: 0
	.section	.text._ZL18flash_attn_ext_f16ILi96ELi96ELi32ELi1ELb0ELb0EEvPKcS1_S1_S1_S1_PKiPfP15HIP_vector_typeIfLj2EEffffjfiS5_IjLj3EEiiiiiiiiiiiliiliiiiil,"axG",@progbits,_ZL18flash_attn_ext_f16ILi96ELi96ELi32ELi1ELb0ELb0EEvPKcS1_S1_S1_S1_PKiPfP15HIP_vector_typeIfLj2EEffffjfiS5_IjLj3EEiiiiiiiiiiiliiliiiiil,comdat
	.globl	_ZL18flash_attn_ext_f16ILi96ELi96ELi32ELi1ELb0ELb0EEvPKcS1_S1_S1_S1_PKiPfP15HIP_vector_typeIfLj2EEffffjfiS5_IjLj3EEiiiiiiiiiiiliiliiiiil ; -- Begin function _ZL18flash_attn_ext_f16ILi96ELi96ELi32ELi1ELb0ELb0EEvPKcS1_S1_S1_S1_PKiPfP15HIP_vector_typeIfLj2EEffffjfiS5_IjLj3EEiiiiiiiiiiiliiliiiiil
	.p2align	8
	.type	_ZL18flash_attn_ext_f16ILi96ELi96ELi32ELi1ELb0ELb0EEvPKcS1_S1_S1_S1_PKiPfP15HIP_vector_typeIfLj2EEffffjfiS5_IjLj3EEiiiiiiiiiiiliiliiiiil,@function
_ZL18flash_attn_ext_f16ILi96ELi96ELi32ELi1ELb0ELb0EEvPKcS1_S1_S1_S1_PKiPfP15HIP_vector_typeIfLj2EEffffjfiS5_IjLj3EEiiiiiiiiiiiliiliiiiil: ; @_ZL18flash_attn_ext_f16ILi96ELi96ELi32ELi1ELb0ELb0EEvPKcS1_S1_S1_S1_PKiPfP15HIP_vector_typeIfLj2EEffffjfiS5_IjLj3EEiiiiiiiiiiiliiliiiiil
; %bb.0:
	s_load_dwordx2 s[14:15], s[4:5], 0x80
	s_load_dwordx4 s[76:79], s[4:5], 0x64
	s_add_u32 flat_scratch_lo, s6, s9
	s_addc_u32 flat_scratch_hi, s7, 0
	s_add_u32 s0, s0, s9
	s_addc_u32 s1, s1, 0
	s_waitcnt lgkmcnt(0)
	s_abs_i32 s6, s15
	v_cvt_f32_u32_e32 v1, s6
	s_sub_i32 s10, 0, s6
	s_abs_i32 s9, s77
	s_xor_b32 s7, s77, s15
	v_rcp_iflag_f32_e32 v1, v1
	s_ashr_i32 s7, s7, 31
                                        ; implicit-def: $vgpr231 : SGPR spill to VGPR lane
	s_load_dword s59, s[4:5], 0xd0
	s_mov_b32 s58, s8
	v_mul_f32_e32 v1, 0x4f7ffffe, v1
	v_cvt_u32_f32_e32 v1, v1
	s_mov_b32 s8, 0
	s_waitcnt lgkmcnt(0)
	v_cvt_f32_u32_e32 v2, s59
	v_cvt_f32_ubyte0_e32 v3, 0
	v_readfirstlane_b32 s11, v1
	s_mul_i32 s10, s10, s11
	s_mul_hi_u32 s10, s11, s10
	s_add_i32 s11, s11, s10
	s_mul_hi_u32 s10, s9, s11
	s_mul_i32 s11, s10, s6
	s_sub_i32 s9, s9, s11
	s_add_i32 s12, s10, 1
	s_sub_i32 s11, s9, s6
	s_cmp_ge_u32 s9, s6
	s_cselect_b32 s10, s12, s10
	s_cselect_b32 s9, s11, s9
	s_add_i32 s11, s10, 1
	s_cmp_ge_u32 s9, s6
	s_cselect_b32 s6, s11, s10
	s_add_i32 s9, s14, 63
	s_xor_b32 s6, s6, s7
	s_ashr_i32 s10, s9, 31
	s_sub_i32 s7, s6, s7
	s_lshr_b32 s6, s10, 26
	s_add_i32 s9, s9, s6
	s_add_i32 s6, s76, 31
	s_lshr_b32 s6, s6, 5
	s_ashr_i32 s9, s9, 6
	v_writelane_b32 v231, s6, 0
	v_writelane_b32 v231, s9, 1
	s_mul_i32 s6, s6, s9
	v_writelane_b32 v231, s7, 2
	v_writelane_b32 v231, s6, 3
	s_mul_i32 s7, s6, s7
	s_mov_b32 s6, s14
	v_writelane_b32 v231, s6, 4
	v_writelane_b32 v231, s7, 5
	s_mul_i32 s6, s7, s15
	s_mul_i32 s12, s6, s78
	v_writelane_b32 v231, s7, 6
	s_ashr_i32 s10, s12, 31
	v_writelane_b32 v231, s6, 7
	s_mul_i32 s6, s10, s58
	s_mul_hi_u32 s7, s12, s58
	s_add_i32 s9, s7, s6
	s_mul_i32 s11, s12, s58
	s_cmp_lg_u64 s[8:9], 0
	s_cbranch_scc0 .LBB14_2
; %bb.1:
	v_madmk_f32 v1, v3, 0x4f800000, v2
	v_rcp_f32_e32 v1, v1
	s_sub_u32 s8, 0, s59
	s_subb_u32 s13, 0, 0
	s_mov_b64 s[6:7], 0
	v_mul_f32_e32 v1, 0x5f7ffffc, v1
	v_mul_f32_e32 v4, 0x2f800000, v1
	v_trunc_f32_e32 v4, v4
	v_madmk_f32 v1, v4, 0xcf800000, v1
	v_cvt_u32_f32_e32 v4, v4
	v_cvt_u32_f32_e32 v1, v1
	v_readfirstlane_b32 s14, v4
	v_readfirstlane_b32 s15, v1
	s_mul_hi_u32 s17, s8, s15
	s_mul_i32 s18, s8, s14
	s_mul_i32 s16, s13, s15
	s_add_i32 s17, s17, s18
	s_add_i32 s17, s17, s16
	s_mul_i32 s19, s8, s15
	s_mul_hi_u32 s16, s15, s17
	s_mul_i32 s18, s15, s17
	s_mul_hi_u32 s15, s15, s19
	s_add_u32 s15, s15, s18
	s_addc_u32 s16, 0, s16
	s_mul_hi_u32 s20, s14, s19
	s_mul_i32 s19, s14, s19
	s_add_u32 s15, s15, s19
	s_mul_hi_u32 s18, s14, s17
	s_addc_u32 s15, s16, s20
	s_addc_u32 s16, s18, 0
	s_mul_i32 s17, s14, s17
	s_add_u32 s15, s15, s17
	s_addc_u32 s16, 0, s16
	v_add_co_u32_e32 v1, vcc, s15, v1
	s_cmp_lg_u64 vcc, 0
	s_addc_u32 s14, s14, s16
	v_readfirstlane_b32 s16, v1
	s_mul_i32 s15, s8, s14
	s_mul_hi_u32 s17, s8, s16
	s_add_i32 s15, s17, s15
	s_mul_i32 s13, s13, s16
	s_add_i32 s15, s15, s13
	s_mul_i32 s8, s8, s16
	s_mul_hi_u32 s17, s14, s8
	s_mul_i32 s18, s14, s8
	s_mul_i32 s20, s16, s15
	s_mul_hi_u32 s8, s16, s8
	s_mul_hi_u32 s19, s16, s15
	s_add_u32 s8, s8, s20
	s_addc_u32 s16, 0, s19
	s_add_u32 s8, s8, s18
	s_mul_hi_u32 s13, s14, s15
	s_addc_u32 s8, s16, s17
	s_addc_u32 s13, s13, 0
	s_mul_i32 s15, s14, s15
	s_add_u32 s8, s8, s15
	s_addc_u32 s13, 0, s13
	v_add_co_u32_e32 v1, vcc, s8, v1
	s_cmp_lg_u64 vcc, 0
	s_addc_u32 s13, s14, s13
	s_ashr_i32 s14, s9, 31
	s_add_u32 s8, s11, s14
	s_mov_b32 s15, s14
	s_addc_u32 s9, s9, s14
	s_xor_b64 s[8:9], s[8:9], s[14:15]
	v_readfirstlane_b32 s18, v1
	s_mul_i32 s17, s8, s13
	s_mul_hi_u32 s19, s8, s18
	s_mul_hi_u32 s16, s8, s13
	s_add_u32 s17, s19, s17
	s_addc_u32 s16, 0, s16
	s_mul_hi_u32 s20, s9, s18
	s_mul_i32 s18, s9, s18
	s_add_u32 s17, s17, s18
	s_mul_hi_u32 s19, s9, s13
	s_addc_u32 s16, s16, s20
	s_addc_u32 s17, s19, 0
	s_mul_i32 s13, s9, s13
	s_add_u32 s13, s16, s13
	s_addc_u32 s16, 0, s17
	s_add_u32 s17, s13, 1
	s_addc_u32 s18, s16, 0
	s_add_u32 s19, s13, 2
	s_mul_i32 s21, s59, s16
	s_mul_hi_u32 s22, s59, s13
	s_addc_u32 s20, s16, 0
	s_add_i32 s22, s22, s21
	s_mul_i32 s21, s59, s13
	v_mov_b32_e32 v1, s21
	v_sub_co_u32_e32 v1, vcc, s8, v1
	s_cmp_lg_u64 vcc, 0
	s_subb_u32 s8, s9, s22
	v_subrev_co_u32_e32 v4, vcc, s59, v1
	s_cmp_lg_u64 vcc, 0
	s_subb_u32 s9, s8, 0
	v_readfirstlane_b32 s21, v4
	s_cmp_ge_u32 s21, s59
	s_cselect_b32 s21, -1, 0
	s_cmp_eq_u32 s9, 0
	s_cselect_b32 s9, s21, -1
	s_cmp_lg_u32 s9, 0
	s_cselect_b32 s9, s20, s18
	v_readfirstlane_b32 s18, v1
	s_cselect_b32 s17, s19, s17
	s_cmp_ge_u32 s18, s59
	s_cselect_b32 s18, -1, 0
	s_cmp_eq_u32 s8, 0
	s_cselect_b32 s8, s18, -1
	s_cmp_lg_u32 s8, 0
	s_cselect_b32 s9, s9, s16
	s_cselect_b32 s8, s17, s13
	s_xor_b64 s[8:9], s[8:9], s[14:15]
	s_sub_u32 s8, s8, s14
	s_branch .LBB14_3
.LBB14_2:
	s_mov_b64 s[6:7], -1
                                        ; implicit-def: $sgpr8_sgpr9
.LBB14_3:
	s_load_dwordx2 s[14:15], s[4:5], 0x74
	v_cvt_f32_u32_e32 v1, s59
	s_andn2_b64 vcc, exec, s[6:7]
	s_waitcnt lgkmcnt(0)
	v_writelane_b32 v231, s14, 8
	v_writelane_b32 v231, s15, 9
	s_cbranch_vccnz .LBB14_5
; %bb.4:
	v_rcp_iflag_f32_e32 v4, v1
	s_sub_i32 s6, 0, s59
	v_mul_f32_e32 v4, 0x4f7ffffe, v4
	v_cvt_u32_f32_e32 v4, v4
	v_readfirstlane_b32 s7, v4
	s_mul_i32 s6, s6, s7
	s_mul_hi_u32 s6, s7, s6
	s_add_i32 s7, s7, s6
	s_mul_hi_u32 s6, s11, s7
	s_mul_i32 s8, s6, s59
	s_sub_i32 s8, s11, s8
	s_add_i32 s7, s6, 1
	s_sub_i32 s9, s8, s59
	s_cmp_ge_u32 s8, s59
	s_cselect_b32 s6, s7, s6
	s_cselect_b32 s8, s9, s8
	s_add_i32 s7, s6, 1
	s_cmp_ge_u32 s8, s59
	s_cselect_b32 s8, s7, s6
.LBB14_5:
	s_add_i32 s6, s58, 1
	s_mul_i32 s7, s10, s6
	s_mul_hi_u32 s9, s12, s6
	s_add_i32 s11, s9, s7
	s_mov_b32 s10, 0
	s_cmp_lg_u64 s[10:11], 0
	s_mul_i32 s9, s12, s6
	s_cbranch_scc0 .LBB14_296
; %bb.6:
	v_madmk_f32 v2, v3, 0x4f800000, v2
	v_rcp_f32_e32 v2, v2
	s_sub_u32 s10, 0, s59
	s_subb_u32 s12, 0, 0
	v_mul_f32_e32 v2, 0x5f7ffffc, v2
	v_mul_f32_e32 v3, 0x2f800000, v2
	v_trunc_f32_e32 v3, v3
	v_madmk_f32 v2, v3, 0xcf800000, v2
	v_cvt_u32_f32_e32 v3, v3
	v_cvt_u32_f32_e32 v2, v2
	v_readfirstlane_b32 s13, v3
	v_readfirstlane_b32 s14, v2
	s_mul_hi_u32 s16, s10, s14
	s_mul_i32 s17, s10, s13
	s_mul_i32 s15, s12, s14
	s_add_i32 s16, s16, s17
	s_add_i32 s16, s16, s15
	s_mul_i32 s18, s10, s14
	s_mul_hi_u32 s15, s14, s16
	s_mul_i32 s17, s14, s16
	s_mul_hi_u32 s14, s14, s18
	s_add_u32 s14, s14, s17
	s_addc_u32 s15, 0, s15
	s_mul_hi_u32 s19, s13, s18
	s_mul_i32 s18, s13, s18
	s_add_u32 s14, s14, s18
	s_mul_hi_u32 s17, s13, s16
	s_addc_u32 s14, s15, s19
	s_addc_u32 s15, s17, 0
	s_mul_i32 s16, s13, s16
	s_add_u32 s14, s14, s16
	s_addc_u32 s15, 0, s15
	v_add_co_u32_e32 v2, vcc, s14, v2
	s_cmp_lg_u64 vcc, 0
	s_addc_u32 s13, s13, s15
	v_readfirstlane_b32 s15, v2
	s_mul_i32 s14, s10, s13
	s_mul_hi_u32 s16, s10, s15
	s_add_i32 s14, s16, s14
	s_mul_i32 s12, s12, s15
	s_add_i32 s14, s14, s12
	s_mul_i32 s10, s10, s15
	s_mul_hi_u32 s16, s13, s10
	s_mul_i32 s17, s13, s10
	s_mul_i32 s19, s15, s14
	s_mul_hi_u32 s10, s15, s10
	s_mul_hi_u32 s18, s15, s14
	s_add_u32 s10, s10, s19
	s_addc_u32 s15, 0, s18
	s_add_u32 s10, s10, s17
	s_mul_hi_u32 s12, s13, s14
	s_addc_u32 s10, s15, s16
	s_addc_u32 s12, s12, 0
	s_mul_i32 s14, s13, s14
	s_add_u32 s10, s10, s14
	s_addc_u32 s12, 0, s12
	v_add_co_u32_e32 v2, vcc, s10, v2
	s_cmp_lg_u64 vcc, 0
	s_addc_u32 s14, s13, s12
	s_ashr_i32 s12, s11, 31
	s_add_u32 s10, s9, s12
	s_mov_b32 s13, s12
	s_addc_u32 s11, s11, s12
	s_xor_b64 s[10:11], s[10:11], s[12:13]
	v_readfirstlane_b32 s17, v2
	s_mul_i32 s16, s10, s14
	s_mul_hi_u32 s18, s10, s17
	s_mul_hi_u32 s15, s10, s14
	s_add_u32 s16, s18, s16
	s_addc_u32 s15, 0, s15
	s_mul_hi_u32 s19, s11, s17
	s_mul_i32 s17, s11, s17
	s_add_u32 s16, s16, s17
	s_mul_hi_u32 s18, s11, s14
	s_addc_u32 s15, s15, s19
	s_addc_u32 s16, s18, 0
	s_mul_i32 s14, s11, s14
	s_add_u32 s14, s15, s14
	s_addc_u32 s15, 0, s16
	s_add_u32 s16, s14, 1
	s_addc_u32 s17, s15, 0
	s_add_u32 s18, s14, 2
	s_mul_i32 s20, s59, s15
	s_mul_hi_u32 s21, s59, s14
	s_addc_u32 s19, s15, 0
	s_add_i32 s21, s21, s20
	s_mul_i32 s20, s59, s14
	v_mov_b32_e32 v2, s20
	v_sub_co_u32_e32 v2, vcc, s10, v2
	s_cmp_lg_u64 vcc, 0
	s_subb_u32 s10, s11, s21
	v_subrev_co_u32_e32 v3, vcc, s59, v2
	s_cmp_lg_u64 vcc, 0
	s_subb_u32 s11, s10, 0
	v_readfirstlane_b32 s20, v3
	s_cmp_ge_u32 s20, s59
	s_cselect_b32 s20, -1, 0
	s_cmp_eq_u32 s11, 0
	s_cselect_b32 s11, s20, -1
	s_cmp_lg_u32 s11, 0
	s_cselect_b32 s11, s19, s17
	v_readfirstlane_b32 s17, v2
	s_cselect_b32 s16, s18, s16
	s_cmp_ge_u32 s17, s59
	s_cselect_b32 s17, -1, 0
	s_cmp_eq_u32 s10, 0
	s_cselect_b32 s10, s17, -1
	s_cmp_lg_u32 s10, 0
	s_cselect_b32 s11, s11, s15
	s_cselect_b32 s10, s16, s14
	s_xor_b64 s[10:11], s[10:11], s[12:13]
	s_sub_u32 s10, s10, s12
	v_writelane_b32 v231, s10, 10
	v_writelane_b32 v231, s11, 11
	s_load_dwordx2 s[92:93], s[4:5], 0x5c
	s_cbranch_execnz .LBB14_8
.LBB14_7:
	v_rcp_iflag_f32_e32 v1, v1
	s_sub_i32 s6, 0, s59
	v_mul_f32_e32 v1, 0x4f7ffffe, v1
	v_cvt_u32_f32_e32 v1, v1
	v_readfirstlane_b32 s7, v1
	s_mul_i32 s6, s6, s7
	s_mul_hi_u32 s6, s7, s6
	s_add_i32 s7, s7, s6
	s_mul_hi_u32 s6, s9, s7
	s_mul_i32 s10, s6, s59
	s_sub_i32 s9, s9, s10
	s_add_i32 s7, s6, 1
	s_sub_i32 s10, s9, s59
	s_cmp_ge_u32 s9, s59
	s_cselect_b32 s6, s7, s6
	s_cselect_b32 s9, s10, s9
	s_add_i32 s7, s6, 1
	s_cmp_ge_u32 s9, s59
	s_cselect_b32 s6, s7, s6
	v_writelane_b32 v231, s6, 10
	v_writelane_b32 v231, s7, 11
.LBB14_8:
	s_load_dwordx16 s[60:75], s[4:5], 0x0
	s_load_dwordx4 s[24:27], s[4:5], 0x40
	s_load_dword s6, s[4:5], 0x50
	s_ashr_i32 s50, s79, 3
	v_bfe_u32 v85, v0, 10, 10
	s_mov_b32 s89, 0
	v_lshlrev_b32_e32 v84, 1, v85
	s_waitcnt lgkmcnt(0)
	v_writelane_b32 v231, s6, 12
	s_load_dwordx2 s[6:7], s[4:5], 0x8c
	s_load_dwordx4 s[12:15], s[4:5], 0x98
	s_load_dwordx2 s[10:11], s[4:5], 0xa8
	s_load_dwordx2 s[16:17], s[4:5], 0xb8
	s_nop 0
	s_load_dwordx2 s[4:5], s[4:5], 0xc8
	v_lshlrev_b32_e32 v87, 3, v85
	s_waitcnt lgkmcnt(0)
	s_ashr_i32 s90, s6, 2
	s_ashr_i32 s78, s14, 2
	v_writelane_b32 v231, s10, 13
	v_writelane_b32 v231, s11, 14
	;; [unrolled: 1-line block ×4, first 2 shown]
	v_readlane_b32 s10, v231, 1
	s_abs_i32 s33, s10
	v_cvt_f32_u32_e32 v1, s33
	s_mov_b32 s5, s7
	v_writelane_b32 v231, s4, 17
	v_writelane_b32 v231, s5, 18
	v_rcp_iflag_f32_e32 v1, v1
	s_mov_b64 s[4:5], s[12:13]
	s_mov_b32 s7, s15
	v_writelane_b32 v231, s4, 19
	v_mul_f32_e32 v1, 0x4f7ffffe, v1
	v_cvt_u32_f32_e32 v1, v1
	v_writelane_b32 v231, s5, 20
	v_writelane_b32 v231, s6, 21
	;; [unrolled: 1-line block ×3, first 2 shown]
	s_sub_i32 s6, 0, s33
	v_readfirstlane_b32 s7, v1
	s_mul_i32 s6, s6, s7
	s_ashr_i32 s5, s10, 31
	s_mul_hi_u32 s6, s7, s6
	v_writelane_b32 v231, s5, 23
	s_abs_i32 s5, s8
	s_add_i32 s45, s7, s6
	s_mul_hi_u32 s6, s5, s45
	s_mul_i32 s6, s6, s33
	s_sub_i32 s5, s5, s6
	s_ashr_i32 s84, s17, 1
	s_ashr_i32 s4, s8, 31
	s_sub_i32 s6, s5, s33
	s_cmp_ge_u32 s5, s33
	s_cselect_b32 s5, s6, s5
	s_sub_i32 s6, s5, s33
	s_cmp_ge_u32 s5, s33
	s_cselect_b32 s5, s6, s5
	s_xor_b32 s5, s5, s4
	s_sub_i32 s46, s5, s4
	v_readlane_b32 s4, v231, 10
	s_mov_b32 s12, s4
	s_sub_i32 s4, s4, s8
	s_add_i32 s6, s4, s46
	s_min_i32 s9, s10, s6
	s_cmp_gt_i32 s12, s8
	v_readlane_b32 s5, v231, 11
	s_cselect_b64 s[34:35], -1, 0
	s_cmp_le_i32 s12, s8
	v_cvt_f16_f32_e32 v1, s24
	s_cselect_b64 s[4:5], -1, 0
	s_cmp_gt_i32 s10, s6
	s_cselect_b64 s[6:7], -1, 0
	s_or_b64 s[4:5], s[6:7], s[4:5]
	s_and_b64 vcc, exec, s[4:5]
	v_pack_b32_f16 v39, v1, v1
	v_lshlrev_b32_e32 v86, 4, v85
	v_and_b32_e32 v88, 1, v85
	s_cbranch_vccz .LBB14_11
; %bb.9:
	s_andn2_b64 vcc, exec, s[34:35]
	s_cbranch_vccz .LBB14_254
.LBB14_10:
	s_endpgm
.LBB14_11:
	v_and_b32_e32 v22, 0x3ff, v0
	v_lshrrev_b32_e32 v3, 3, v22
	s_cmp_lg_u64 s[66:67], 0
	v_and_b32_e32 v24, 15, v22
	v_and_b32_e32 v5, 30, v3
	v_writelane_b32 v231, s59, 24
	s_cselect_b64 s[4:5], -1, 0
	v_mul_u32_u24_e32 v2, 0xd0, v24
	v_lshlrev_b32_e32 v6, 2, v5
	v_writelane_b32 v231, s4, 25
	s_cmp_eq_u64 s[68:69], 0
	v_add3_u32 v49, 0, v2, v6
	v_lshrrev_b32_e32 v2, 2, v22
	v_lshlrev_b32_e32 v7, 2, v22
	v_writelane_b32 v231, s5, 26
	s_cselect_b64 s[4:5], -1, 0
	s_movk_i32 s12, 0xd0
	v_add_u32_e32 v89, v86, v2
	v_and_b32_e32 v26, 12, v7
	v_writelane_b32 v231, s4, 27
	s_cmp_lg_u64 s[70:71], 0
	v_mad_u32_u24 v6, v89, s12, 0
	v_lshlrev_b32_e32 v8, 2, v26
	s_movk_i32 s99, 0x80
	v_add_u32_e32 v91, v87, v3
	v_and_b32_e32 v28, 28, v7
	v_writelane_b32 v231, s5, 28
	s_cselect_b64 s[4:5], -1, 0
	v_add3_u32 v90, v6, v8, s99
	v_mul_u32_u24_e32 v3, 0xd0, v91
	v_lshlrev_b32_e32 v6, 2, v28
	v_writelane_b32 v231, s4, 29
	v_add3_u32 v92, 0, v3, v6
	v_and_b32_e32 v6, 60, v2
	v_writelane_b32 v231, s5, 30
	v_and_b32_e32 v3, 8, v87
	v_mul_u32_u24_e32 v7, 0x68, v6
	s_movk_i32 s5, 0x1a0
	v_or_b32_e32 v7, v7, v24
	v_mul_u32_u24_e32 v8, 0xd0, v6
	v_or_b32_e32 v2, 3, v2
	v_mul_u32_u24_e32 v9, 0x1a0, v3
	v_mad_u32_u24 v10, v3, s5, 0
	v_lshlrev_b32_e32 v11, 1, v24
	v_mul_u32_u24_e32 v2, 0xd0, v2
	v_lshlrev_b32_e32 v7, 1, v7
	v_add3_u32 v94, v10, v8, v11
	v_add3_u32 v8, 0, 32, v9
	v_add_u32_e32 v93, v10, v7
	v_add3_u32 v95, v10, v2, v11
	v_add_u32_e32 v96, v8, v7
	v_mad_u32_u24 v10, v6, s12, v8
	v_add3_u32 v98, v8, v2, v11
	v_add3_u32 v8, 0, 64, v9
	s_add_i32 s6, 0, 0x60
	v_add_u32_e32 v99, v8, v7
	v_mad_u32_u24 v9, v6, s12, v8
	v_add3_u32 v101, v8, v2, v11
	v_mov_b32_e32 v8, s6
	s_movk_i32 s4, 0x1a00
	v_mad_u32_u24 v8, v3, s5, v8
	s_add_i32 s6, 0, 0x80
	v_add3_u32 v100, v9, v11, s4
	v_add_u32_e32 v102, v8, v7
	v_mad_u32_u24 v9, v6, s12, v8
	v_add3_u32 v104, v8, v2, v11
	v_mov_b32_e32 v8, s6
	v_mad_u32_u24 v8, v3, s5, v8
	s_add_i32 s6, 0, 0xa0
	v_add3_u32 v103, v9, v11, s4
	v_add_u32_e32 v105, v8, v7
	v_mad_u32_u24 v9, v6, s12, v8
	v_add3_u32 v107, v8, v2, v11
	v_mov_b32_e32 v8, s6
	v_mad_u32_u24 v3, v3, s5, v8
	v_add_u32_e32 v108, v3, v7
	v_mad_u32_u24 v7, v6, s12, v3
	s_lshl_b32 s88, s58, 5
	s_ashr_i32 s85, s84, 31
	s_ashr_i32 s91, s90, 31
	;; [unrolled: 1-line block ×3, first 2 shown]
	v_add3_u32 v97, v10, v11, s4
	v_add3_u32 v106, v9, v11, s4
	v_add3_u32 v109, v7, v11, s4
	s_lshl_b64 s[4:5], s[88:89], 3
	v_add3_u32 v110, v3, v2, v11
	s_add_u32 s4, s74, s4
	v_or_b32_e32 v2, v87, v22
	v_lshrrev_b32_e32 v1, 5, v22
	s_addc_u32 s5, s75, s5
	v_lshlrev_b32_e32 v2, 3, v2
	v_mov_b32_e32 v3, s5
	v_add_co_u32_e32 v30, vcc, s4, v2
	v_or_b32_e32 v2, v86, v24
	v_add_u32_e32 v111, v1, v85
	v_addc_co_u32_e32 v31, vcc, 0, v3, vcc
	v_mad_u32_u24 v10, v2, 52, v5
	v_lshlrev_b32_e32 v2, 1, v111
	v_and_b32_e32 v3, 15, v111
	s_movk_i32 s4, 0x3e0
	v_add_u32_e32 v112, 4, v111
	v_and_or_b32 v11, v2, s4, v3
	v_lshlrev_b32_e32 v2, 1, v112
	v_and_b32_e32 v5, 15, v112
	s_movk_i32 s4, 0x7e0
	v_add_u32_e32 v113, 8, v111
	v_and_or_b32 v12, v2, s4, v5
	v_lshlrev_b32_e32 v2, 1, v113
	v_and_b32_e32 v5, 15, v113
	v_add_u32_e32 v114, 12, v111
	v_and_or_b32 v13, v2, s4, v5
	v_lshlrev_b32_e32 v2, 1, v114
	v_and_b32_e32 v5, 15, v114
	v_add_u32_e32 v115, 16, v111
	v_and_or_b32 v14, v2, s4, v5
	v_lshlrev_b32_e32 v2, 1, v115
	v_add_u32_e32 v116, 20, v111
	v_lshrrev_b32_e32 v4, 4, v22
	v_and_or_b32 v15, v2, s4, v3
	v_lshlrev_b32_e32 v2, 1, v116
	v_and_b32_e32 v3, 15, v116
	v_add_u32_e32 v117, 24, v111
	v_and_or_b32 v16, v2, s4, v3
	v_lshlrev_b32_e32 v2, 1, v117
	v_and_b32_e32 v3, 15, v117
	v_add_u32_e32 v118, 28, v111
	v_add_u32_e32 v119, v4, v84
	v_and_or_b32 v17, v2, s4, v3
	v_lshlrev_b32_e32 v2, 1, v118
	v_and_b32_e32 v3, 15, v118
	v_add_u32_e32 v120, 8, v119
	v_writelane_b32 v231, s58, 31
	v_and_or_b32 v18, v2, s4, v3
	s_movk_i32 s5, 0xfe0
	v_lshlrev_b32_e32 v2, 1, v120
	v_and_b32_e32 v3, 15, v120
	v_and_or_b32 v19, v2, s5, v3
	v_lshlrev_b32_e32 v2, 1, v119
	v_and_b32_e32 v3, 15, v119
	v_add_u32_e32 v121, 16, v119
	v_readlane_b32 s19, v231, 7
	v_and_or_b32 v20, v2, s4, v3
	v_lshlrev_b32_e32 v2, 1, v121
	s_abs_i32 s22, s19
	v_and_or_b32 v21, v2, s5, v3
	v_cvt_f32_u32_e32 v2, s22
	v_readlane_b32 s21, v231, 6
	s_abs_i32 s23, s21
	v_add_u32_e32 v122, 24, v119
	v_rcp_iflag_f32_e32 v2, v2
	v_cvt_f32_u32_e32 v7, s23
	v_lshlrev_b32_e32 v3, 1, v122
	v_and_b32_e32 v5, 15, v122
	s_mov_b32 s4, s16
	v_and_or_b32 v23, v3, s5, v5
	v_readlane_b32 s20, v231, 3
	v_writelane_b32 v231, s4, 32
	v_mul_f32_e32 v2, 0x4f7ffffe, v2
	s_abs_i32 s24, s20
	v_writelane_b32 v231, s5, 33
	s_abs_i32 s4, s16
	v_cvt_u32_f32_e32 v2, v2
	v_rcp_iflag_f32_e32 v3, v7
	v_cvt_f32_u32_e32 v5, s24
	v_cvt_f32_u32_e32 v7, s4
	v_readfirstlane_b32 s16, v2
	v_writelane_b32 v231, s4, 34
	v_rcp_iflag_f32_e32 v2, v5
	v_rcp_iflag_f32_e32 v5, v7
	s_sub_i32 s4, 0, s4
	s_mov_b64 s[6:7], s[26:27]
	v_mul_f32_e32 v2, 0x4f7ffffe, v2
	v_mul_f32_e32 v5, 0x4f7ffffe, v5
	v_cvt_u32_f32_e32 v2, v2
	v_cvt_u32_f32_e32 v5, v5
	s_mov_b32 s5, s25
	v_add_u32_e32 v124, v1, v84
	v_readfirstlane_b32 s18, v2
	v_mul_lo_u32 v2, s4, v5
	s_mul_i32 s4, s76, s77
	v_writelane_b32 v231, s4, 35
	v_writelane_b32 v231, s4, 36
	v_mul_u32_u24_e32 v1, 0x90, v85
	v_lshlrev_b32_e32 v36, 1, v22
	v_writelane_b32 v231, s5, 37
	v_add3_u32 v126, 0, v1, v36
	v_and_b32_e32 v1, 16, v86
	v_writelane_b32 v231, s6, 38
	v_add_u32_e32 v127, v1, v6
	v_add_u16_e32 v6, v1, v6
	v_mul_u32_u24_e32 v128, 0xd0, v1
	v_and_b32_e32 v1, 0x7f0, v87
	v_mul_f32_e32 v3, 0x4f7ffffe, v3
	v_writelane_b32 v231, s7, 39
	v_cmp_nle_f32_e64 s[4:5], s25, 0
	s_movk_i32 s13, 0x90
	v_mad_u32_u24 v129, v1, s12, v49
	v_or_b32_e32 v1, v1, v24
	v_cvt_u32_f32_e32 v3, v3
	v_writelane_b32 v231, s4, 40
	v_mad_u32_u24 v1, v1, s13, 0
	v_lshrrev_b16_e32 v6, 1, v6
	v_add_u32_e32 v131, 32, v127
	v_add_u32_e32 v133, 34, v127
	v_writelane_b32 v231, s5, 41
	v_lshl_add_u32 v130, v6, 2, v1
	v_lshl_add_u32 v132, v131, 1, v1
	;; [unrolled: 1-line block ×3, first 2 shown]
	v_add_u32_e32 v1, v86, v22
	v_and_b32_e32 v38, 31, v22
	s_mul_i32 s25, s77, 48
	v_mul_hi_u32 v2, v5, v2
	v_mul_u32_u24_e32 v135, 0xd0, v1
	v_add_u32_e32 v1, v86, v38
	v_writelane_b32 v231, s25, 42
	s_ashr_i32 s19, s19, 31
	v_add_u32_e32 v123, v5, v2
	v_mul_lo_u32 v2, s78, v89
	v_lshl_add_u32 v125, v85, 2, v4
	v_mul_u32_u24_e32 v136, 0xd0, v1
	v_mad_u32_u24 v1, v124, 52, v38
	v_writelane_b32 v231, s19, 43
	s_sub_i32 s19, 0, s22
	v_readfirstlane_b32 s17, v3
	v_ashrrev_i32_e32 v3, 31, v2
	v_and_b32_e32 v5, 3, v22
	v_lshl_add_u32 v138, v1, 2, 0
	v_mad_u32_u24 v1, v125, 52, v24
	s_mul_i32 s19, s19, s16
	v_lshlrev_b32_e32 v5, 4, v5
	v_lshlrev_b64 v[32:33], 2, v[2:3]
	v_lshl_add_u32 v139, v1, 2, 0
	v_mad_u32_u24 v1, v11, 52, v38
	s_mul_hi_u32 s19, s16, s19
	v_add_co_u32_e32 v2, vcc, v5, v32
	v_lshl_add_u32 v141, v1, 2, 0
	v_mad_u32_u24 v1, v12, 52, v38
	v_writelane_b32 v231, s22, 44
	s_add_i32 s16, s16, s19
	v_addc_co_u32_e32 v3, vcc, 0, v33, vcc
	v_lshl_add_u32 v143, v1, 2, 0
	v_mad_u32_u24 v1, v13, 52, v38
	v_writelane_b32 v231, s16, 45
	s_ashr_i32 s16, s21, 31
	v_mov_b32_e32 v7, s65
	v_add_co_u32_e32 v25, vcc, s64, v2
	v_mul_lo_u32 v2, s90, v89
	v_lshl_add_u32 v145, v1, 2, 0
	v_mad_u32_u24 v1, v14, 52, v38
	v_writelane_b32 v231, s16, 46
	s_sub_i32 s16, 0, s23
	v_addc_co_u32_e32 v27, vcc, v3, v7, vcc
	v_ashrrev_i32_e32 v3, 31, v2
	v_lshl_add_u32 v147, v1, 2, 0
	v_mad_u32_u24 v1, v15, 52, v38
	s_mul_i32 s16, s16, s17
	v_lshlrev_b64 v[34:35], 2, v[2:3]
	v_lshl_add_u32 v149, v1, 2, 0
	v_mad_u32_u24 v1, v16, 52, v38
	s_mul_hi_u32 s16, s17, s16
	v_add_co_u32_e32 v2, vcc, v5, v34
	v_lshl_add_u32 v151, v1, 2, 0
	v_mad_u32_u24 v1, v17, 52, v38
	v_writelane_b32 v231, s23, 47
	s_add_i32 s16, s17, s16
	v_addc_co_u32_e32 v3, vcc, 0, v35, vcc
	v_lshl_add_u32 v153, v1, 2, 0
	v_mad_u32_u24 v1, v18, 52, v38
	v_writelane_b32 v231, s16, 48
	s_ashr_i32 s16, s20, 31
	v_mov_b32_e32 v5, s63
	v_add_co_u32_e32 v29, vcc, s62, v2
	v_lshl_add_u32 v155, v1, 2, 0
	v_mad_u32_u24 v1, v20, 52, v24
	v_writelane_b32 v231, s16, 49
	s_sub_i32 s16, 0, s24
	v_addc_co_u32_e32 v37, vcc, v3, v5, vcc
	v_mul_lo_u32 v6, s78, v91
	v_lshl_add_u32 v157, v1, 2, 0
	v_mad_u32_u24 v1, v19, 52, v24
	s_mul_i32 s16, s16, s18
	v_ashrrev_i32_e32 v7, 31, v6
	v_lshl_add_u32 v159, v1, 2, 0
	v_mad_u32_u24 v1, v21, 52, v24
	s_mul_hi_u32 s16, s18, s16
	v_add_co_u32_e32 v164, vcc, s99, v25
	v_lshl_add_u32 v8, s78, 5, v6
	v_lshl_add_u32 v161, v1, 2, 0
	v_mad_u32_u24 v1, v23, 52, v24
	v_writelane_b32 v231, s24, 50
	s_add_i32 s16, s18, s16
	v_addc_co_u32_e32 v165, vcc, 0, v27, vcc
	v_lshlrev_b64 v[40:41], 2, v[6:7]
	v_ashrrev_i32_e32 v9, 31, v8
	v_lshl_add_u32 v163, v1, 2, 0
	v_writelane_b32 v231, s16, 51
	v_mov_b32_e32 v1, s65
	v_add_co_u32_e32 v166, vcc, s64, v40
	v_cmp_eq_u32_e64 s[30:31], 0, v88
	v_addc_co_u32_e32 v167, vcc, v1, v41, vcc
	v_lshlrev_b64 v[42:43], 2, v[8:9]
	v_writelane_b32 v231, s30, 52
	v_add_co_u32_e32 v168, vcc, s64, v42
	v_writelane_b32 v231, s31, 53
	v_cmp_eq_u32_e64 s[30:31], 1, v88
	v_mul_lo_u32 v2, s90, v91
	v_addc_co_u32_e32 v169, vcc, v1, v43, vcc
	v_writelane_b32 v231, s30, 54
	v_ashrrev_i32_e32 v3, 31, v2
	v_add_co_u32_e32 v170, vcc, s99, v29
	v_writelane_b32 v231, s31, 55
	v_cmp_gt_u32_e64 s[30:31], 16, v22
	v_lshl_add_u32 v4, s90, 5, v2
	v_addc_co_u32_e32 v171, vcc, 0, v37, vcc
	v_lshlrev_b64 v[44:45], 2, v[2:3]
	v_writelane_b32 v231, s30, 56
	v_ashrrev_i32_e32 v5, 31, v4
	v_mov_b32_e32 v1, s63
	v_add_co_u32_e32 v172, vcc, s62, v44
	v_writelane_b32 v231, s31, 57
	v_cmp_gt_u32_e64 s[30:31], 32, v22
	v_addc_co_u32_e32 v173, vcc, v1, v45, vcc
	v_lshlrev_b64 v[46:47], 2, v[4:5]
	v_writelane_b32 v231, s30, 58
	v_add_co_u32_e32 v174, vcc, s62, v46
	v_writelane_b32 v231, s31, 59
	s_lshl_b64 s[34:35], s[84:85], 1
	v_addc_co_u32_e32 v175, vcc, v1, v47, vcc
	v_mbcnt_lo_u32_b32 v1, -1, 0
	v_writelane_b32 v231, s34, 60
	s_mov_b64 s[36:37], src_private_base
	v_mbcnt_hi_u32_b32 v176, -1, v1
	v_and_b32_e32 v1, 7, v22
	v_writelane_b32 v231, s35, 61
	s_mov_b32 s34, s84
                                        ; implicit-def: $vgpr230 : SGPR spill to VGPR lane
	v_cmp_lt_u32_e64 s[4:5], 63, v22
	s_mov_b32 s36, 0
	v_cmp_gt_u32_e64 s[6:7], 64, v89
	v_cmp_gt_u32_e64 s[56:57], 64, v91
	;; [unrolled: 1-line block ×5, first 2 shown]
	v_lshl_add_u32 v137, v10, 2, 0
	v_mul_u32_u24_e32 v140, 0xd0, v11
	v_mul_u32_u24_e32 v142, 0xd0, v12
	;; [unrolled: 1-line block ×12, first 2 shown]
	s_mov_b32 s77, 0x42b17218
	s_mov_b32 s86, 0x3fb8aa3b
	;; [unrolled: 1-line block ×5, first 2 shown]
	v_mov_b32_e32 v177, 0
	v_add_u32_e32 v178, 4, v85
	v_add_u32_e32 v179, 0x240, v126
	v_add_u32_e32 v180, 8, v85
	v_add_u32_e32 v181, 0x480, v126
	v_add_u32_e32 v182, 12, v85
	v_add_u32_e32 v183, 0x6c0, v126
	v_add_u32_e32 v184, 16, v85
	v_add_u32_e32 v185, 0x900, v126
	v_add_u32_e32 v186, 20, v85
	v_add_u32_e32 v187, 0xb40, v126
	v_add_u32_e32 v188, 24, v85
	v_add_u32_e32 v189, 0xd80, v126
	v_add_u32_e32 v190, 28, v85
	v_add_u32_e32 v191, 0xfc0, v126
	v_add_u32_e32 v192, 32, v91
	v_add_u32_e32 v193, 0x1a00, v92
	v_add_u32_e32 v194, 0x1a00, v94
	v_add_u32_e32 v195, 32, v94
	v_add_u32_e32 v196, 64, v94
	v_add_u32_e32 v197, 0x60, v94
	v_add_u32_e32 v198, 0x80, v94
	v_add_u32_e32 v199, 0xa0, v94
	v_or_b32_e32 v200, 1, v127
	v_or_b32_e32 v201, 2, v127
	;; [unrolled: 1-line block ×3, first 2 shown]
	v_add_u32_e32 v203, 33, v127
	v_add_u32_e32 v204, 35, v127
	;; [unrolled: 1-line block ×6, first 2 shown]
	v_lshlrev_b32_e32 v48, 4, v1
	v_mov_b32_e32 v209, 0x3ecccdef
	v_mov_b32_e32 v210, 0x37000000
	;; [unrolled: 1-line block ×4, first 2 shown]
	v_cmp_gt_u32_e64 s[16:17], 62, v127
	v_cmp_gt_u32_e64 s[18:19], 61, v127
	;; [unrolled: 1-line block ×6, first 2 shown]
	s_lshl_b64 s[96:97], s[78:79], 8
	s_lshl_b64 s[30:31], s[90:91], 8
	v_writelane_b32 v231, s34, 62
	v_writelane_b32 v230, s50, 0
	;; [unrolled: 1-line block ×4, first 2 shown]
	s_branch .LBB14_14
.LBB14_12:                              ;   in Loop: Header=BB14_14 Depth=1
	s_or_b64 exec, exec, s[34:35]
	s_barrier
.LBB14_13:                              ;   in Loop: Header=BB14_14 Depth=1
	v_readlane_b32 s39, v231, 1
	s_add_i32 s8, s8, s39
	s_abs_i32 s34, s8
	v_readlane_b32 s45, v230, 1
	s_mul_hi_u32 s35, s34, s45
	s_mul_i32 s35, s35, s33
	s_sub_i32 s34, s34, s35
	s_ashr_i32 s9, s8, 31
	s_sub_i32 s35, s34, s33
	s_cmp_ge_u32 s34, s33
	s_cselect_b32 s34, s35, s34
	s_sub_i32 s35, s34, s33
	s_cmp_ge_u32 s34, s33
	s_cselect_b32 s34, s35, s34
	s_xor_b32 s34, s34, s9
	s_sub_i32 s9, s9, s34
	s_add_i32 s8, s8, s9
	v_readlane_b32 s34, v231, 10
	s_sub_i32 s38, s34, s8
	s_min_i32 s9, s39, s38
	v_readlane_b32 s35, v231, 11
	s_cmp_gt_i32 s34, s8
	s_cselect_b64 s[34:35], -1, 0
	s_cmp_le_i32 s39, s38
	s_cselect_b64 s[38:39], -1, 0
	s_and_b64 s[38:39], s[38:39], s[34:35]
	s_mov_b32 s46, 0
	s_and_b64 vcc, exec, s[38:39]
	s_cbranch_vccz .LBB14_253
.LBB14_14:                              ; =>This Loop Header: Depth=1
                                        ;     Child Loop BB14_171 Depth 2
                                        ;     Child Loop BB14_48 Depth 2
	s_ashr_i32 s34, s8, 31
	v_readlane_b32 s35, v231, 43
	s_xor_b32 s34, s34, s35
	s_abs_i32 s35, s8
	v_readlane_b32 s38, v231, 45
	s_mul_hi_u32 s38, s35, s38
	v_readlane_b32 s41, v231, 44
	s_mul_i32 s39, s38, s41
	s_sub_i32 s35, s35, s39
	s_add_i32 s39, s38, 1
	s_sub_i32 s40, s35, s41
	s_cmp_ge_u32 s35, s41
	s_cselect_b32 s38, s39, s38
	s_cselect_b32 s35, s40, s35
	s_add_i32 s39, s38, 1
	s_cmp_ge_u32 s35, s41
	s_cselect_b32 s35, s39, s38
	s_xor_b32 s35, s35, s34
	s_sub_i32 s47, s35, s34
	v_readlane_b32 s34, v231, 25
	v_readlane_b32 s35, v231, 26
	s_andn2_b64 vcc, exec, s[34:35]
	s_ashr_i32 s48, s47, 31
	s_cbranch_vccnz .LBB14_16
; %bb.15:                               ;   in Loop: Header=BB14_14 Depth=1
	s_abs_i32 s34, s47
	v_mul_hi_u32 v1, s34, v123
	v_readlane_b32 s35, v231, 34
	v_mul_lo_u32 v1, v1, s35
	v_sub_u32_e32 v1, s34, v1
	v_subrev_u32_e32 v2, s35, v1
	v_cmp_le_u32_e32 vcc, s35, v1
	v_cndmask_b32_e32 v1, v1, v2, vcc
	v_subrev_u32_e32 v2, s35, v1
	v_cmp_le_u32_e32 vcc, s35, v1
	v_cndmask_b32_e32 v1, v1, v2, vcc
	v_xor_b32_e32 v1, s48, v1
	v_readlane_b32 s34, v231, 15
	v_subrev_u32_e32 v1, s48, v1
	v_readlane_b32 s35, v231, 16
	v_ashrrev_i32_e32 v2, 31, v1
	v_mul_lo_u32 v3, v1, s35
	v_mul_hi_u32 v4, v1, s34
	v_add_u32_e32 v3, v4, v3
	v_mul_lo_u32 v2, v2, s34
	v_mul_lo_u32 v1, v1, s34
	v_add_u32_e32 v2, v3, v2
	v_mov_b32_e32 v3, s67
	v_add_co_u32_e32 v52, vcc, s66, v1
	v_addc_co_u32_e32 v53, vcc, v3, v2, vcc
	s_branch .LBB14_17
.LBB14_16:                              ;   in Loop: Header=BB14_14 Depth=1
	v_pk_mov_b32 v[52:53], 0, 0
.LBB14_17:                              ;   in Loop: Header=BB14_14 Depth=1
	v_readlane_b32 s34, v231, 7
	s_mul_i32 s34, s47, s34
	s_sub_i32 s34, s8, s34
	s_ashr_i32 s35, s34, 31
	v_readlane_b32 s38, v231, 46
	s_xor_b32 s35, s35, s38
	s_abs_i32 s38, s34
	v_readlane_b32 s39, v231, 48
	s_mul_hi_u32 s39, s38, s39
	v_readlane_b32 s42, v231, 47
	s_mul_i32 s40, s39, s42
	s_sub_i32 s38, s38, s40
	s_add_i32 s40, s39, 1
	s_sub_i32 s41, s38, s42
	s_cmp_ge_u32 s38, s42
	s_cselect_b32 s39, s40, s39
	s_cselect_b32 s38, s41, s38
	s_add_i32 s40, s39, 1
	s_cmp_ge_u32 s38, s42
	s_cselect_b32 s38, s40, s39
	s_xor_b32 s38, s38, s35
	s_sub_i32 s49, s38, s35
	v_readlane_b32 s35, v231, 6
	s_mul_i32 s35, s49, s35
	s_sub_i32 s34, s34, s35
	s_ashr_i32 s35, s34, 31
	v_readlane_b32 s38, v231, 49
	s_xor_b32 s35, s35, s38
	s_abs_i32 s38, s34
	v_readlane_b32 s39, v231, 51
	s_mul_hi_u32 s39, s38, s39
	v_readlane_b32 s42, v231, 50
	s_mul_i32 s40, s39, s42
	s_sub_i32 s38, s38, s40
	s_add_i32 s40, s39, 1
	s_sub_i32 s41, s38, s42
	s_cmp_ge_u32 s38, s42
	s_cselect_b32 s39, s40, s39
	s_cselect_b32 s38, s41, s38
	s_add_i32 s40, s39, 1
	s_cmp_ge_u32 s38, s42
	s_cselect_b32 s38, s40, s39
	s_xor_b32 s38, s38, s35
	s_sub_i32 s35, s38, s35
	v_readlane_b32 s38, v231, 2
	s_mul_i32 s38, s49, s38
	s_add_i32 s44, s38, s35
	v_readlane_b32 s38, v231, 40
	v_readlane_b32 s39, v231, 41
	s_andn2_b64 vcc, exec, s[38:39]
	v_mov_b32_e32 v50, 1.0
	s_cbranch_vccnz .LBB14_19
; %bb.18:                               ;   in Loop: Header=BB14_14 Depth=1
	v_readlane_b32 s39, v231, 12
	s_sub_i32 s38, s44, s39
	s_lshl_b32 s38, s38, 1
	s_add_i32 s40, s44, 1
	s_or_b32 s41, s38, 1
	s_cmp_lt_u32 s44, s39
	v_readlane_b32 s52, v231, 36
	s_cselect_b64 vcc, -1, 0
	v_readlane_b32 s54, v231, 38
	v_readlane_b32 s55, v231, 39
	s_and_b64 s[38:39], vcc, exec
	v_mov_b32_e32 v1, s55
	v_mov_b32_e32 v2, s54
	s_cselect_b32 s38, s40, s41
	v_cndmask_b32_e32 v18, v1, v2, vcc
	v_cvt_f32_i32_e32 v1, s38
	v_cmp_neq_f32_e32 vcc, 1.0, v18
	s_mov_b32 s38, 0x3f2aaaab
	s_movk_i32 s40, 0x204
	v_cndmask_b32_e32 v19, 1.0, v1, vcc
	v_cmp_eq_f32_e32 vcc, 0, v19
	v_cndmask_b32_e64 v20, |v18|, 1.0, vcc
	v_frexp_mant_f32_e32 v1, v20
	v_cmp_gt_f32_e64 s[38:39], s38, v1
	v_cndmask_b32_e64 v2, 1.0, 2.0, s[38:39]
	v_mul_f32_e32 v1, v1, v2
	v_add_f32_e32 v2, 1.0, v1
	v_rcp_f32_e32 v10, v2
	v_add_f32_e32 v3, -1.0, v2
	v_sub_f32_e32 v5, v1, v3
	v_add_f32_e32 v3, -1.0, v1
	v_mul_f32_e32 v1, v3, v10
	v_mul_f32_e32 v4, v2, v1
	v_fma_f32 v6, v1, v2, -v4
	v_fmac_f32_e32 v6, v1, v5
	v_add_f32_e32 v2, v4, v6
	v_sub_f32_e32 v5, v3, v2
	v_pk_add_f32 v[8:9], v[2:3], v[4:5] neg_lo:[0,1] neg_hi:[0,1]
	v_mov_b32_e32 v7, v2
	v_pk_add_f32 v[2:3], v[8:9], v[6:7] neg_lo:[0,1] neg_hi:[0,1]
	v_add_f32_e32 v2, v2, v3
	v_add_f32_e32 v2, v5, v2
	v_mul_f32_e32 v3, v10, v2
	v_add_f32_e32 v2, v1, v3
	v_sub_f32_e32 v1, v2, v1
	v_sub_f32_e32 v1, v3, v1
	v_mul_f32_e32 v3, v2, v2
	v_fma_f32 v5, v2, v2, -v3
	v_add_f32_e32 v4, v1, v1
	v_fmac_f32_e32 v5, v2, v4
	v_add_f32_e32 v4, v3, v5
	v_mov_b32_e32 v6, 0x3e91f4c4
	v_fmac_f32_e32 v6, 0x3e76c4e1, v4
	v_fma_f32 v6, v4, v6, v209
	v_sub_f32_e32 v3, v4, v3
	v_sub_f32_e32 v12, v5, v3
	v_mul_f32_e32 v3, v4, v6
	v_fma_f32 v5, v4, v6, -v3
	v_fmac_f32_e32 v5, v12, v6
	v_add_f32_e32 v6, v3, v5
	v_add_f32_e32 v7, 0x3f2aaaaa, v6
	v_sub_f32_e32 v3, v6, v3
	v_sub_f32_e32 v3, v5, v3
	v_add_f32_e32 v5, 0xbf2aaaaa, v7
	v_add_f32_e32 v3, 0x31739010, v3
	v_sub_f32_e32 v5, v6, v5
	v_pk_mul_f32 v[8:9], v[2:3], v[4:5]
	v_fma_f32 v6, v4, v2, -v8
	v_pk_add_f32 v[10:11], v[2:3], v[4:5]
	v_fmac_f32_e32 v6, v4, v1
	v_mov_b32_e32 v9, v11
	v_fmac_f32_e32 v6, v12, v2
	v_pk_add_f32 v[4:5], v[8:9], v[6:7]
	v_sub_f32_e32 v3, v4, v8
	v_sub_f32_e32 v3, v6, v3
	;; [unrolled: 1-line block ×3, first 2 shown]
	v_add_f32_e32 v10, v11, v6
	v_mov_b32_e32 v6, v5
	v_pk_mul_f32 v[6:7], v[4:5], v[6:7]
	v_cvt_f64_f32_e32 v[8:9], v20
	v_frexp_exp_i32_f64_e32 v7, v[8:9]
	v_subbrev_co_u32_e64 v7, s[38:39], 0, v7, s[38:39]
	v_cvt_f32_i32_e32 v7, v7
	v_fma_f32 v8, v4, v5, -v6
	v_fmac_f32_e32 v8, v4, v10
	s_mov_b32 s38, 0x3f317218
	v_mul_f32_e32 v4, 0x3f317218, v7
	v_fmac_f32_e32 v8, v3, v5
	v_fma_f32 v10, v7, s38, -v4
	v_fmac_f32_e32 v10, 0xb102e308, v7
	v_ldexp_f32 v11, v2, 1
	v_add_f32_e32 v5, v6, v8
	v_pk_add_f32 v[2:3], v[4:5], v[10:11]
	v_mov_b32_e32 v12, v5
	v_mov_b32_e32 v13, v3
	;; [unrolled: 1-line block ×3, first 2 shown]
	v_pk_add_f32 v[6:7], v[12:13], v[6:7] neg_lo:[0,1] neg_hi:[0,1]
	v_mov_b32_e32 v9, v5
	v_ldexp_f32 v1, v1, 1
	v_pk_add_f32 v[6:7], v[8:9], v[6:7] neg_lo:[0,1] neg_hi:[0,1]
	v_add_f32_e32 v1, v1, v6
	v_add_f32_e32 v5, v1, v7
	v_pk_add_f32 v[6:7], v[2:3], v[4:5] neg_lo:[0,1] neg_hi:[0,1]
	v_pk_add_f32 v[8:9], v[2:3], v[4:5]
	v_mov_b32_e32 v12, v6
	v_mov_b32_e32 v13, v9
	;; [unrolled: 1-line block ×3, first 2 shown]
	v_pk_add_f32 v[12:13], v[10:11], v[12:13]
	v_mov_b32_e32 v4, v13
	v_pk_add_f32 v[14:15], v[4:5], v[2:3] neg_lo:[0,1] neg_hi:[0,1]
	v_mov_b32_e32 v1, v14
	v_mov_b32_e32 v12, v9
	;; [unrolled: 1-line block ×4, first 2 shown]
	v_pk_add_f32 v[6:7], v[10:11], v[6:7] neg_lo:[0,1] neg_hi:[0,1]
	v_pk_add_f32 v[16:17], v[8:9], v[0:1] neg_lo:[0,1] neg_hi:[0,1]
	;; [unrolled: 1-line block ×3, first 2 shown]
	v_mov_b32_e32 v10, v5
	v_pk_add_f32 v[2:3], v[10:11], v[2:3] neg_lo:[0,1] neg_hi:[0,1]
	v_mov_b32_e32 v16, v6
	v_pk_add_f32 v[8:9], v[16:17], v[2:3]
	v_mov_b32_e32 v10, v9
	v_pk_add_f32 v[10:11], v[8:9], v[10:11]
	v_pk_add_f32 v[4:5], v[4:5], v[10:11]
	v_mov_b32_e32 v7, v13
	v_mov_b32_e32 v9, v4
	v_pk_add_f32 v[12:13], v[8:9], v[6:7] neg_lo:[0,1] neg_hi:[0,1]
	v_mov_b32_e32 v3, v10
	v_sub_f32_e32 v1, v8, v12
	v_pk_add_f32 v[2:3], v[2:3], v[12:13] neg_lo:[0,1] neg_hi:[0,1]
	v_sub_f32_e32 v1, v6, v1
	v_add_f32_e32 v1, v2, v1
	v_add_f32_e32 v1, v1, v3
	;; [unrolled: 1-line block ×3, first 2 shown]
	v_sub_f32_e32 v3, v2, v4
	v_sub_f32_e32 v1, v1, v3
	v_mul_f32_e32 v3, v19, v2
	v_fma_f32 v2, v19, v2, -v3
	v_fmac_f32_e32 v2, v19, v1
	v_add_f32_e32 v1, v3, v2
	v_cmp_class_f32_e64 s[38:39], v3, s40
	v_sub_f32_e32 v4, v1, v3
	v_cndmask_b32_e64 v1, v1, v3, s[38:39]
	v_cmp_eq_f32_e64 s[38:39], s77, v1
	v_cndmask_b32_e64 v3, 0, v210, s[38:39]
	v_sub_f32_e32 v2, v2, v4
	v_sub_f32_e32 v4, v1, v3
	v_mul_f32_e32 v5, 0x3fb8aa3b, v4
	v_fma_f32 v6, v4, s86, -v5
	v_rndne_f32_e32 v7, v5
	v_fmac_f32_e32 v6, 0x32a5705f, v4
	v_sub_f32_e32 v5, v5, v7
	v_add_f32_e32 v5, v5, v6
	v_exp_f32_e32 v5, v5
	v_cvt_i32_f32_e32 v6, v7
	s_mov_b32 s41, 0x7f800000
	v_cmp_neq_f32_e64 s[38:39], |v1|, s41
	v_cndmask_b32_e64 v1, 0, v2, s[38:39]
	v_ldexp_f32 v2, v5, v6
	v_cmp_ngt_f32_e64 s[38:39], s28, v4
	v_cndmask_b32_e64 v2, 0, v2, s[38:39]
	v_cmp_nlt_f32_e64 s[38:39], s77, v4
	v_add_f32_e32 v1, v3, v1
	v_cndmask_b32_e64 v2, v211, v2, s[38:39]
	v_fma_f32 v1, v2, v1, v2
	v_cmp_class_f32_e64 s[38:39], v2, s40
	v_trunc_f32_e32 v3, v19
	v_cndmask_b32_e64 v1, v1, v2, s[38:39]
	v_cndmask_b32_e64 v2, v18, 1.0, vcc
	v_cmp_eq_f32_e32 vcc, v3, v19
	v_mul_f32_e32 v3, 0.5, v19
	v_trunc_f32_e32 v4, v3
	v_cmp_neq_f32_e64 s[38:39], v4, v3
	s_and_b64 s[38:39], vcc, s[38:39]
	v_cndmask_b32_e64 v3, 1.0, v2, s[38:39]
	s_brev_b32 s51, -2
	v_bfi_b32 v1, s51, v1, v3
	v_cndmask_b32_e32 v3, v212, v1, vcc
	v_cmp_gt_f32_e32 vcc, 0, v2
	v_cndmask_b32_e32 v1, v1, v3, vcc
	v_cmp_eq_f32_e32 vcc, s41, v20
	v_cmp_eq_f32_e64 s[40:41], 0, v2
	v_cmp_gt_f32_e64 s[42:43], 0, v19
	s_xor_b64 s[42:43], s[42:43], s[40:41]
	v_cndmask_b32_e64 v3, v211, 0, s[42:43]
	v_cndmask_b32_e64 v4, 0, v2, s[38:39]
	v_bfi_b32 v3, s51, v3, v4
	s_or_b64 vcc, vcc, s[40:41]
	v_cndmask_b32_e32 v1, v1, v3, vcc
	v_cmp_o_f32_e32 vcc, v2, v2
	v_cndmask_b32_e32 v50, v212, v1, vcc
	v_readlane_b32 s53, v231, 37
.LBB14_19:                              ;   in Loop: Header=BB14_14 Depth=1
	v_readlane_b32 s38, v231, 3
	s_mul_i32 s35, s35, s38
	s_sub_i32 s34, s34, s35
	s_ashr_i32 s35, s34, 31
	v_readlane_b32 s38, v231, 23
	s_abs_i32 s34, s34
	s_xor_b32 s35, s35, s38
	s_mul_hi_u32 s38, s34, s45
	s_mul_i32 s39, s38, s33
	s_sub_i32 s34, s34, s39
	s_add_i32 s39, s38, 1
	s_sub_i32 s40, s34, s33
	s_cmp_ge_u32 s34, s33
	s_cselect_b32 s38, s39, s38
	s_cselect_b32 s34, s40, s34
	s_add_i32 s39, s38, 1
	s_cmp_ge_u32 s34, s33
	s_cselect_b32 s34, s39, s38
	v_readlane_b32 s38, v231, 29
	s_xor_b32 s34, s34, s35
	v_readlane_b32 s39, v231, 30
	s_andn2_b64 vcc, exec, s[38:39]
	s_sub_i32 s87, s34, s35
	s_cbranch_vccnz .LBB14_21
; %bb.20:                               ;   in Loop: Header=BB14_14 Depth=1
	v_readlane_b32 s34, v231, 0
	s_mul_i32 s34, s47, s34
	s_add_i32 s34, s87, s34
	s_ashr_i32 s35, s34, 31
	s_lshl_b64 s[34:35], s[34:35], 2
	s_add_u32 s34, s70, s34
	s_addc_u32 s35, s71, s35
	global_load_dword v1, v177, s[34:35]
	s_waitcnt vmcnt(0)
	v_readfirstlane_b32 s34, v1
	s_ashr_i32 s35, s34, 31
	s_lshr_b32 s35, s35, 26
	s_add_i32 s34, s34, s35
	s_ashr_i32 s34, s34, 6
	s_min_i32 s9, s9, s34
.LBB14_21:                              ;   in Loop: Header=BB14_14 Depth=1
	v_readlane_b32 s34, v231, 35
	s_mul_i32 s34, s34, s47
	s_add_i32 s34, s44, s34
	s_mul_i32 s88, s34, 48
	s_lshl_b64 s[34:35], s[88:89], 3
	s_add_u32 s34, s72, s34
	v_readlane_b32 s38, v231, 13
	v_writelane_b32 v230, s34, 2
	s_addc_u32 s34, s73, s35
	v_readlane_b32 s39, v231, 14
	v_writelane_b32 v230, s34, 3
	s_mul_i32 s34, s47, s39
	s_mul_hi_u32 s35, s47, s38
	s_add_i32 s34, s35, s34
	s_mul_i32 s35, s48, s38
	v_readlane_b32 s40, v231, 19
	s_add_i32 s35, s34, s35
	s_mul_i32 s34, s47, s38
	v_readlane_b32 s43, v231, 22
	v_writelane_b32 v230, s34, 4
	s_add_u32 s34, s64, s34
	s_mul_i32 s38, s49, s43
	v_writelane_b32 v230, s35, 5
	s_addc_u32 s35, s65, s35
	s_ashr_i32 s39, s38, 31
	s_add_u32 s81, s34, s38
	s_addc_u32 s83, s35, s39
	s_ashr_i32 s45, s44, 31
	s_lshl_b64 s[34:35], s[44:45], 2
	v_writelane_b32 v230, s38, 6
	s_add_u32 s38, s68, s34
	v_readlane_b32 s41, v231, 20
	v_writelane_b32 v230, s39, 7
	s_addc_u32 s39, s69, s35
	v_readlane_b32 s34, v231, 27
	s_mov_b64 s[52:53], s[40:41]
	v_readlane_b32 s35, v231, 28
	v_readlane_b32 s40, v231, 8
	s_and_b64 s[34:35], s[34:35], exec
	v_readlane_b32 s41, v231, 9
	s_cselect_b32 s34, 0, s38
	s_mul_i32 s38, s47, s41
	s_cselect_b32 s35, 0, s39
	s_ashr_i32 s39, s38, 31
	s_add_u32 s38, s60, s38
	s_mul_i32 s40, s44, s40
	s_addc_u32 s39, s61, s39
	s_ashr_i32 s41, s40, 31
	s_add_u32 s94, s38, s40
	s_addc_u32 s88, s39, s41
	s_mul_i32 s38, s47, s53
	s_mul_hi_u32 s39, s47, s52
	s_add_i32 s38, s39, s38
	s_mul_i32 s48, s48, s52
	v_readlane_b32 s40, v231, 17
	s_add_i32 s39, s38, s48
	s_mul_i32 s38, s47, s52
	v_readlane_b32 s41, v231, 18
	v_writelane_b32 v230, s38, 8
	s_add_u32 s38, s62, s38
	s_mul_i32 s40, s49, s41
	v_writelane_b32 v230, s39, 9
	s_addc_u32 s39, s63, s39
	s_ashr_i32 s41, s40, 31
	s_add_u32 s95, s38, s40
	s_addc_u32 s98, s39, s41
	v_writelane_b32 v230, s40, 10
	s_cmp_lg_u32 s46, 0
	v_readlane_b32 s42, v231, 21
	v_writelane_b32 v230, s41, 11
	s_cbranch_scc0 .LBB14_58
; %bb.22:                               ;   in Loop: Header=BB14_14 Depth=1
	s_lshl_b32 s82, s87, 5
	v_add_u32_e32 v1, s82, v124
	v_cmp_le_i32_e32 vcc, s76, v1
	s_and_saveexec_b64 s[38:39], vcc
	s_xor_b64 s[38:39], exec, s[38:39]
	s_cbranch_execz .LBB14_24
; %bb.23:                               ;   in Loop: Header=BB14_14 Depth=1
	ds_write_b32 v138, v177
                                        ; implicit-def: $vgpr1
.LBB14_24:                              ;   in Loop: Header=BB14_14 Depth=1
	s_andn2_saveexec_b64 s[38:39], s[38:39]
	s_cbranch_execz .LBB14_26
; %bb.25:                               ;   in Loop: Header=BB14_14 Depth=1
	v_mad_u64_u32 v[2:3], s[40:41], v1, s50, v[38:39]
	v_ashrrev_i32_e32 v3, 31, v2
	v_lshlrev_b64 v[2:3], 3, v[2:3]
	v_mov_b32_e32 v1, s88
	v_add_co_u32_e32 v2, vcc, s94, v2
	v_addc_co_u32_e32 v3, vcc, v1, v3, vcc
	global_load_dwordx2 v[2:3], v[2:3], off
	s_waitcnt vmcnt(0)
	v_cvt_f16_f32_e32 v1, v2
	v_cvt_f16_f32_e32 v2, v3
	v_pack_b32_f16 v1, v1, v2
	v_pk_mul_f16 v1, v39, v1
	ds_write_b32 v138, v1
.LBB14_26:                              ;   in Loop: Header=BB14_14 Depth=1
	s_or_b64 exec, exec, s[38:39]
	v_add_u32_e32 v1, s82, v205
	v_cmp_le_i32_e32 vcc, s76, v1
	s_and_saveexec_b64 s[38:39], vcc
	s_xor_b64 s[38:39], exec, s[38:39]
	s_cbranch_execz .LBB14_28
; %bb.27:                               ;   in Loop: Header=BB14_14 Depth=1
	ds_write_b32 v138, v177 offset:1664
                                        ; implicit-def: $vgpr1
.LBB14_28:                              ;   in Loop: Header=BB14_14 Depth=1
	s_andn2_saveexec_b64 s[38:39], s[38:39]
	s_cbranch_execz .LBB14_30
; %bb.29:                               ;   in Loop: Header=BB14_14 Depth=1
	v_mad_u64_u32 v[2:3], s[40:41], v1, s50, v[38:39]
	v_ashrrev_i32_e32 v3, 31, v2
	v_lshlrev_b64 v[2:3], 3, v[2:3]
	v_mov_b32_e32 v1, s88
	v_add_co_u32_e32 v2, vcc, s94, v2
	v_addc_co_u32_e32 v3, vcc, v1, v3, vcc
	global_load_dwordx2 v[2:3], v[2:3], off
	s_waitcnt vmcnt(0)
	v_cvt_f16_f32_e32 v1, v2
	v_cvt_f16_f32_e32 v2, v3
	v_pack_b32_f16 v1, v1, v2
	v_pk_mul_f16 v1, v39, v1
	ds_write_b32 v138, v1 offset:1664
.LBB14_30:                              ;   in Loop: Header=BB14_14 Depth=1
	s_or_b64 exec, exec, s[38:39]
	v_add_u32_e32 v1, s82, v206
	v_cmp_le_i32_e32 vcc, s76, v1
	s_and_saveexec_b64 s[38:39], vcc
	s_xor_b64 s[38:39], exec, s[38:39]
	s_cbranch_execz .LBB14_32
; %bb.31:                               ;   in Loop: Header=BB14_14 Depth=1
	ds_write_b32 v138, v177 offset:3328
                                        ; implicit-def: $vgpr1
.LBB14_32:                              ;   in Loop: Header=BB14_14 Depth=1
	s_andn2_saveexec_b64 s[38:39], s[38:39]
	s_cbranch_execz .LBB14_34
; %bb.33:                               ;   in Loop: Header=BB14_14 Depth=1
	v_mad_u64_u32 v[2:3], s[40:41], v1, s50, v[38:39]
	v_ashrrev_i32_e32 v3, 31, v2
	v_lshlrev_b64 v[2:3], 3, v[2:3]
	v_mov_b32_e32 v1, s88
	v_add_co_u32_e32 v2, vcc, s94, v2
	v_addc_co_u32_e32 v3, vcc, v1, v3, vcc
	global_load_dwordx2 v[2:3], v[2:3], off
	s_waitcnt vmcnt(0)
	v_cvt_f16_f32_e32 v1, v2
	v_cvt_f16_f32_e32 v2, v3
	v_pack_b32_f16 v1, v1, v2
	v_pk_mul_f16 v1, v39, v1
	ds_write_b32 v138, v1 offset:3328
.LBB14_34:                              ;   in Loop: Header=BB14_14 Depth=1
	;; [unrolled: 27-line block ×3, first 2 shown]
	s_or_b64 exec, exec, s[38:39]
	v_add_u32_e32 v1, s82, v125
	v_cmp_le_i32_e32 vcc, s76, v1
	s_and_saveexec_b64 s[38:39], vcc
	s_xor_b64 s[38:39], exec, s[38:39]
	s_cbranch_execz .LBB14_40
; %bb.39:                               ;   in Loop: Header=BB14_14 Depth=1
	ds_write_b32 v139, v177 offset:128
                                        ; implicit-def: $vgpr1
.LBB14_40:                              ;   in Loop: Header=BB14_14 Depth=1
	s_andn2_saveexec_b64 s[38:39], s[38:39]
	s_cbranch_execz .LBB14_42
; %bb.41:                               ;   in Loop: Header=BB14_14 Depth=1
	v_mul_lo_u32 v1, v1, s50
	v_ashrrev_i32_e32 v3, 31, v1
	v_add_co_u32_e32 v2, vcc, v1, v24
	v_addc_co_u32_e32 v3, vcc, 0, v3, vcc
	v_lshlrev_b64 v[2:3], 3, v[2:3]
	v_mov_b32_e32 v1, s88
	v_add_co_u32_e32 v2, vcc, s94, v2
	v_addc_co_u32_e32 v3, vcc, v1, v3, vcc
	global_load_dwordx2 v[2:3], v[2:3], off offset:256
	s_waitcnt vmcnt(0)
	v_cvt_f16_f32_e32 v1, v2
	v_cvt_f16_f32_e32 v2, v3
	v_pack_b32_f16 v1, v1, v2
	v_pk_mul_f16 v1, v39, v1
	ds_write_b32 v139, v1 offset:128
.LBB14_42:                              ;   in Loop: Header=BB14_14 Depth=1
	s_or_b64 exec, exec, s[38:39]
	v_add_u32_e32 v1, s82, v208
	v_cmp_le_i32_e32 vcc, s76, v1
	s_and_saveexec_b64 s[38:39], vcc
	s_xor_b64 s[38:39], exec, s[38:39]
	s_cbranch_execz .LBB14_44
; %bb.43:                               ;   in Loop: Header=BB14_14 Depth=1
	ds_write_b32 v139, v177 offset:3456
                                        ; implicit-def: $vgpr1
.LBB14_44:                              ;   in Loop: Header=BB14_14 Depth=1
	s_andn2_saveexec_b64 s[38:39], s[38:39]
	s_cbranch_execz .LBB14_46
; %bb.45:                               ;   in Loop: Header=BB14_14 Depth=1
	v_mul_lo_u32 v1, v1, s50
	v_ashrrev_i32_e32 v3, 31, v1
	v_add_co_u32_e32 v2, vcc, v1, v24
	v_addc_co_u32_e32 v3, vcc, 0, v3, vcc
	v_lshlrev_b64 v[2:3], 3, v[2:3]
	v_mov_b32_e32 v1, s88
	v_add_co_u32_e32 v2, vcc, s94, v2
	v_addc_co_u32_e32 v3, vcc, v1, v3, vcc
	global_load_dwordx2 v[2:3], v[2:3], off offset:256
	s_waitcnt vmcnt(0)
	v_cvt_f16_f32_e32 v1, v2
	v_cvt_f16_f32_e32 v2, v3
	v_pack_b32_f16 v1, v1, v2
	v_pk_mul_f16 v1, v39, v1
	ds_write_b32 v139, v1 offset:3456
.LBB14_46:                              ;   in Loop: Header=BB14_14 Depth=1
	s_or_b64 exec, exec, s[38:39]
	s_waitcnt lgkmcnt(0)
	s_barrier
	ds_read2_b64 v[10:13], v129 offset1:4
	ds_read2_b64 v[6:9], v129 offset0:8 offset1:12
	ds_read2_b64 v[2:5], v129 offset0:16 offset1:20
	s_add_i32 s47, s9, -1
	s_cmp_le_i32 s47, s46
	v_mov_b32_e32 v81, 0
	s_waitcnt lgkmcnt(0)
	s_barrier
	s_cbranch_scc1 .LBB14_59
; %bb.47:                               ;   in Loop: Header=BB14_14 Depth=1
	v_lshlrev_b32_e32 v1, 1, v22
	v_add_co_u32_e32 v23, vcc, v52, v1
	v_add_u32_e32 v1, s82, v85
	v_mul_hi_u32 v14, s92, v1
	v_add_u32_e32 v14, v1, v14
	v_lshrrev_b32_e32 v14, s93, v14
	v_mul_lo_u32 v14, v14, s76
	v_sub_u32_e32 v1, v1, v14
	v_mad_i64_i32 v[14:15], s[40:41], v1, s84, 0
	v_add_u32_e32 v1, s82, v178
	v_mul_hi_u32 v16, s92, v1
	v_add_u32_e32 v16, v1, v16
	v_lshrrev_b32_e32 v16, s93, v16
	v_mul_lo_u32 v16, v16, s76
	v_sub_u32_e32 v1, v1, v16
	v_mad_i64_i32 v[16:17], s[40:41], v1, s84, 0
	;; [unrolled: 7-line block ×8, first 2 shown]
	v_and_b32_e32 v1, 64, v176
	v_addc_co_u32_e32 v25, vcc, 0, v53, vcc
	v_add_u32_e32 v1, 64, v1
	v_xor_b32_e32 v27, 32, v176
	v_cmp_lt_i32_e32 vcc, v27, v1
	v_xor_b32_e32 v29, 16, v176
	v_cndmask_b32_e32 v27, v176, v27, vcc
	v_cmp_lt_i32_e32 vcc, v29, v1
	v_cndmask_b32_e32 v1, v176, v29, vcc
	v_cmp_ne_u64_e64 s[38:39], 0, v[52:53]
	v_mov_b32_e32 v77, 0
	v_lshlrev_b32_e32 v27, 2, v27
	v_lshlrev_b32_e32 v29, 2, v1
	v_mov_b32_e32 v54, v50
	v_mov_b32_e32 v55, v50
	s_lshl_b32 s42, s46, 6
	v_mov_b32_e32 v83, 0
	v_mov_b32_e32 v215, 0xfeffffff
	v_lshlrev_b64 v[56:57], 1, v[14:15]
	v_lshlrev_b64 v[58:59], 1, v[16:17]
	;; [unrolled: 1-line block ×8, first 2 shown]
	v_mov_b32_e32 v78, 0
	v_mov_b32_e32 v76, 0
	;; [unrolled: 1-line block ×11, first 2 shown]
.LBB14_48:                              ;   Parent Loop BB14_14 Depth=1
                                        ; =>  This Inner Loop Header: Depth=2
	v_cndmask_b32_e64 v1, 0, 1, s[38:39]
	v_cmp_ne_u32_e64 s[40:41], 1, v1
	s_andn2_b64 vcc, exec, s[38:39]
	s_ashr_i32 s43, s42, 31
	s_cbranch_vccnz .LBB14_54
; %bb.49:                               ;   in Loop: Header=BB14_48 Depth=2
                                        ; implicit-def: $sgpr48
	s_and_saveexec_b64 s[44:45], s[4:5]
	s_xor_b64 s[44:45], exec, s[44:45]
	s_cbranch_execz .LBB14_51
; %bb.50:                               ;   in Loop: Header=BB14_48 Depth=2
	ds_write_b16 v126, v177 offset:13312
	ds_write_b16 v179, v177 offset:13312
	;; [unrolled: 1-line block ×4, first 2 shown]
	s_mov_b32 s48, 0
.LBB14_51:                              ;   in Loop: Header=BB14_48 Depth=2
	s_or_saveexec_b64 s[44:45], s[44:45]
	v_mov_b32_e32 v1, s48
	v_mov_b32_e32 v14, s48
	;; [unrolled: 1-line block ×4, first 2 shown]
	s_xor_b64 exec, exec, s[44:45]
	s_cbranch_execz .LBB14_53
; %bb.52:                               ;   in Loop: Header=BB14_48 Depth=2
	s_lshl_b64 s[48:49], s[42:43], 1
	v_add_co_u32_e32 v18, vcc, s48, v23
	v_mov_b32_e32 v1, s49
	v_addc_co_u32_e32 v19, vcc, v25, v1, vcc
	v_add_co_u32_e32 v14, vcc, v18, v56
	v_addc_co_u32_e32 v15, vcc, v19, v57, vcc
	flat_load_ushort v1, v[14:15]
	v_add_co_u32_e32 v14, vcc, v18, v58
	v_addc_co_u32_e32 v15, vcc, v19, v59, vcc
	flat_load_ushort v16, v[14:15]
	;; [unrolled: 3-line block ×4, first 2 shown]
	s_waitcnt vmcnt(0) lgkmcnt(0)
	ds_write_b16 v126, v1 offset:13312
	ds_write_b16 v179, v16 offset:13312
	;; [unrolled: 1-line block ×4, first 2 shown]
	v_add_co_u32_e32 v14, vcc, v18, v64
	v_addc_co_u32_e32 v15, vcc, v19, v65, vcc
	flat_load_ushort v1, v[14:15]
	v_add_co_u32_e32 v14, vcc, v18, v66
	v_addc_co_u32_e32 v15, vcc, v19, v67, vcc
	v_add_co_u32_e32 v16, vcc, v18, v68
	v_addc_co_u32_e32 v17, vcc, v19, v69, vcc
	flat_load_ushort v14, v[14:15]
	s_nop 0
	flat_load_ushort v15, v[16:17]
	v_add_co_u32_e32 v16, vcc, v18, v70
	v_addc_co_u32_e32 v17, vcc, v19, v71, vcc
	flat_load_ushort v16, v[16:17]
.LBB14_53:                              ;   in Loop: Header=BB14_48 Depth=2
	s_or_b64 exec, exec, s[44:45]
	s_waitcnt vmcnt(0) lgkmcnt(0)
	ds_write_b16 v185, v1 offset:13312
	ds_write_b16 v187, v14 offset:13312
	;; [unrolled: 1-line block ×4, first 2 shown]
.LBB14_54:                              ;   in Loop: Header=BB14_48 Depth=2
	s_mul_hi_i32 s45, s42, s90
	s_mul_i32 s44, s42, s90
	s_lshl_b64 s[44:45], s[44:45], 2
	s_add_u32 s43, s95, s44
	s_addc_u32 s44, s98, s45
	v_add_co_u32_e32 v1, vcc, s43, v34
	v_mov_b32_e32 v14, s44
	v_addc_co_u32_e32 v14, vcc, v14, v35, vcc
	v_lshlrev_b32_e32 v214, 2, v26
	v_add_co_u32_e32 v1, vcc, v1, v214
	v_addc_co_u32_e32 v14, vcc, 0, v14, vcc
	v_add_co_u32_e32 v1, vcc, s99, v1
	v_addc_co_u32_e32 v14, vcc, 0, v14, vcc
	v_mov_b32_e32 v18, s37
	v_mov_b32_e32 v19, s36
	buffer_store_dword v177, off, s[0:3], 0
	buffer_store_dword v177, off, s[0:3], 0 offset:4
	buffer_store_dword v177, off, s[0:3], 0 offset:8
	;; [unrolled: 1-line block ×3, first 2 shown]
	v_cndmask_b32_e64 v15, v18, v14, s[6:7]
	v_cndmask_b32_e64 v14, v19, v1, s[6:7]
	flat_load_dwordx4 v[14:17], v[14:15]
	v_add_co_u32_e32 v1, vcc, s43, v44
	v_lshlrev_b32_e32 v213, 2, v28
	s_waitcnt vmcnt(0) lgkmcnt(0)
	ds_write_b128 v90, v[14:17]
	v_mov_b32_e32 v14, s44
	v_addc_co_u32_e32 v14, vcc, v14, v45, vcc
	v_add_co_u32_e32 v1, vcc, v1, v213
	v_addc_co_u32_e32 v14, vcc, 0, v14, vcc
	v_cndmask_b32_e64 v15, v18, v14, s[56:57]
	v_cndmask_b32_e64 v14, v19, v1, s[56:57]
	flat_load_dwordx4 v[14:17], v[14:15]
	v_add_co_u32_e32 v1, vcc, s43, v46
	s_waitcnt vmcnt(0) lgkmcnt(0)
	ds_write_b128 v92, v[14:17]
	v_mov_b32_e32 v14, s44
	v_addc_co_u32_e32 v14, vcc, v14, v47, vcc
	v_add_co_u32_e32 v1, vcc, v1, v213
	v_addc_co_u32_e32 v14, vcc, 0, v14, vcc
	v_cndmask_b32_e64 v15, v18, v14, s[10:11]
	v_cndmask_b32_e64 v14, v19, v1, s[10:11]
	flat_load_dwordx4 v[14:17], v[14:15]
	v_add_u32_e32 v1, v49, v128
	s_and_b64 vcc, exec, s[40:41]
	s_waitcnt vmcnt(0) lgkmcnt(0)
	ds_write_b128 v193, v[14:17]
	s_waitcnt lgkmcnt(0)
	s_barrier
	ds_read2_b64 v[14:17], v1 offset1:4
	s_waitcnt lgkmcnt(0)
	v_mfma_f32_16x16x16f16 v[18:21], v[14:15], v[10:11], 0
	v_mfma_f32_16x16x16f16 v[14:17], v[16:17], v[12:13], v[18:21]
	s_nop 7
	s_nop 1
	ds_read2_b64 v[18:21], v1 offset0:8 offset1:12
	s_waitcnt lgkmcnt(0)
	v_mfma_f32_16x16x16f16 v[14:17], v[18:19], v[6:7], v[14:17]
	v_mfma_f32_16x16x16f16 v[14:17], v[20:21], v[8:9], v[14:17]
	ds_read2_b64 v[18:21], v1 offset0:16 offset1:20
	v_add_u32_e32 v1, 0x1800, v1
	s_waitcnt lgkmcnt(0)
	v_mfma_f32_16x16x16f16 v[14:17], v[18:19], v[2:3], v[14:17]
	v_mfma_f32_16x16x16f16 v[18:21], v[20:21], v[4:5], v[14:17]
	s_nop 7
	s_nop 1
	ds_read2_b64 v[14:17], v1 offset0:64 offset1:68
	s_waitcnt lgkmcnt(0)
	v_mfma_f32_16x16x16f16 v[216:219], v[14:15], v[10:11], 0
	v_mfma_f32_16x16x16f16 v[14:17], v[16:17], v[12:13], v[216:219]
	s_nop 7
	s_nop 1
	ds_read2_b64 v[216:219], v1 offset0:72 offset1:76
	s_waitcnt lgkmcnt(0)
	v_mfma_f32_16x16x16f16 v[14:17], v[216:217], v[6:7], v[14:17]
	v_mfma_f32_16x16x16f16 v[14:17], v[218:219], v[8:9], v[14:17]
	ds_read2_b64 v[216:219], v1 offset0:80 offset1:84
	s_waitcnt lgkmcnt(0)
	s_barrier
	v_mfma_f32_16x16x16f16 v[14:17], v[216:217], v[2:3], v[14:17]
	v_mfma_f32_16x16x16f16 v[14:17], v[218:219], v[4:5], v[14:17]
	s_cbranch_vccnz .LBB14_56
; %bb.55:                               ;   in Loop: Header=BB14_48 Depth=2
	v_add_u32_e32 v1, 0x3400, v130
	ds_read2_b32 v[216:217], v1 offset1:1
	ds_read_b32 v1, v132 offset:13312
	v_mov_b32_e32 v51, v50
	s_waitcnt lgkmcnt(1)
	v_cvt_f32_f16_e32 v218, v216
	v_cvt_f32_f16_sdwa v219, v216 dst_sel:DWORD dst_unused:UNUSED_PAD src0_sel:WORD_1
	v_cvt_f32_f16_e32 v216, v217
	v_cvt_f32_f16_sdwa v217, v217 dst_sel:DWORD dst_unused:UNUSED_PAD src0_sel:WORD_1
	v_pk_fma_f32 v[18:19], v[54:55], v[218:219], v[18:19]
	v_pk_fma_f32 v[20:21], v[50:51], v[216:217], v[20:21]
	s_waitcnt lgkmcnt(0)
	v_cvt_f32_f16_sdwa v217, v1 dst_sel:DWORD dst_unused:UNUSED_PAD src0_sel:WORD_1
	v_cvt_f32_f16_e32 v216, v1
	ds_read_b32 v1, v134 offset:13312
	v_pk_fma_f32 v[14:15], v[54:55], v[216:217], v[14:15]
	s_waitcnt lgkmcnt(0)
	v_cvt_f32_f16_sdwa v219, v1 dst_sel:DWORD dst_unused:UNUSED_PAD src0_sel:WORD_1
	v_cvt_f32_f16_e32 v218, v1
	v_pk_fma_f32 v[16:17], v[50:51], v[218:219], v[16:17]
.LBB14_56:                              ;   in Loop: Header=BB14_48 Depth=2
	v_add_f32_e32 v1, 0x40051340, v18
	v_max_f32_e32 v51, v215, v215
	v_max_f32_e32 v1, v51, v1
	v_cndmask_b32_e64 v1, v215, v1, s[12:13]
	v_add_f32_e32 v51, 0x40051340, v19
	v_max_f32_e32 v216, v1, v1
	v_max_f32_e32 v51, v216, v51
	v_cndmask_b32_e64 v1, v1, v51, s[14:15]
	;; [unrolled: 4-line block ×8, first 2 shown]
	ds_bpermute_b32 v51, v27, v1
	v_max_f32_e32 v1, v1, v1
	v_cndmask_b32_e64 v20, v20, v20, s[14:15]
	v_cndmask_b32_e64 v21, v21, v21, s[14:15]
	;; [unrolled: 1-line block ×3, first 2 shown]
	s_waitcnt lgkmcnt(0)
	v_max_f32_e32 v51, v51, v51
	v_max_f32_e32 v1, v1, v51
	ds_bpermute_b32 v51, v29, v1
	v_cndmask_b32_e64 v16, v16, v16, s[20:21]
	v_cndmask_b32_e64 v17, v17, v17, s[20:21]
	s_mul_hi_i32 s41, s42, s78
	s_mul_i32 s40, s42, s78
	s_waitcnt lgkmcnt(0)
	v_max_f32_e32 v51, v51, v51
	v_max_f32_e32 v1, v1, v51
	v_sub_f32_e32 v18, v18, v1
	v_mul_f32_e32 v51, 0x3fb8aa3b, v18
	v_fma_f32 v216, v18, s86, -v51
	v_rndne_f32_e32 v217, v51
	v_fmac_f32_e32 v216, 0x32a5705f, v18
	v_sub_f32_e32 v51, v51, v217
	v_add_f32_e32 v51, v51, v216
	v_exp_f32_e32 v51, v51
	v_cvt_i32_f32_e32 v216, v217
	v_cmp_ngt_f32_e32 vcc, s28, v18
	v_sub_f32_e32 v14, v14, v1
	v_sub_f32_e32 v15, v15, v1
	v_ldexp_f32 v51, v51, v216
	v_cndmask_b32_e32 v51, 0, v51, vcc
	v_cmp_nlt_f32_e32 vcc, s77, v18
	v_cndmask_b32_e32 v18, v211, v51, vcc
	v_cndmask_b32_e64 v216, 0, v18, s[12:13]
	v_sub_f32_e32 v18, v19, v1
	v_mul_f32_e32 v19, 0x3fb8aa3b, v18
	v_fma_f32 v51, v18, s86, -v19
	v_rndne_f32_e32 v217, v19
	v_fmac_f32_e32 v51, 0x32a5705f, v18
	v_sub_f32_e32 v19, v19, v217
	v_add_f32_e32 v19, v19, v51
	v_exp_f32_e32 v19, v19
	v_cvt_i32_f32_e32 v51, v217
	v_cmp_ngt_f32_e32 vcc, s28, v18
	s_lshl_b64 s[44:45], s[40:41], 2
	s_add_u32 s41, s81, s44
	v_ldexp_f32 v19, v19, v51
	v_cndmask_b32_e32 v19, 0, v19, vcc
	v_cmp_nlt_f32_e32 vcc, s77, v18
	v_cndmask_b32_e32 v18, v211, v19, vcc
	v_mov_b32_e32 v19, s89
	v_add_f32_e32 v51, v18, v216
	v_cndmask_b32_e64 v217, v19, v18, s[14:15]
	v_sub_f32_e32 v18, v20, v1
	v_mul_f32_e32 v20, 0x3fb8aa3b, v18
	v_cndmask_b32_e64 v19, v216, v51, s[14:15]
	v_fma_f32 v51, v18, s86, -v20
	v_rndne_f32_e32 v218, v20
	v_fmac_f32_e32 v51, 0x32a5705f, v18
	v_sub_f32_e32 v20, v20, v218
	v_add_f32_e32 v20, v20, v51
	v_exp_f32_e32 v20, v20
	v_cvt_i32_f32_e32 v51, v218
	v_cmp_ngt_f32_e32 vcc, s28, v18
	s_addc_u32 s40, s83, s45
	buffer_store_dword v177, off, s[0:3], 0
	buffer_store_dword v177, off, s[0:3], 0 offset:4
	buffer_store_dword v177, off, s[0:3], 0 offset:8
	;; [unrolled: 1-line block ×3, first 2 shown]
	v_ldexp_f32 v20, v20, v51
	v_cndmask_b32_e32 v20, 0, v20, vcc
	v_cmp_nlt_f32_e32 vcc, s77, v18
	v_cndmask_b32_e32 v20, v211, v20, vcc
	v_add_f32_e32 v51, v19, v20
	v_mov_b32_e32 v18, s89
	v_cndmask_b32_e64 v218, v18, v20, s[16:17]
	v_cndmask_b32_e64 v18, v19, v51, s[16:17]
	v_sub_f32_e32 v19, v21, v1
	v_mul_f32_e32 v20, 0x3fb8aa3b, v19
	v_fma_f32 v21, v19, s86, -v20
	v_rndne_f32_e32 v51, v20
	v_fmac_f32_e32 v21, 0x32a5705f, v19
	v_sub_f32_e32 v20, v20, v51
	v_add_f32_e32 v20, v20, v21
	v_exp_f32_e32 v20, v20
	v_cvt_i32_f32_e32 v21, v51
	v_cmp_ngt_f32_e32 vcc, s28, v19
	s_add_i32 s46, s46, 1
	s_add_i32 s42, s42, 64
	v_ldexp_f32 v20, v20, v21
	v_cndmask_b32_e32 v20, 0, v20, vcc
	v_cmp_nlt_f32_e32 vcc, s77, v19
	v_cndmask_b32_e32 v20, v211, v20, vcc
	v_mov_b32_e32 v19, s89
	v_add_f32_e32 v21, v18, v20
	v_cndmask_b32_e64 v219, v19, v20, s[18:19]
	v_mul_f32_e32 v19, 0x3fb8aa3b, v14
	v_cndmask_b32_e64 v18, v18, v21, s[18:19]
	v_fma_f32 v20, v14, s86, -v19
	v_rndne_f32_e32 v21, v19
	v_fmac_f32_e32 v20, 0x32a5705f, v14
	v_sub_f32_e32 v19, v19, v21
	v_add_f32_e32 v19, v19, v20
	v_exp_f32_e32 v19, v19
	v_cvt_i32_f32_e32 v20, v21
	v_cmp_ngt_f32_e32 vcc, s28, v14
	s_cmp_lt_i32 s46, s47
	v_ldexp_f32 v19, v19, v20
	v_cndmask_b32_e32 v19, 0, v19, vcc
	v_cmp_nlt_f32_e32 vcc, s77, v14
	v_cndmask_b32_e32 v19, v211, v19, vcc
	v_add_f32_e32 v20, v19, v18
	v_mov_b32_e32 v14, s89
	v_cndmask_b32_e64 v220, v14, v19, s[20:21]
	v_cndmask_b32_e64 v14, v18, v20, s[20:21]
	v_mul_f32_e32 v18, 0x3fb8aa3b, v15
	v_fma_f32 v19, v15, s86, -v18
	v_rndne_f32_e32 v20, v18
	v_fmac_f32_e32 v19, 0x32a5705f, v15
	v_sub_f32_e32 v18, v18, v20
	v_add_f32_e32 v18, v18, v19
	v_exp_f32_e32 v18, v18
	v_cvt_i32_f32_e32 v19, v20
	v_cmp_ngt_f32_e32 vcc, s28, v15
	v_ldexp_f32 v18, v18, v19
	v_cndmask_b32_e32 v18, 0, v18, vcc
	v_cmp_nlt_f32_e32 vcc, s77, v15
	v_cndmask_b32_e32 v18, v211, v18, vcc
	v_add_f32_e32 v19, v18, v14
	v_mov_b32_e32 v15, s89
	v_cndmask_b32_e64 v221, v15, v18, s[22:23]
	v_cndmask_b32_e64 v15, v14, v19, s[22:23]
	v_sub_f32_e32 v14, v16, v1
	v_mul_f32_e32 v16, 0x3fb8aa3b, v14
	v_fma_f32 v18, v14, s86, -v16
	v_rndne_f32_e32 v19, v16
	v_fmac_f32_e32 v18, 0x32a5705f, v14
	v_sub_f32_e32 v16, v16, v19
	v_add_f32_e32 v16, v16, v18
	v_exp_f32_e32 v16, v16
	v_cvt_i32_f32_e32 v18, v19
	v_cmp_ngt_f32_e32 vcc, s28, v14
	v_ldexp_f32 v16, v16, v18
	v_cndmask_b32_e32 v16, 0, v16, vcc
	v_cmp_nlt_f32_e32 vcc, s77, v14
	v_cndmask_b32_e32 v16, v211, v16, vcc
	v_add_f32_e32 v18, v16, v15
	v_mov_b32_e32 v14, s89
	v_cndmask_b32_e64 v222, v14, v16, s[24:25]
	v_cndmask_b32_e64 v14, v15, v18, s[24:25]
	v_sub_f32_e32 v15, v17, v1
	v_mul_f32_e32 v16, 0x3fb8aa3b, v15
	v_fma_f32 v17, v15, s86, -v16
	v_rndne_f32_e32 v18, v16
	v_fmac_f32_e32 v17, 0x32a5705f, v15
	v_sub_f32_e32 v16, v16, v18
	v_add_f32_e32 v16, v16, v17
	v_exp_f32_e32 v16, v16
	v_cvt_i32_f32_e32 v17, v18
	v_cmp_ngt_f32_e32 vcc, s28, v15
	v_ldexp_f32 v16, v16, v17
	v_cndmask_b32_e32 v16, 0, v16, vcc
	v_cmp_nlt_f32_e32 vcc, s77, v15
	v_cndmask_b32_e32 v16, v211, v16, vcc
	v_add_f32_e32 v17, v16, v14
	v_mov_b32_e32 v15, s89
	v_cndmask_b32_e64 v18, v14, v17, s[26:27]
	v_sub_f32_e32 v14, v215, v1
	v_cndmask_b32_e64 v15, v15, v16, s[26:27]
	v_mul_f32_e32 v16, 0x3fb8aa3b, v14
	v_fma_f32 v17, v14, s86, -v16
	v_rndne_f32_e32 v19, v16
	v_fmac_f32_e32 v17, 0x32a5705f, v14
	v_sub_f32_e32 v16, v16, v19
	v_add_f32_e32 v16, v16, v17
	v_exp_f32_e32 v16, v16
	v_cvt_i32_f32_e32 v17, v19
	v_cmp_ngt_f32_e32 vcc, s28, v14
	v_cvt_f16_f32_e32 v15, v15
	v_ldexp_f32 v16, v16, v17
	v_cndmask_b32_e32 v16, 0, v16, vcc
	v_cmp_nlt_f32_e32 vcc, s77, v14
	v_cndmask_b32_e32 v16, v211, v16, vcc
	v_cmp_le_f32_e32 vcc, s29, v14
	v_cndmask_b32_e32 v14, 0, v16, vcc
	v_fmac_f32_e32 v18, v83, v14
	v_cvt_f16_f32_e32 v14, v14
	v_cvt_f16_f32_e32 v16, v217
	;; [unrolled: 1-line block ×3, first 2 shown]
	v_pk_mul_f16 v72, v14, v72 op_sel_hi:[0,1]
	v_pk_mul_f16 v37, v14, v37 op_sel_hi:[0,1]
	;; [unrolled: 1-line block ×12, first 2 shown]
	v_cvt_f16_f32_e32 v14, v216
	v_cvt_f16_f32_e32 v78, v221
	v_mov_b32_e32 v79, s40
	v_mov_b32_e32 v82, s37
	v_pack_b32_f16 v16, v14, v16
	v_cvt_f16_f32_e32 v14, v218
	v_pack_b32_f16 v17, v14, v17
	v_cvt_f16_f32_e32 v14, v220
	;; [unrolled: 2-line block ×3, first 2 shown]
	v_pack_b32_f16 v15, v78, v15
	v_add_co_u32_e32 v78, vcc, s41, v32
	v_addc_co_u32_e32 v79, vcc, v79, v33, vcc
	v_add_co_u32_e32 v78, vcc, v78, v214
	v_addc_co_u32_e32 v79, vcc, 0, v79, vcc
	;; [unrolled: 2-line block ×3, first 2 shown]
	v_mov_b32_e32 v214, s36
	v_cndmask_b32_e64 v79, v82, v79, s[6:7]
	v_cndmask_b32_e64 v78, v214, v78, s[6:7]
	flat_load_dwordx4 v[78:81], v[78:79]
	s_waitcnt vmcnt(0) lgkmcnt(0)
	ds_write_b128 v90, v[78:81]
	v_add_co_u32_e32 v78, vcc, s41, v40
	v_mov_b32_e32 v79, s40
	v_addc_co_u32_e32 v79, vcc, v79, v41, vcc
	v_add_co_u32_e32 v78, vcc, v78, v213
	v_addc_co_u32_e32 v79, vcc, 0, v79, vcc
	v_cndmask_b32_e64 v79, v82, v79, s[56:57]
	v_cndmask_b32_e64 v78, v214, v78, s[56:57]
	flat_load_dwordx4 v[78:81], v[78:79]
	s_waitcnt vmcnt(0) lgkmcnt(0)
	ds_write_b128 v92, v[78:81]
	v_add_co_u32_e32 v78, vcc, s41, v42
	v_mov_b32_e32 v79, s40
	v_addc_co_u32_e32 v79, vcc, v79, v43, vcc
	v_add_co_u32_e32 v78, vcc, v78, v213
	v_addc_co_u32_e32 v79, vcc, 0, v79, vcc
	v_cndmask_b32_e64 v79, v82, v79, s[10:11]
	v_cndmask_b32_e64 v78, v214, v78, s[10:11]
	flat_load_dwordx4 v[78:81], v[78:79]
	s_waitcnt vmcnt(0) lgkmcnt(0)
	ds_write_b128 v193, v[78:81]
	s_waitcnt lgkmcnt(0)
	s_barrier
	ds_read_u16 v82, v94 offset:208
	ds_read_u16 v213, v94 offset:416
	v_cvt_f32_f16_e32 v80, v37
	v_cvt_f32_f16_sdwa v81, v37 dst_sel:DWORD dst_unused:UNUSED_PAD src0_sel:WORD_1
	ds_read_u16 v37, v95
	ds_read_u16 v216, v95 offset:32
	v_cvt_f32_f16_e32 v78, v72
	v_cvt_f32_f16_sdwa v79, v72 dst_sel:DWORD dst_unused:UNUSED_PAD src0_sel:WORD_1
	s_waitcnt lgkmcnt(1)
	v_perm_b32 v215, v37, v213, s80
	ds_read_u16 v37, v93
	ds_read_u16 v213, v93 offset:32
	s_waitcnt lgkmcnt(1)
	v_perm_b32 v214, v82, v37, s80
	s_nop 1
	v_mfma_f32_16x16x16f16 v[78:81], v[214:215], v[16:17], v[78:81]
	ds_read_u16 v82, v93 offset:6656
	ds_read_u16 v214, v194 offset:208
	;; [unrolled: 1-line block ×4, first 2 shown]
	s_waitcnt lgkmcnt(2)
	v_perm_b32 v214, v214, v82, s80
	s_waitcnt lgkmcnt(0)
	v_perm_b32 v215, v217, v215, s80
	v_cvt_f32_f16_sdwa v217, v19 dst_sel:DWORD dst_unused:UNUSED_PAD src0_sel:WORD_1
	s_nop 1
	v_cvt_f16_f32_e32 v37, v78
	v_cvt_f16_f32_e32 v72, v79
	;; [unrolled: 1-line block ×4, first 2 shown]
	v_cvt_f32_f16_e32 v78, v37
	v_cvt_f32_f16_e32 v79, v72
	;; [unrolled: 1-line block ×4, first 2 shown]
	s_nop 1
	v_mfma_f32_16x16x16f16 v[78:81], v[214:215], v[14:15], v[78:81]
	ds_read_u16 v82, v195 offset:208
	ds_read_u16 v214, v195 offset:416
	s_waitcnt lgkmcnt(0)
	v_perm_b32 v215, v216, v214, s80
	v_perm_b32 v214, v82, v213, s80
	s_nop 5
	v_cvt_f16_f32_e32 v37, v78
	v_cvt_f16_f32_e32 v72, v79
	;; [unrolled: 1-line block ×4, first 2 shown]
	v_cvt_f32_f16_e32 v80, v73
	v_pack_b32_f16 v72, v37, v72
	v_cvt_f32_f16_sdwa v81, v73 dst_sel:DWORD dst_unused:UNUSED_PAD src0_sel:WORD_1
	v_pack_b32_f16 v37, v78, v79
	v_cvt_f32_f16_e32 v78, v74
	v_cvt_f32_f16_sdwa v79, v74 dst_sel:DWORD dst_unused:UNUSED_PAD src0_sel:WORD_1
	s_nop 1
	v_mfma_f32_16x16x16f16 v[78:81], v[214:215], v[16:17], v[78:81]
	ds_read_u16 v82, v96 offset:6656
	ds_read_u16 v213, v97 offset:208
	;; [unrolled: 1-line block ×4, first 2 shown]
	s_waitcnt lgkmcnt(0)
	v_perm_b32 v215, v215, v214, s80
	v_perm_b32 v214, v213, v82, s80
	s_nop 3
	v_cvt_f16_f32_e32 v73, v78
	v_cvt_f16_f32_e32 v74, v79
	;; [unrolled: 1-line block ×4, first 2 shown]
	v_cvt_f32_f16_e32 v78, v73
	v_cvt_f32_f16_e32 v79, v74
	;; [unrolled: 1-line block ×4, first 2 shown]
	s_nop 1
	v_mfma_f32_16x16x16f16 v[78:81], v[214:215], v[14:15], v[78:81]
	ds_read_u16 v82, v93 offset:64
	ds_read_u16 v213, v196 offset:208
	;; [unrolled: 1-line block ×4, first 2 shown]
	s_waitcnt lgkmcnt(0)
	v_perm_b32 v215, v215, v214, s80
	v_perm_b32 v214, v213, v82, s80
	s_nop 3
	v_cvt_f16_f32_e32 v73, v78
	v_cvt_f16_f32_e32 v74, v79
	;; [unrolled: 1-line block ×4, first 2 shown]
	v_cvt_f32_f16_e32 v80, v75
	v_pack_b32_f16 v74, v73, v74
	v_cvt_f32_f16_sdwa v81, v75 dst_sel:DWORD dst_unused:UNUSED_PAD src0_sel:WORD_1
	v_pack_b32_f16 v73, v78, v79
	v_cvt_f32_f16_e32 v78, v76
	v_cvt_f32_f16_sdwa v79, v76 dst_sel:DWORD dst_unused:UNUSED_PAD src0_sel:WORD_1
	s_nop 1
	v_mfma_f32_16x16x16f16 v[78:81], v[214:215], v[16:17], v[78:81]
	ds_read_u16 v82, v99 offset:6656
	ds_read_u16 v213, v100 offset:208
	;; [unrolled: 1-line block ×4, first 2 shown]
	s_waitcnt lgkmcnt(0)
	v_perm_b32 v215, v215, v214, s80
	v_perm_b32 v214, v213, v82, s80
	s_nop 3
	v_cvt_f16_f32_e32 v75, v78
	v_cvt_f16_f32_e32 v76, v79
	;; [unrolled: 1-line block ×4, first 2 shown]
	v_cvt_f32_f16_e32 v78, v75
	v_cvt_f32_f16_e32 v79, v76
	;; [unrolled: 1-line block ×4, first 2 shown]
	s_nop 1
	v_mfma_f32_16x16x16f16 v[78:81], v[214:215], v[14:15], v[78:81]
	ds_read_u16 v82, v93 offset:96
	ds_read_u16 v213, v197 offset:208
	;; [unrolled: 1-line block ×4, first 2 shown]
	s_waitcnt lgkmcnt(2)
	v_perm_b32 v82, v213, v82, s80
	s_nop 4
	v_cvt_f16_f32_e32 v75, v78
	v_cvt_f16_f32_e32 v76, v79
	v_cvt_f16_f32_e32 v78, v80
	v_cvt_f16_f32_e32 v79, v81
	v_cvt_f32_f16_e32 v80, v77
	v_pack_b32_f16 v76, v75, v76
	v_cvt_f32_f16_sdwa v81, v77 dst_sel:DWORD dst_unused:UNUSED_PAD src0_sel:WORD_1
	v_pack_b32_f16 v75, v78, v79
	v_cvt_f32_f16_e32 v78, v83
	v_cvt_f32_f16_sdwa v79, v83 dst_sel:DWORD dst_unused:UNUSED_PAD src0_sel:WORD_1
	s_waitcnt lgkmcnt(0)
	v_perm_b32 v83, v215, v214, s80
	s_nop 1
	v_mfma_f32_16x16x16f16 v[78:81], v[82:83], v[16:17], v[78:81]
	ds_read_u16 v82, v102 offset:6656
	ds_read_u16 v213, v103 offset:208
	;; [unrolled: 1-line block ×4, first 2 shown]
	s_waitcnt lgkmcnt(2)
	v_perm_b32 v82, v213, v82, s80
	s_waitcnt lgkmcnt(0)
	v_perm_b32 v83, v214, v83, s80
	s_nop 2
	v_cvt_f16_f32_e32 v77, v78
	v_cvt_f16_f32_e32 v79, v79
	;; [unrolled: 1-line block ×4, first 2 shown]
	v_cvt_f32_f16_e32 v78, v77
	v_cvt_f32_f16_e32 v79, v79
	;; [unrolled: 1-line block ×4, first 2 shown]
	s_nop 1
	v_mfma_f32_16x16x16f16 v[78:81], v[82:83], v[14:15], v[78:81]
	v_cvt_f32_f16_e32 v82, v21
	v_cvt_f32_f16_sdwa v83, v21 dst_sel:DWORD dst_unused:UNUSED_PAD src0_sel:WORD_1
	s_nop 7
	s_nop 0
	v_cvt_f16_f32_e32 v77, v78
	v_cvt_f16_f32_e32 v78, v79
	;; [unrolled: 1-line block ×4, first 2 shown]
	v_cvt_f32_f16_sdwa v81, v51 dst_sel:DWORD dst_unused:UNUSED_PAD src0_sel:WORD_1
	v_pack_b32_f16 v77, v77, v78
	v_pack_b32_f16 v78, v79, v80
	ds_read_u16 v79, v93 offset:128
	ds_read_u16 v213, v198 offset:208
	ds_read_u16 v214, v198 offset:416
	ds_read_u16 v215, v95 offset:128
	v_cvt_f32_f16_e32 v80, v51
	s_waitcnt lgkmcnt(0)
	v_perm_b32 v215, v215, v214, s80
	v_perm_b32 v214, v213, v79, s80
	s_nop 1
	v_mfma_f32_16x16x16f16 v[80:83], v[214:215], v[16:17], v[80:83]
	ds_read_u16 v213, v105 offset:6656
	ds_read_u16 v214, v106 offset:208
	;; [unrolled: 1-line block ×4, first 2 shown]
	s_waitcnt lgkmcnt(2)
	v_perm_b32 v214, v214, v213, s80
	s_waitcnt lgkmcnt(0)
	v_perm_b32 v215, v216, v215, s80
	v_cvt_f32_f16_e32 v216, v19
	s_nop 1
	v_cvt_f16_f32_e32 v21, v80
	v_cvt_f16_f32_e32 v51, v81
	;; [unrolled: 1-line block ×4, first 2 shown]
	v_cvt_f32_f16_e32 v80, v21
	v_cvt_f32_f16_e32 v81, v51
	;; [unrolled: 1-line block ×4, first 2 shown]
	s_nop 1
	v_mfma_f32_16x16x16f16 v[80:83], v[214:215], v[14:15], v[80:83]
	v_cvt_f32_f16_e32 v214, v20
	v_cvt_f32_f16_sdwa v215, v20 dst_sel:DWORD dst_unused:UNUSED_PAD src0_sel:WORD_1
	s_nop 7
	s_nop 0
	v_cvt_f16_f32_e32 v21, v80
	v_cvt_f16_f32_e32 v51, v81
	;; [unrolled: 1-line block ×4, first 2 shown]
	v_pack_b32_f16 v80, v21, v51
	v_pack_b32_f16 v79, v79, v81
	ds_read_u16 v51, v93 offset:160
	ds_read_u16 v81, v199 offset:208
	;; [unrolled: 1-line block ×4, first 2 shown]
	s_waitcnt lgkmcnt(2)
	v_perm_b32 v20, v81, v51, s80
	s_waitcnt lgkmcnt(0)
	v_perm_b32 v21, v82, v21, s80
	s_nop 1
	v_mfma_f32_16x16x16f16 v[214:217], v[20:21], v[16:17], v[214:217]
	ds_read_u16 v21, v108 offset:6656
	ds_read_u16 v51, v109 offset:208
	;; [unrolled: 1-line block ×4, first 2 shown]
	s_waitcnt lgkmcnt(0)
	s_barrier
	s_nop 4
	v_cvt_f16_f32_e32 v16, v214
	v_cvt_f16_f32_e32 v17, v215
	;; [unrolled: 1-line block ×4, first 2 shown]
	v_cvt_f32_f16_e32 v214, v16
	v_cvt_f32_f16_e32 v215, v17
	v_perm_b32 v17, v82, v81, s80
	v_perm_b32 v16, v51, v21, s80
	v_cvt_f32_f16_e32 v216, v19
	v_cvt_f32_f16_e32 v217, v20
	s_nop 1
	v_mfma_f32_16x16x16f16 v[14:17], v[16:17], v[14:15], v[214:217]
	s_nop 7
	s_nop 2
	v_cvt_f16_f32_e32 v14, v14
	v_cvt_f16_f32_e32 v15, v15
	;; [unrolled: 1-line block ×4, first 2 shown]
	v_pack_b32_f16 v82, v14, v15
	v_pack_b32_f16 v81, v16, v17
	s_cbranch_scc0 .LBB14_60
; %bb.57:                               ;   in Loop: Header=BB14_48 Depth=2
	v_mov_b32_e32 v83, v18
	v_mov_b32_e32 v215, v1
	s_branch .LBB14_48
.LBB14_58:                              ;   in Loop: Header=BB14_14 Depth=1
	s_cbranch_execz .LBB14_13
	s_branch .LBB14_140
.LBB14_59:                              ;   in Loop: Header=BB14_14 Depth=1
	v_mov_b32_e32 v18, 0
	v_mov_b32_e32 v1, 0xfeffffff
	v_mov_b32_e32 v82, 0
	v_mov_b32_e32 v79, 0
	v_mov_b32_e32 v80, 0
	v_mov_b32_e32 v37, 0
	v_mov_b32_e32 v72, 0
	v_mov_b32_e32 v73, 0
	v_mov_b32_e32 v74, 0
	v_mov_b32_e32 v75, 0
	v_mov_b32_e32 v76, 0
	v_mov_b32_e32 v78, 0
	v_mov_b32_e32 v77, 0
.LBB14_60:                              ;   in Loop: Header=BB14_14 Depth=1
	s_lshl_b32 s46, s46, 6
	v_readlane_b32 s38, v231, 4
	v_cmp_eq_u64_e32 vcc, 0, v[52:53]
	s_sub_i32 s58, s38, s46
	v_cmp_ne_u64_e64 s[44:45], 0, v[52:53]
	s_ashr_i32 s47, s46, 31
	v_readlane_b32 s39, v231, 5
	s_cbranch_vccnz .LBB14_70
; %bb.61:                               ;   in Loop: Header=BB14_14 Depth=1
	v_cmp_le_i32_e32 vcc, s58, v22
                                        ; implicit-def: $sgpr42
	s_and_saveexec_b64 s[38:39], vcc
	s_xor_b64 s[38:39], exec, s[38:39]
	s_cbranch_execz .LBB14_63
; %bb.62:                               ;   in Loop: Header=BB14_14 Depth=1
	ds_write_b16 v126, v177 offset:13312
	ds_write_b16 v179, v177 offset:13312
	s_mov_b32 s42, 0
.LBB14_63:                              ;   in Loop: Header=BB14_14 Depth=1
	s_or_saveexec_b64 s[40:41], s[38:39]
	s_lshl_b64 s[38:39], s[46:47], 1
	v_mov_b32_e32 v14, s39
	v_add_co_u32_e64 v15, s[38:39], s38, v52
	v_addc_co_u32_e64 v16, s[38:39], v53, v14, s[38:39]
	v_lshlrev_b32_e32 v14, 1, v22
	v_add_co_u32_e64 v14, s[38:39], v15, v14
	v_addc_co_u32_e64 v15, s[38:39], 0, v16, s[38:39]
	v_mov_b32_e32 v16, s42
	v_mov_b32_e32 v17, s42
	s_xor_b64 exec, exec, s[40:41]
	s_cbranch_execz .LBB14_65
; %bb.64:                               ;   in Loop: Header=BB14_14 Depth=1
	v_add_u32_e32 v16, s82, v85
	v_mul_hi_u32 v17, s92, v16
	v_add_u32_e32 v17, v16, v17
	v_lshrrev_b32_e32 v17, s93, v17
	v_mul_lo_u32 v17, v17, s76
	v_sub_u32_e32 v16, v16, v17
	v_mad_i64_i32 v[16:17], s[38:39], v16, s84, 0
	v_lshlrev_b64 v[16:17], 1, v[16:17]
	v_add_co_u32_e64 v16, s[38:39], v14, v16
	v_addc_co_u32_e64 v17, s[38:39], v15, v17, s[38:39]
	flat_load_ushort v19, v[16:17]
	v_add_u32_e32 v16, s82, v178
	v_mul_hi_u32 v17, s92, v16
	v_add_u32_e32 v17, v16, v17
	v_lshrrev_b32_e32 v17, s93, v17
	v_mul_lo_u32 v17, v17, s76
	v_sub_u32_e32 v16, v16, v17
	v_mad_i64_i32 v[16:17], s[38:39], v16, s84, 0
	v_lshlrev_b64 v[16:17], 1, v[16:17]
	v_add_co_u32_e64 v16, s[38:39], v14, v16
	v_addc_co_u32_e64 v17, s[38:39], v15, v17, s[38:39]
	flat_load_ushort v16, v[16:17]
	s_waitcnt vmcnt(0) lgkmcnt(0)
	ds_write_b16 v126, v19 offset:13312
	ds_write_b16 v179, v16 offset:13312
	v_add_u32_e32 v16, s82, v180
	v_mul_hi_u32 v17, s92, v16
	v_add_u32_e32 v17, v16, v17
	v_lshrrev_b32_e32 v17, s93, v17
	v_mul_lo_u32 v17, v17, s76
	v_sub_u32_e32 v16, v16, v17
	v_mad_i64_i32 v[16:17], s[38:39], v16, s84, 0
	v_lshlrev_b64 v[16:17], 1, v[16:17]
	v_add_co_u32_e64 v16, s[38:39], v14, v16
	v_addc_co_u32_e64 v17, s[38:39], v15, v17, s[38:39]
	flat_load_ushort v16, v[16:17]
	v_add_u32_e32 v17, s82, v182
	v_mul_hi_u32 v19, s92, v17
	v_add_u32_e32 v19, v17, v19
	v_lshrrev_b32_e32 v19, s93, v19
	v_mul_lo_u32 v19, v19, s76
	v_sub_u32_e32 v17, v17, v19
	v_mad_i64_i32 v[20:21], s[38:39], v17, s84, 0
	v_lshlrev_b64 v[20:21], 1, v[20:21]
	v_add_co_u32_e64 v20, s[38:39], v14, v20
	v_addc_co_u32_e64 v21, s[38:39], v15, v21, s[38:39]
	flat_load_ushort v17, v[20:21]
.LBB14_65:                              ;   in Loop: Header=BB14_14 Depth=1
	s_or_b64 exec, exec, s[40:41]
	s_waitcnt vmcnt(0) lgkmcnt(0)
	ds_write_b16 v181, v16 offset:13312
	ds_write_b16 v183, v17 offset:13312
                                        ; implicit-def: $sgpr40
	s_and_saveexec_b64 s[38:39], vcc
	s_xor_b64 s[38:39], exec, s[38:39]
	s_cbranch_execz .LBB14_67
; %bb.66:                               ;   in Loop: Header=BB14_14 Depth=1
	ds_write_b16 v185, v177 offset:13312
	ds_write_b16 v187, v177 offset:13312
	s_mov_b32 s40, 0
                                        ; implicit-def: $vgpr14
                                        ; implicit-def: $vgpr15
.LBB14_67:                              ;   in Loop: Header=BB14_14 Depth=1
	s_or_saveexec_b64 s[38:39], s[38:39]
	v_mov_b32_e32 v16, s40
	v_mov_b32_e32 v17, s40
	s_xor_b64 exec, exec, s[38:39]
	s_cbranch_execz .LBB14_69
; %bb.68:                               ;   in Loop: Header=BB14_14 Depth=1
	v_add_u32_e32 v16, s82, v184
	v_mul_hi_u32 v17, s92, v16
	v_add_u32_e32 v17, v16, v17
	v_lshrrev_b32_e32 v17, s93, v17
	v_mul_lo_u32 v17, v17, s76
	v_sub_u32_e32 v16, v16, v17
	v_mad_i64_i32 v[16:17], s[40:41], v16, s84, 0
	v_lshlrev_b64 v[16:17], 1, v[16:17]
	v_add_co_u32_e32 v16, vcc, v14, v16
	v_addc_co_u32_e32 v17, vcc, v15, v17, vcc
	flat_load_ushort v19, v[16:17]
	v_add_u32_e32 v16, s82, v186
	v_mul_hi_u32 v17, s92, v16
	v_add_u32_e32 v17, v16, v17
	v_lshrrev_b32_e32 v17, s93, v17
	v_mul_lo_u32 v17, v17, s76
	v_sub_u32_e32 v16, v16, v17
	v_mad_i64_i32 v[16:17], s[40:41], v16, s84, 0
	v_lshlrev_b64 v[16:17], 1, v[16:17]
	v_add_co_u32_e32 v16, vcc, v14, v16
	v_addc_co_u32_e32 v17, vcc, v15, v17, vcc
	flat_load_ushort v16, v[16:17]
	s_waitcnt vmcnt(0) lgkmcnt(0)
	ds_write_b16 v185, v19 offset:13312
	ds_write_b16 v187, v16 offset:13312
	v_add_u32_e32 v16, s82, v188
	v_mul_hi_u32 v17, s92, v16
	v_add_u32_e32 v17, v16, v17
	v_lshrrev_b32_e32 v17, s93, v17
	v_mul_lo_u32 v17, v17, s76
	v_sub_u32_e32 v16, v16, v17
	v_mad_i64_i32 v[16:17], s[40:41], v16, s84, 0
	v_lshlrev_b64 v[16:17], 1, v[16:17]
	v_add_co_u32_e32 v16, vcc, v14, v16
	v_addc_co_u32_e32 v17, vcc, v15, v17, vcc
	flat_load_ushort v16, v[16:17]
	v_add_u32_e32 v17, s82, v190
	v_mul_hi_u32 v19, s92, v17
	v_add_u32_e32 v19, v17, v19
	v_lshrrev_b32_e32 v19, s93, v19
	v_mul_lo_u32 v19, v19, s76
	v_sub_u32_e32 v17, v17, v19
	v_mad_i64_i32 v[20:21], s[40:41], v17, s84, 0
	v_lshlrev_b64 v[20:21], 1, v[20:21]
	v_add_co_u32_e32 v14, vcc, v14, v20
	v_addc_co_u32_e32 v15, vcc, v15, v21, vcc
	flat_load_ushort v17, v[14:15]
.LBB14_69:                              ;   in Loop: Header=BB14_14 Depth=1
	s_or_b64 exec, exec, s[38:39]
	s_waitcnt vmcnt(0) lgkmcnt(0)
	ds_write_b16 v189, v16 offset:13312
	ds_write_b16 v191, v17 offset:13312
.LBB14_70:                              ;   in Loop: Header=BB14_14 Depth=1
	s_mul_hi_i32 s39, s46, s90
	s_mul_i32 s38, s46, s90
	s_lshl_b64 s[38:39], s[38:39], 2
	s_add_u32 s38, s95, s38
	s_addc_u32 s39, s98, s39
	v_mov_b32_e32 v14, s39
	v_add_co_u32_e32 v16, vcc, s38, v34
	v_addc_co_u32_e32 v14, vcc, v14, v35, vcc
	v_lshlrev_b32_e32 v15, 2, v26
	v_add_co_u32_e32 v16, vcc, v16, v15
	v_addc_co_u32_e32 v14, vcc, 0, v14, vcc
	v_add_co_u32_e32 v16, vcc, s99, v16
	v_addc_co_u32_e32 v14, vcc, 0, v14, vcc
	v_mov_b32_e32 v19, s37
	v_cmp_gt_i32_e64 s[42:43], s58, v89
	v_mov_b32_e32 v20, s36
	buffer_store_dword v177, off, s[0:3], 0
	buffer_store_dword v177, off, s[0:3], 0 offset:4
	buffer_store_dword v177, off, s[0:3], 0 offset:8
	;; [unrolled: 1-line block ×3, first 2 shown]
	v_cndmask_b32_e64 v17, v19, v14, s[42:43]
	v_cndmask_b32_e64 v16, v20, v16, s[42:43]
	flat_load_dwordx4 v[54:57], v[16:17]
	v_mov_b32_e32 v16, s39
	v_add_co_u32_e32 v17, vcc, s38, v44
	v_lshlrev_b32_e32 v14, 2, v28
	v_addc_co_u32_e32 v16, vcc, v16, v45, vcc
	v_add_co_u32_e32 v21, vcc, v17, v14
	v_addc_co_u32_e32 v16, vcc, 0, v16, vcc
	v_cmp_gt_i32_e64 s[40:41], s58, v91
	v_cndmask_b32_e64 v17, v19, v16, s[40:41]
	v_cndmask_b32_e64 v16, v20, v21, s[40:41]
	s_waitcnt vmcnt(0) lgkmcnt(0)
	ds_write_b128 v90, v[54:57]
	flat_load_dwordx4 v[54:57], v[16:17]
	v_mov_b32_e32 v16, s39
	v_add_co_u32_e32 v17, vcc, s38, v46
	v_addc_co_u32_e32 v16, vcc, v16, v47, vcc
	v_add_co_u32_e32 v21, vcc, v17, v14
	v_addc_co_u32_e32 v16, vcc, 0, v16, vcc
	v_cmp_gt_i32_e64 s[38:39], s58, v192
	v_cndmask_b32_e64 v17, v19, v16, s[38:39]
	v_cndmask_b32_e64 v16, v20, v21, s[38:39]
	s_andn2_b64 vcc, exec, s[44:45]
	s_waitcnt vmcnt(0) lgkmcnt(0)
	ds_write_b128 v92, v[54:57]
	flat_load_dwordx4 v[54:57], v[16:17]
	v_add_u32_e32 v16, v49, v128
	v_add_u32_e32 v17, 0x1800, v16
	s_waitcnt vmcnt(0) lgkmcnt(0)
	ds_write_b128 v193, v[54:57]
	s_waitcnt lgkmcnt(0)
	s_barrier
	ds_read2_b64 v[54:57], v16 offset1:4
	ds_read2_b64 v[62:65], v17 offset0:64 offset1:68
	s_waitcnt lgkmcnt(1)
	v_mfma_f32_16x16x16f16 v[58:61], v[54:55], v[10:11], 0
	s_waitcnt lgkmcnt(0)
	v_mfma_f32_16x16x16f16 v[66:69], v[62:63], v[10:11], 0
	v_mfma_f32_16x16x16f16 v[54:57], v[56:57], v[12:13], v[58:61]
	;; [unrolled: 1-line block ×3, first 2 shown]
	s_nop 6
	ds_read2_b64 v[58:61], v16 offset0:8 offset1:12
	ds_read2_b64 v[62:65], v17 offset0:72 offset1:76
	s_waitcnt lgkmcnt(1)
	v_mfma_f32_16x16x16f16 v[54:57], v[58:59], v[6:7], v[54:57]
	s_waitcnt lgkmcnt(0)
	v_mfma_f32_16x16x16f16 v[10:13], v[62:63], v[6:7], v[10:13]
	v_mfma_f32_16x16x16f16 v[54:57], v[60:61], v[8:9], v[54:57]
	ds_read2_b64 v[58:61], v17 offset0:80 offset1:84
	v_mfma_f32_16x16x16f16 v[6:9], v[64:65], v[8:9], v[10:13]
	s_nop 7
	ds_read2_b64 v[10:13], v16 offset0:16 offset1:20
	s_waitcnt lgkmcnt(0)
	v_mfma_f32_16x16x16f16 v[54:57], v[10:11], v[2:3], v[54:57]
	s_barrier
	v_mfma_f32_16x16x16f16 v[62:65], v[58:59], v[2:3], v[6:9]
	v_mfma_f32_16x16x16f16 v[6:9], v[12:13], v[4:5], v[54:57]
	;; [unrolled: 1-line block ×3, first 2 shown]
	s_cbranch_vccnz .LBB14_72
; %bb.71:                               ;   in Loop: Header=BB14_14 Depth=1
	v_add_u32_e32 v10, 0x3400, v130
	ds_read2_b32 v[10:11], v10 offset1:1
	s_waitcnt lgkmcnt(0)
	v_cvt_f32_f16_e32 v12, v10
	v_cvt_f32_f16_sdwa v13, v10 dst_sel:DWORD dst_unused:UNUSED_PAD src0_sel:WORD_1
	v_cvt_f32_f16_e32 v10, v11
	v_cvt_f32_f16_sdwa v11, v11 dst_sel:DWORD dst_unused:UNUSED_PAD src0_sel:WORD_1
	s_nop 1
	v_pk_fma_f32 v[6:7], v[50:51], v[12:13], v[6:7] op_sel_hi:[0,1,1]
	ds_read_b32 v12, v134 offset:13312
	v_pk_fma_f32 v[8:9], v[50:51], v[10:11], v[8:9] op_sel_hi:[0,1,1]
	ds_read_b32 v10, v132 offset:13312
	s_waitcnt lgkmcnt(1)
	v_cvt_f32_f16_sdwa v13, v12 dst_sel:DWORD dst_unused:UNUSED_PAD src0_sel:WORD_1
	v_cvt_f32_f16_e32 v12, v12
	s_waitcnt lgkmcnt(0)
	v_cvt_f32_f16_sdwa v11, v10 dst_sel:DWORD dst_unused:UNUSED_PAD src0_sel:WORD_1
	v_cvt_f32_f16_e32 v10, v10
	v_pk_fma_f32 v[4:5], v[50:51], v[12:13], v[4:5] op_sel_hi:[0,1,1]
	v_pk_fma_f32 v[2:3], v[50:51], v[10:11], v[2:3] op_sel_hi:[0,1,1]
.LBB14_72:                              ;   in Loop: Header=BB14_14 Depth=1
	s_nop 7
	s_nop 0
	v_add_f32_e32 v10, 0x40051340, v6
	v_max_f32_e32 v11, v1, v1
	v_max_f32_e32 v10, v11, v10
	v_cmp_gt_u32_e64 s[44:45], s58, v127
	v_cndmask_b32_e64 v10, v1, v10, s[44:45]
	v_add_f32_e32 v11, 0x40051340, v7
	v_max_f32_e32 v12, v10, v10
	s_mul_hi_i32 s47, s46, s78
	s_mul_i32 s46, s46, s78
	v_max_f32_e32 v11, v12, v11
	v_cmp_gt_u32_e32 vcc, s58, v200
	s_lshl_b64 s[46:47], s[46:47], 2
	v_cndmask_b32_e32 v12, v10, v11, vcc
	s_add_u32 s84, s81, s46
	v_add_f32_e32 v10, 0x40051340, v8
	v_max_f32_e32 v11, v12, v12
	s_addc_u32 s85, s83, s47
	v_max_f32_e32 v13, v11, v10
	v_mov_b32_e32 v10, s85
	v_add_co_u32_e64 v11, s[46:47], s84, v32
	v_addc_co_u32_e64 v10, s[46:47], v10, v33, s[46:47]
	v_add_co_u32_e64 v11, s[46:47], v11, v15
	v_addc_co_u32_e64 v10, s[46:47], 0, v10, s[46:47]
	;; [unrolled: 2-line block ×3, first 2 shown]
	v_mov_b32_e32 v16, s37
	v_mov_b32_e32 v17, s36
	buffer_store_dword v177, off, s[0:3], 0
	buffer_store_dword v177, off, s[0:3], 0 offset:4
	buffer_store_dword v177, off, s[0:3], 0 offset:8
	;; [unrolled: 1-line block ×3, first 2 shown]
	v_cndmask_b32_e64 v11, v16, v10, s[42:43]
	v_cndmask_b32_e64 v10, v17, v15, s[42:43]
	flat_load_dwordx4 v[54:57], v[10:11]
	v_cmp_gt_u32_e64 s[54:55], s58, v201
	v_cndmask_b32_e64 v10, v12, v13, s[54:55]
	v_add_f32_e32 v11, 0x40051340, v9
	v_max_f32_e32 v12, v10, v10
	v_max_f32_e32 v11, v12, v11
	v_cmp_gt_u32_e64 s[52:53], s58, v202
	v_cndmask_b32_e64 v10, v10, v11, s[52:53]
	v_add_f32_e32 v11, 0x40051340, v2
	v_max_f32_e32 v12, v10, v10
	v_max_f32_e32 v11, v12, v11
	;; [unrolled: 5-line block ×5, first 2 shown]
	v_cmp_gt_u32_e64 s[42:43], s58, v204
	v_cndmask_b32_e64 v10, v10, v11, s[42:43]
	v_and_b32_e32 v11, 64, v176
	v_add_u32_e32 v12, 64, v11
	v_xor_b32_e32 v11, 32, v176
	v_cmp_lt_i32_e64 s[58:59], v11, v12
	v_cndmask_b32_e64 v11, v176, v11, s[58:59]
	v_lshlrev_b32_e32 v11, 2, v11
	ds_bpermute_b32 v13, v11, v10
	v_max_f32_e32 v10, v10, v10
	v_cndmask_b32_e32 v8, v8, v8, vcc
	v_cndmask_b32_e32 v9, v9, v9, vcc
	v_cndmask_b32_e64 v3, v3, v3, s[50:51]
	s_waitcnt lgkmcnt(0)
	v_max_f32_e32 v13, v13, v13
	v_max_f32_e32 v10, v10, v13
	v_xor_b32_e32 v13, 16, v176
	v_cmp_lt_i32_e64 s[58:59], v13, v12
	v_cndmask_b32_e64 v12, v176, v13, s[58:59]
	v_lshlrev_b32_e32 v15, 2, v12
	ds_bpermute_b32 v12, v15, v10
	s_cmp_eq_u64 s[34:35], 0
	s_waitcnt lgkmcnt(0)
	v_max_f32_e32 v12, v12, v12
	v_max_f32_e32 v10, v10, v12
	v_sub_f32_e32 v6, v6, v10
	v_mul_f32_e32 v12, 0x3fb8aa3b, v6
	v_fma_f32 v13, v6, s86, -v12
	v_rndne_f32_e32 v19, v12
	v_fmac_f32_e32 v13, 0x32a5705f, v6
	v_sub_f32_e32 v12, v12, v19
	v_add_f32_e32 v12, v12, v13
	v_exp_f32_e32 v12, v12
	v_cvt_i32_f32_e32 v13, v19
	v_sub_f32_e32 v7, v7, v10
	v_cmp_ngt_f32_e64 s[58:59], s28, v6
	v_sub_f32_e32 v8, v8, v10
	v_ldexp_f32 v12, v12, v13
	v_mul_f32_e32 v13, 0x3fb8aa3b, v7
	v_fma_f32 v19, v7, s86, -v13
	v_rndne_f32_e32 v20, v13
	v_fmac_f32_e32 v19, 0x32a5705f, v7
	v_sub_f32_e32 v13, v13, v20
	v_add_f32_e32 v13, v13, v19
	v_exp_f32_e32 v13, v13
	v_cvt_i32_f32_e32 v19, v20
	v_cndmask_b32_e64 v12, 0, v12, s[58:59]
	v_cmp_nlt_f32_e64 s[58:59], s77, v6
	v_cndmask_b32_e64 v6, v211, v12, s[58:59]
	v_cndmask_b32_e64 v6, 0, v6, s[44:45]
	v_ldexp_f32 v19, v13, v19
	v_mov_b32_e32 v12, s85
	v_add_co_u32_e64 v13, s[44:45], s84, v40
	v_addc_co_u32_e64 v12, s[44:45], v12, v41, s[44:45]
	v_add_co_u32_e64 v20, s[44:45], v13, v14
	v_addc_co_u32_e64 v12, s[44:45], 0, v12, s[44:45]
	s_waitcnt vmcnt(0)
	ds_write_b128 v90, v[54:57]
	v_cndmask_b32_e64 v13, v16, v12, s[40:41]
	v_cndmask_b32_e64 v12, v17, v20, s[40:41]
	flat_load_dwordx4 v[54:57], v[12:13]
	v_cmp_ngt_f32_e64 s[40:41], s28, v7
	v_cndmask_b32_e64 v12, 0, v19, s[40:41]
	v_mul_f32_e32 v19, 0x3fb8aa3b, v8
	v_fma_f32 v20, v8, s86, -v19
	v_rndne_f32_e32 v21, v19
	v_fmac_f32_e32 v20, 0x32a5705f, v8
	v_sub_f32_e32 v19, v19, v21
	v_add_f32_e32 v19, v19, v20
	v_exp_f32_e32 v19, v19
	v_cvt_i32_f32_e32 v20, v21
	v_cmp_nlt_f32_e64 s[40:41], s77, v7
	v_cndmask_b32_e64 v12, v211, v12, s[40:41]
	v_add_f32_e32 v13, v12, v6
	v_mov_b32_e32 v7, s89
	v_cndmask_b32_e32 v12, v7, v12, vcc
	v_cndmask_b32_e32 v7, v6, v13, vcc
	v_ldexp_f32 v13, v19, v20
	v_cmp_ngt_f32_e32 vcc, s28, v8
	v_sub_f32_e32 v9, v9, v10
	v_cndmask_b32_e32 v13, 0, v13, vcc
	v_cmp_nlt_f32_e32 vcc, s77, v8
	v_mul_f32_e32 v8, 0x3fb8aa3b, v9
	v_fma_f32 v20, v9, s86, -v8
	v_rndne_f32_e32 v21, v8
	v_fmac_f32_e32 v20, 0x32a5705f, v9
	v_sub_f32_e32 v8, v8, v21
	v_add_f32_e32 v8, v8, v20
	v_exp_f32_e32 v20, v8
	v_cvt_i32_f32_e32 v21, v21
	v_cndmask_b32_e32 v13, v211, v13, vcc
	v_add_f32_e32 v19, v7, v13
	v_mov_b32_e32 v8, s89
	v_cndmask_b32_e64 v13, v8, v13, s[54:55]
	v_cndmask_b32_e64 v8, v7, v19, s[54:55]
	v_ldexp_f32 v7, v20, v21
	v_cmp_ngt_f32_e32 vcc, s28, v9
	v_cndmask_b32_e32 v7, 0, v7, vcc
	v_cmp_nlt_f32_e32 vcc, s77, v9
	v_sub_f32_e32 v2, v2, v10
	v_cndmask_b32_e32 v9, v211, v7, vcc
	v_mul_f32_e32 v7, 0x3fb8aa3b, v2
	v_fma_f32 v20, v2, s86, -v7
	v_rndne_f32_e32 v21, v7
	v_fmac_f32_e32 v20, 0x32a5705f, v2
	v_sub_f32_e32 v7, v7, v21
	v_add_f32_e32 v7, v7, v20
	v_exp_f32_e32 v20, v7
	v_cvt_i32_f32_e32 v21, v21
	v_add_f32_e32 v19, v8, v9
	v_mov_b32_e32 v7, s89
	v_cndmask_b32_e64 v9, v7, v9, s[52:53]
	v_cndmask_b32_e64 v7, v8, v19, s[52:53]
	v_ldexp_f32 v8, v20, v21
	v_sub_f32_e32 v21, v3, v10
	v_mul_f32_e32 v3, 0x3fb8aa3b, v21
	v_cndmask_b32_e64 v20, v5, v5, s[50:51]
	v_fma_f32 v5, v21, s86, -v3
	v_rndne_f32_e32 v23, v3
	v_fmac_f32_e32 v5, 0x32a5705f, v21
	v_sub_f32_e32 v3, v3, v23
	v_add_f32_e32 v3, v3, v5
	v_cmp_ngt_f32_e32 vcc, s28, v2
	v_exp_f32_e32 v3, v3
	v_cvt_i32_f32_e32 v5, v23
	v_cndmask_b32_e32 v8, 0, v8, vcc
	v_cmp_nlt_f32_e32 vcc, s77, v2
	v_cndmask_b32_e32 v8, v211, v8, vcc
	v_add_f32_e32 v19, v8, v7
	v_mov_b32_e32 v2, s89
	v_cndmask_b32_e64 v25, v2, v8, s[50:51]
	v_cndmask_b32_e64 v8, v7, v19, s[50:51]
	v_ldexp_f32 v7, v3, v5
	v_mov_b32_e32 v2, s85
	v_add_co_u32_e32 v3, vcc, s84, v42
	v_addc_co_u32_e32 v2, vcc, v2, v43, vcc
	v_cndmask_b32_e64 v23, v4, v4, s[50:51]
	v_add_co_u32_e32 v4, vcc, v3, v14
	v_addc_co_u32_e32 v2, vcc, 0, v2, vcc
	s_waitcnt vmcnt(0) lgkmcnt(0)
	ds_write_b128 v92, v[54:57]
	v_cndmask_b32_e64 v3, v16, v2, s[38:39]
	v_cndmask_b32_e64 v2, v17, v4, s[38:39]
	flat_load_dwordx4 v[2:5], v[2:3]
	v_cmp_ngt_f32_e32 vcc, s28, v21
	v_cndmask_b32_e32 v7, 0, v7, vcc
	v_cmp_nlt_f32_e32 vcc, s77, v21
	v_sub_f32_e32 v17, v23, v10
	v_cndmask_b32_e32 v14, v211, v7, vcc
	v_mul_f32_e32 v7, 0x3fb8aa3b, v17
	v_fma_f32 v19, v17, s86, -v7
	v_rndne_f32_e32 v21, v7
	v_fmac_f32_e32 v19, 0x32a5705f, v17
	v_sub_f32_e32 v7, v7, v21
	v_add_f32_e32 v7, v7, v19
	v_exp_f32_e32 v19, v7
	v_cvt_i32_f32_e32 v21, v21
	v_add_f32_e32 v16, v14, v8
	v_mov_b32_e32 v7, s89
	v_cndmask_b32_e64 v14, v7, v14, s[48:49]
	v_cndmask_b32_e64 v7, v8, v16, s[48:49]
	v_ldexp_f32 v8, v19, v21
	v_cmp_ngt_f32_e32 vcc, s28, v17
	v_cndmask_b32_e32 v8, 0, v8, vcc
	v_cmp_nlt_f32_e32 vcc, s77, v17
	v_sub_f32_e32 v19, v20, v10
	v_cndmask_b32_e32 v16, v211, v8, vcc
	v_mul_f32_e32 v8, 0x3fb8aa3b, v19
	v_fma_f32 v20, v19, s86, -v8
	v_rndne_f32_e32 v21, v8
	v_fmac_f32_e32 v20, 0x32a5705f, v19
	v_sub_f32_e32 v8, v8, v21
	v_add_f32_e32 v8, v8, v20
	v_exp_f32_e32 v20, v8
	v_cvt_i32_f32_e32 v21, v21
	v_add_f32_e32 v17, v16, v7
	v_mov_b32_e32 v8, s89
	v_sub_f32_e32 v1, v1, v10
	v_cndmask_b32_e64 v8, v8, v16, s[46:47]
	v_cndmask_b32_e64 v16, v7, v17, s[46:47]
	v_mul_f32_e32 v17, 0x3fb8aa3b, v1
	v_ldexp_f32 v7, v20, v21
	v_fma_f32 v20, v1, s86, -v17
	v_rndne_f32_e32 v21, v17
	v_fmac_f32_e32 v20, 0x32a5705f, v1
	v_sub_f32_e32 v17, v17, v21
	v_add_f32_e32 v17, v17, v20
	v_exp_f32_e32 v17, v17
	v_cvt_i32_f32_e32 v20, v21
	v_cmp_ngt_f32_e32 vcc, s28, v19
	v_cndmask_b32_e32 v7, 0, v7, vcc
	v_cmp_nlt_f32_e32 vcc, s77, v19
	v_cndmask_b32_e32 v19, v211, v7, vcc
	v_ldexp_f32 v17, v17, v20
	v_cmp_ngt_f32_e32 vcc, s28, v1
	v_cndmask_b32_e32 v17, 0, v17, vcc
	v_cmp_nlt_f32_e32 vcc, s77, v1
	v_cndmask_b32_e32 v17, v211, v17, vcc
	v_cmp_le_f32_e32 vcc, s29, v1
	v_cndmask_b32_e32 v1, 0, v17, vcc
	v_mov_b32_e32 v7, s89
	v_cvt_f16_f32_e32 v23, v1
	v_cndmask_b32_e64 v17, v7, v19, s[42:43]
	v_cvt_f16_f32_e32 v6, v6
	v_cvt_f16_f32_e32 v7, v12
	;; [unrolled: 1-line block ×4, first 2 shown]
	v_add_f32_e32 v21, v19, v16
	v_cndmask_b32_e64 v27, v16, v21, s[42:43]
	v_fmac_f32_e32 v27, v18, v1
	v_pk_mul_f16 v1, v23, v72 op_sel_hi:[0,1]
	v_pack_b32_f16 v12, v6, v7
	v_pack_b32_f16 v13, v13, v9
	v_cvt_f16_f32_e32 v9, v25
	v_pk_mul_f16 v16, v23, v37 op_sel_hi:[0,1]
	v_cvt_f16_f32_e32 v8, v8
	v_pk_mul_f16 v18, v23, v74 op_sel_hi:[0,1]
	v_pk_mul_f16 v19, v23, v73 op_sel_hi:[0,1]
	;; [unrolled: 1-line block ×7, first 2 shown]
	s_waitcnt vmcnt(0) lgkmcnt(0)
	ds_write_b128 v193, v[2:5]
	s_waitcnt lgkmcnt(0)
	s_barrier
	ds_read_u16 v5, v94 offset:208
	v_cvt_f32_f16_e32 v2, v1
	v_cvt_f32_f16_sdwa v3, v1 dst_sel:DWORD dst_unused:UNUSED_PAD src0_sel:WORD_1
	ds_read_u16 v1, v94 offset:416
	ds_read_u16 v6, v95
	ds_read_u16 v25, v95 offset:32
	ds_read_u16 v54, v95 offset:64
	ds_read_u16 v55, v95 offset:96
	ds_read_u16 v59, v95 offset:128
	ds_read_u16 v20, v95 offset:6656
	ds_read_u16 v60, v95 offset:160
	s_waitcnt lgkmcnt(6)
	v_perm_b32 v7, v6, v1, s80
	ds_read_u16 v1, v93
	ds_read_u16 v61, v93 offset:32
	ds_read_u16 v62, v93 offset:64
	;; [unrolled: 1-line block ×6, first 2 shown]
	s_waitcnt lgkmcnt(6)
	v_perm_b32 v6, v5, v1, s80
	v_cvt_f32_f16_e32 v4, v16
	v_cvt_f32_f16_sdwa v5, v16 dst_sel:DWORD dst_unused:UNUSED_PAD src0_sel:WORD_1
	v_cvt_f16_f32_e32 v1, v14
	v_cvt_f16_f32_e32 v14, v17
	v_mfma_f32_16x16x16f16 v[2:5], v[6:7], v[12:13], v[2:5]
	ds_read_u16 v6, v194 offset:208
	ds_read_u16 v7, v194 offset:416
	;; [unrolled: 1-line block ×8, first 2 shown]
	s_waitcnt lgkmcnt(6)
	v_perm_b32 v7, v20, v7, s80
	v_perm_b32 v6, v6, v21, s80
	v_pack_b32_f16 v20, v9, v1
	v_pack_b32_f16 v21, v8, v14
	s_waitcnt lgkmcnt(4)
	v_perm_b32 v17, v25, v17, s80
	v_perm_b32 v16, v16, v61, s80
	v_cvt_f16_f32_e32 v2, v2
	v_cvt_f16_f32_e32 v3, v3
	;; [unrolled: 1-line block ×4, first 2 shown]
	v_cvt_f32_f16_e32 v2, v2
	v_cvt_f32_f16_e32 v3, v3
	;; [unrolled: 1-line block ×5, first 2 shown]
	v_cvt_f32_f16_sdwa v9, v19 dst_sel:DWORD dst_unused:UNUSED_PAD src0_sel:WORD_1
	v_mfma_f32_16x16x16f16 v[2:5], v[6:7], v[20:21], v[2:5]
	v_cvt_f32_f16_e32 v6, v18
	v_cvt_f32_f16_sdwa v7, v18 dst_sel:DWORD dst_unused:UNUSED_PAD src0_sel:WORD_1
	v_pk_mul_f16 v58, v23, v79 op_sel_hi:[0,1]
	v_pk_mul_f16 v70, v23, v82 op_sel_hi:[0,1]
	;; [unrolled: 1-line block ×3, first 2 shown]
	v_cvt_f32_f16_e32 v18, v37
	v_cvt_f32_f16_sdwa v19, v37 dst_sel:DWORD dst_unused:UNUSED_PAD src0_sel:WORD_1
	v_mfma_f32_16x16x16f16 v[6:9], v[16:17], v[12:13], v[6:9]
	s_nop 2
	v_cvt_f16_f32_e32 v1, v2
	v_cvt_f16_f32_e32 v2, v3
	s_waitcnt lgkmcnt(0)
	v_perm_b32 v17, v69, v68, s80
	v_perm_b32 v16, v67, v66, s80
	v_cvt_f16_f32_e32 v23, v5
	v_pack_b32_f16 v2, v1, v2
	ds_bpermute_b32 v11, v11, v27
	v_cvt_f16_f32_e32 v3, v6
	v_cvt_f16_f32_e32 v7, v7
	;; [unrolled: 1-line block ×4, first 2 shown]
	v_cvt_f32_f16_e32 v6, v3
	v_cvt_f32_f16_e32 v7, v7
	;; [unrolled: 1-line block ×4, first 2 shown]
	v_cvt_f16_f32_e32 v3, v4
	s_waitcnt lgkmcnt(0)
	v_add_f32_e32 v11, v27, v11
	v_mfma_f32_16x16x16f16 v[4:7], v[16:17], v[20:21], v[6:9]
	v_cvt_f32_f16_e32 v16, v29
	v_cvt_f32_f16_sdwa v17, v29 dst_sel:DWORD dst_unused:UNUSED_PAD src0_sel:WORD_1
	ds_read_u16 v1, v196 offset:208
	s_nop 3
	ds_read_u16 v8, v196 offset:416
	ds_read_u16 v25, v99 offset:6656
	;; [unrolled: 1-line block ×7, first 2 shown]
	s_waitcnt lgkmcnt(6)
	v_perm_b32 v9, v54, v8, s80
	v_perm_b32 v8, v1, v62, s80
	v_pack_b32_f16 v1, v3, v23
	s_waitcnt lgkmcnt(1)
	v_perm_b32 v54, v67, v63, s80
	v_mfma_f32_16x16x16f16 v[16:19], v[8:9], v[12:13], v[16:19]
	v_cvt_f16_f32_e32 v3, v4
	v_cvt_f16_f32_e32 v4, v5
	s_waitcnt lgkmcnt(0)
	v_perm_b32 v55, v55, v68, s80
	v_cvt_f16_f32_e32 v23, v7
	v_readlane_b32 s44, v231, 52
	v_pack_b32_f16 v4, v3, v4
	v_readlane_b32 s45, v231, 53
	s_nop 2
	v_cvt_f16_f32_e32 v8, v17
	v_cvt_f16_f32_e32 v9, v18
	;; [unrolled: 1-line block ×4, first 2 shown]
	v_cvt_f32_f16_e32 v17, v8
	v_cvt_f32_f16_e32 v18, v9
	v_perm_b32 v9, v66, v61, s80
	v_perm_b32 v8, v29, v25, s80
	v_cvt_f32_f16_e32 v16, v5
	v_cvt_f32_f16_e32 v19, v19
	v_cvt_f16_f32_e32 v5, v6
	s_cselect_b64 s[38:39], -1, 0
	v_mfma_f32_16x16x16f16 v[6:9], v[8:9], v[20:21], v[16:19]
	v_pack_b32_f16 v3, v5, v23
	s_xor_b64 s[40:41], s[44:45], -1
	s_or_b64 s[38:39], s[40:41], s[38:39]
	s_nop 3
	v_cvt_f32_f16_e32 v16, v51
	v_cvt_f32_f16_sdwa v17, v51 dst_sel:DWORD dst_unused:UNUSED_PAD src0_sel:WORD_1
	v_cvt_f32_f16_e32 v18, v56
	v_cvt_f32_f16_sdwa v19, v56 dst_sel:DWORD dst_unused:UNUSED_PAD src0_sel:WORD_1
	v_cvt_f16_f32_e32 v5, v6
	v_cvt_f16_f32_e32 v6, v7
	v_mfma_f32_16x16x16f16 v[16:19], v[54:55], v[12:13], v[16:19]
	v_cvt_f32_f16_e32 v56, v58
	v_pack_b32_f16 v6, v5, v6
	s_nop 7
	s_nop 0
	v_cvt_f16_f32_e32 v7, v16
	v_cvt_f16_f32_e32 v17, v17
	;; [unrolled: 1-line block ×4, first 2 shown]
	v_cvt_f32_f16_e32 v16, v7
	ds_read_u16 v7, v102 offset:6656
	ds_read_u16 v23, v103 offset:208
	;; [unrolled: 1-line block ×8, first 2 shown]
	s_waitcnt lgkmcnt(4)
	v_perm_b32 v55, v29, v25, s80
	v_perm_b32 v54, v23, v7, s80
	v_cvt_f32_f16_e32 v17, v17
	v_cvt_f32_f16_e32 v18, v18
	;; [unrolled: 1-line block ×3, first 2 shown]
	v_cvt_f16_f32_e32 v7, v8
	v_cvt_f16_f32_e32 v23, v9
	s_waitcnt lgkmcnt(2)
	v_perm_b32 v9, v59, v51, s80
	v_perm_b32 v8, v37, v64, s80
	v_mfma_f32_16x16x16f16 v[16:19], v[54:55], v[20:21], v[16:19]
	v_cvt_f32_f16_e32 v54, v57
	v_cvt_f32_f16_sdwa v55, v57 dst_sel:DWORD dst_unused:UNUSED_PAD src0_sel:WORD_1
	v_cvt_f32_f16_sdwa v57, v58 dst_sel:DWORD dst_unused:UNUSED_PAD src0_sel:WORD_1
	v_pack_b32_f16 v5, v7, v23
	s_nop 0
	v_mfma_f32_16x16x16f16 v[54:57], v[8:9], v[12:13], v[54:57]
	s_nop 4
	v_cvt_f16_f32_e32 v7, v16
	v_cvt_f16_f32_e32 v23, v17
	s_nop 3
	v_cvt_f16_f32_e32 v8, v54
	v_cvt_f16_f32_e32 v9, v55
	v_cvt_f16_f32_e32 v16, v56
	v_cvt_f16_f32_e32 v25, v57
	v_cvt_f32_f16_e32 v54, v8
	v_cvt_f32_f16_e32 v55, v9
	;; [unrolled: 1-line block ×3, first 2 shown]
	ds_read_u16 v8, v106 offset:416
	ds_read_u16 v9, v107 offset:6656
	;; [unrolled: 1-line block ×8, first 2 shown]
	s_waitcnt lgkmcnt(6)
	v_perm_b32 v17, v9, v8, s80
	v_perm_b32 v16, v62, v61, s80
	v_cvt_f32_f16_e32 v57, v25
	s_waitcnt lgkmcnt(4)
	v_perm_b32 v59, v60, v37, s80
	v_perm_b32 v58, v29, v65, s80
	v_cvt_f16_f32_e32 v9, v18
	v_cvt_f16_f32_e32 v25, v19
	v_mfma_f32_16x16x16f16 v[16:19], v[16:17], v[20:21], v[54:57]
	v_pack_b32_f16 v8, v7, v23
	s_waitcnt lgkmcnt(0)
	v_pack_b32_f16 v7, v9, v25
	s_barrier
	s_nop 2
	v_cvt_f32_f16_e32 v54, v70
	v_cvt_f32_f16_sdwa v55, v70 dst_sel:DWORD dst_unused:UNUSED_PAD src0_sel:WORD_1
	v_cvt_f32_f16_e32 v56, v14
	v_cvt_f32_f16_sdwa v57, v14 dst_sel:DWORD dst_unused:UNUSED_PAD src0_sel:WORD_1
	v_cvt_f16_f32_e32 v9, v16
	v_cvt_f16_f32_e32 v14, v17
	v_mfma_f32_16x16x16f16 v[54:57], v[58:59], v[12:13], v[54:57]
	v_perm_b32 v17, v66, v64, s80
	s_nop 7
	s_nop 1
	v_cvt_f16_f32_e32 v16, v56
	v_cvt_f16_f32_e32 v12, v54
	;; [unrolled: 1-line block ×4, first 2 shown]
	v_cvt_f32_f16_e32 v56, v16
	v_perm_b32 v16, v63, v51, s80
	v_cvt_f32_f16_e32 v54, v12
	v_cvt_f32_f16_e32 v55, v13
	;; [unrolled: 1-line block ×3, first 2 shown]
	v_cvt_f16_f32_e32 v13, v18
	v_cvt_f16_f32_e32 v23, v19
	v_mfma_f32_16x16x16f16 v[16:19], v[16:17], v[20:21], v[54:57]
	v_pack_b32_f16 v12, v9, v14
	v_pack_b32_f16 v9, v13, v23
	s_nop 7
	s_nop 0
	v_cvt_f16_f32_e32 v14, v16
	v_cvt_f16_f32_e32 v16, v17
	;; [unrolled: 1-line block ×4, first 2 shown]
	v_pack_b32_f16 v14, v14, v16
	ds_bpermute_b32 v16, v15, v11
	v_pack_b32_f16 v13, v13, v17
	s_waitcnt lgkmcnt(0)
	v_add_f32_e32 v11, v11, v16
	s_and_saveexec_b64 s[40:41], s[38:39]
	s_xor_b64 s[38:39], exec, s[40:41]
	s_andn2_saveexec_b64 s[38:39], s[38:39]
	s_cbranch_execz .LBB14_74
; %bb.73:                               ;   in Loop: Header=BB14_14 Depth=1
	global_load_dword v17, v177, s[34:35]
	v_max_f32_e32 v18, v10, v10
	s_waitcnt vmcnt(0)
	v_max_f32_e32 v16, v17, v17
	v_max_f32_e32 v16, v18, v16
	v_sub_f32_e32 v10, v10, v16
	v_mul_f32_e32 v18, 0x3fb8aa3b, v10
	v_fma_f32 v19, v10, s86, -v18
	v_rndne_f32_e32 v20, v18
	v_fmac_f32_e32 v19, 0x32a5705f, v10
	v_sub_f32_e32 v18, v18, v20
	v_add_f32_e32 v18, v18, v19
	v_exp_f32_e32 v18, v18
	v_cvt_i32_f32_e32 v19, v20
	v_cmp_ngt_f32_e32 vcc, s28, v10
	v_sub_f32_e32 v17, v17, v16
	v_ldexp_f32 v18, v18, v19
	v_cndmask_b32_e32 v18, 0, v18, vcc
	v_cmp_nlt_f32_e32 vcc, s77, v10
	v_cndmask_b32_e32 v18, v211, v18, vcc
	v_cmp_le_f32_e32 vcc, s29, v10
	v_cndmask_b32_e32 v10, 0, v18, vcc
	v_cvt_f16_f32_e32 v18, v10
	v_cmp_ngt_f32_e32 vcc, s28, v17
	v_pk_mul_f16 v2, v18, v2 op_sel_hi:[0,1]
	v_pk_mul_f16 v1, v18, v1 op_sel_hi:[0,1]
	;; [unrolled: 1-line block ×12, first 2 shown]
	v_mul_f32_e32 v18, 0x3fb8aa3b, v17
	v_fma_f32 v19, v17, s86, -v18
	v_rndne_f32_e32 v20, v18
	v_fmac_f32_e32 v19, 0x32a5705f, v17
	v_sub_f32_e32 v18, v18, v20
	v_add_f32_e32 v18, v18, v19
	v_exp_f32_e32 v18, v18
	v_cvt_i32_f32_e32 v19, v20
	v_ldexp_f32 v18, v18, v19
	v_cndmask_b32_e32 v18, 0, v18, vcc
	v_cmp_nlt_f32_e32 vcc, s77, v17
	v_cndmask_b32_e32 v17, v211, v18, vcc
	v_fmac_f32_e32 v17, v11, v10
	v_pk_mov_b32 v[10:11], v[16:17], v[16:17] op_sel:[0,1]
.LBB14_74:                              ;   in Loop: Header=BB14_14 Depth=1
	s_or_b64 exec, exec, s[38:39]
	s_mov_b64 s[38:39], exec
	v_readlane_b32 s40, v231, 56
	v_readlane_b32 s41, v231, 57
	s_and_b64 s[40:41], s[38:39], s[40:41]
	v_readlane_b32 s84, v231, 62
	v_readlane_b32 s50, v230, 0
	;; [unrolled: 1-line block ×3, first 2 shown]
	s_mov_b64 exec, s[40:41]
	s_cbranch_execz .LBB14_76
; %bb.75:                               ;   in Loop: Header=BB14_14 Depth=1
	v_add_u32_e32 v16, 0, v135
	ds_write2_b32 v16, v10, v11 offset0:48 offset1:49
.LBB14_76:                              ;   in Loop: Header=BB14_14 Depth=1
	s_or_b64 exec, exec, s[38:39]
	s_waitcnt lgkmcnt(0)
	s_barrier
	s_mov_b64 s[38:39], exec
	v_readlane_b32 s40, v231, 54
	v_readlane_b32 s41, v231, 55
	s_and_b64 s[40:41], s[38:39], s[40:41]
	s_xor_b64 s[38:39], s[40:41], s[38:39]
	s_mov_b64 exec, s[40:41]
	s_cbranch_execz .LBB14_78
; %bb.77:                               ;   in Loop: Header=BB14_14 Depth=1
	s_barrier
	s_waitcnt lgkmcnt(0)
                                        ; implicit-def: $vgpr15
.LBB14_78:                              ;   in Loop: Header=BB14_14 Depth=1
	s_andn2_saveexec_b64 s[38:39], s[38:39]
	s_cbranch_execz .LBB14_84
; %bb.79:                               ;   in Loop: Header=BB14_14 Depth=1
	v_add_u32_e32 v11, 0, v136
	ds_read_b64 v[18:19], v11 offset:192
	s_waitcnt lgkmcnt(0)
	s_barrier
	ds_bpermute_b32 v10, v15, v18
	v_max_f32_e32 v16, v18, v18
	s_waitcnt lgkmcnt(0)
	v_max_f32_e32 v10, v10, v10
	v_max_f32_e32 v10, v16, v10
	v_sub_f32_e32 v16, v18, v10
	v_mul_f32_e32 v17, 0x3fb8aa3b, v16
	v_fma_f32 v18, v16, s86, -v17
	v_rndne_f32_e32 v20, v17
	v_fmac_f32_e32 v18, 0x32a5705f, v16
	v_sub_f32_e32 v17, v17, v20
	v_add_f32_e32 v17, v17, v18
	v_cvt_i32_f32_e32 v20, v20
	v_exp_f32_e32 v17, v17
	v_cmp_ngt_f32_e32 vcc, s28, v16
	v_ldexp_f32 v17, v17, v20
	v_cndmask_b32_e32 v17, 0, v17, vcc
	v_cmp_nlt_f32_e32 vcc, s77, v16
	v_cndmask_b32_e32 v16, v211, v17, vcc
	v_mul_f32_e32 v17, v19, v16
	ds_bpermute_b32 v17, v15, v17
	s_waitcnt lgkmcnt(0)
	v_fmac_f32_e32 v17, v19, v16
	s_mov_b64 s[40:41], exec
	v_readlane_b32 s42, v231, 58
	v_readlane_b32 s43, v231, 59
	s_and_b64 s[42:43], s[40:41], s[42:43]
	s_mov_b64 exec, s[42:43]
	s_cbranch_execz .LBB14_81
; %bb.80:                               ;   in Loop: Header=BB14_14 Depth=1
	ds_write_b64 v11, v[16:17] offset:192
.LBB14_81:                              ;   in Loop: Header=BB14_14 Depth=1
	s_or_b64 exec, exec, s[40:41]
	s_mov_b64 s[40:41], exec
	v_readlane_b32 s42, v231, 56
	v_readlane_b32 s43, v231, 57
	s_and_b64 s[42:43], s[40:41], s[42:43]
	s_mov_b64 exec, s[42:43]
	s_cbranch_execz .LBB14_83
; %bb.82:                               ;   in Loop: Header=BB14_14 Depth=1
	v_mov_b32_e32 v11, v17
	global_store_dwordx2 v[30:31], v[10:11], off
.LBB14_83:                              ;   in Loop: Header=BB14_14 Depth=1
	s_or_b64 exec, exec, s[40:41]
.LBB14_84:                              ;   in Loop: Header=BB14_14 Depth=1
	s_or_b64 exec, exec, s[38:39]
	ds_write2_b32 v137, v2, v1 offset1:1
	ds_write2_b32 v137, v4, v3 offset0:8 offset1:9
	ds_write2_b32 v137, v6, v5 offset0:16 offset1:17
	;; [unrolled: 1-line block ×5, first 2 shown]
	s_waitcnt lgkmcnt(0)
	s_barrier
	s_and_saveexec_b64 s[38:39], s[44:45]
	s_cbranch_execz .LBB14_139
; %bb.85:                               ;   in Loop: Header=BB14_14 Depth=1
	v_add_u32_e32 v2, s82, v111
	v_cmp_gt_i32_e32 vcc, s76, v2
	v_mov_b32_e32 v1, 0x47
	s_and_saveexec_b64 s[40:41], vcc
	s_cbranch_execz .LBB14_87
; %bb.86:                               ;   in Loop: Header=BB14_14 Depth=1
	v_add_u32_e32 v1, 0, v140
	v_add_u32_e32 v1, 0xc0, v1
	ds_read2st64_b32 v[4:5], v1 offset1:13
	ds_read2st64_b32 v[6:7], v141 offset1:13
	v_readlane_b32 s42, v231, 42
	v_mad_u64_u32 v[2:3], s[42:43], v2, s42, v[38:39]
	v_ashrrev_i32_e32 v3, 31, v2
	s_waitcnt lgkmcnt(0)
	v_cvt_f32_f16_sdwa v9, v6 dst_sel:DWORD dst_unused:UNUSED_PAD src0_sel:WORD_1
	v_cvt_f32_f16_e32 v8, v6
	v_cvt_f32_f16_sdwa v11, v7 dst_sel:DWORD dst_unused:UNUSED_PAD src0_sel:WORD_1
	v_cvt_f32_f16_e32 v10, v7
	v_lshlrev_b64 v[2:3], 3, v[2:3]
	v_readlane_b32 s42, v230, 2
	v_add_co_u32_e32 v2, vcc, s42, v2
	v_readlane_b32 s42, v230, 3
	v_mov_b32_e32 v1, s42
	v_pk_fma_f32 v[8:9], v[4:5], v[8:9], 0 op_sel_hi:[0,1,0]
	v_mov_b32_e32 v4, v5
	v_addc_co_u32_e32 v3, vcc, v1, v3, vcc
	v_pk_fma_f32 v[4:5], v[4:5], v[10:11], v[8:9] op_sel_hi:[0,1,1]
	v_mov_b32_e32 v1, 0
	global_store_dwordx2 v[2:3], v[4:5], off
.LBB14_87:                              ;   in Loop: Header=BB14_14 Depth=1
	s_or_b64 exec, exec, s[40:41]
	s_movk_i32 s40, 0x47
	v_cmp_gt_i32_e32 vcc, s40, v1
	s_mov_b64 s[42:43], -1
	s_and_saveexec_b64 s[40:41], vcc
; %bb.88:                               ;   in Loop: Header=BB14_14 Depth=1
	v_cmp_eq_u32_e32 vcc, 0, v1
	s_orn2_b64 s[42:43], vcc, exec
; %bb.89:                               ;   in Loop: Header=BB14_14 Depth=1
	s_or_b64 exec, exec, s[40:41]
	s_and_saveexec_b64 s[40:41], s[42:43]
	s_cbranch_execz .LBB14_122
; %bb.90:                               ;   in Loop: Header=BB14_14 Depth=1
	v_add_u32_e32 v2, s82, v112
	v_cmp_gt_i32_e32 vcc, s76, v2
	v_mov_b32_e32 v1, 0x47
	s_and_saveexec_b64 s[42:43], vcc
	s_cbranch_execz .LBB14_92
; %bb.91:                               ;   in Loop: Header=BB14_14 Depth=1
	v_add_u32_e32 v1, 0, v142
	v_add_u32_e32 v1, 0xc0, v1
	ds_read2st64_b32 v[4:5], v1 offset1:13
	ds_read2st64_b32 v[6:7], v143 offset1:13
	v_readlane_b32 s44, v231, 42
	v_mad_u64_u32 v[2:3], s[44:45], v2, s44, v[38:39]
	v_ashrrev_i32_e32 v3, 31, v2
	s_waitcnt lgkmcnt(0)
	v_cvt_f32_f16_sdwa v9, v6 dst_sel:DWORD dst_unused:UNUSED_PAD src0_sel:WORD_1
	v_cvt_f32_f16_e32 v8, v6
	v_cvt_f32_f16_sdwa v11, v7 dst_sel:DWORD dst_unused:UNUSED_PAD src0_sel:WORD_1
	v_cvt_f32_f16_e32 v10, v7
	v_lshlrev_b64 v[2:3], 3, v[2:3]
	v_readlane_b32 s44, v230, 2
	v_add_co_u32_e32 v2, vcc, s44, v2
	v_readlane_b32 s44, v230, 3
	v_mov_b32_e32 v1, s44
	v_pk_fma_f32 v[8:9], v[4:5], v[8:9], 0 op_sel_hi:[0,1,0]
	v_mov_b32_e32 v4, v5
	v_addc_co_u32_e32 v3, vcc, v1, v3, vcc
	v_pk_fma_f32 v[4:5], v[4:5], v[10:11], v[8:9] op_sel_hi:[0,1,1]
	v_mov_b32_e32 v1, 0
	global_store_dwordx2 v[2:3], v[4:5], off
.LBB14_92:                              ;   in Loop: Header=BB14_14 Depth=1
	s_or_b64 exec, exec, s[42:43]
	s_movk_i32 s42, 0x47
	v_cmp_gt_i32_e32 vcc, s42, v1
	s_mov_b64 s[42:43], -1
	s_and_saveexec_b64 s[44:45], vcc
; %bb.93:                               ;   in Loop: Header=BB14_14 Depth=1
	v_cmp_eq_u32_e32 vcc, 0, v1
	s_orn2_b64 s[42:43], vcc, exec
; %bb.94:                               ;   in Loop: Header=BB14_14 Depth=1
	s_or_b64 exec, exec, s[44:45]
	s_and_b64 exec, exec, s[42:43]
	s_cbranch_execz .LBB14_122
; %bb.95:                               ;   in Loop: Header=BB14_14 Depth=1
	v_add_u32_e32 v2, s82, v113
	v_cmp_gt_i32_e32 vcc, s76, v2
	v_mov_b32_e32 v1, 0x47
	s_and_saveexec_b64 s[42:43], vcc
	s_cbranch_execz .LBB14_97
; %bb.96:                               ;   in Loop: Header=BB14_14 Depth=1
	v_add_u32_e32 v1, 0, v144
	v_add_u32_e32 v1, 0xc0, v1
	ds_read2st64_b32 v[4:5], v1 offset1:13
	ds_read2st64_b32 v[6:7], v145 offset1:13
	v_readlane_b32 s44, v231, 42
	v_mad_u64_u32 v[2:3], s[44:45], v2, s44, v[38:39]
	v_ashrrev_i32_e32 v3, 31, v2
	s_waitcnt lgkmcnt(0)
	v_cvt_f32_f16_sdwa v9, v6 dst_sel:DWORD dst_unused:UNUSED_PAD src0_sel:WORD_1
	v_cvt_f32_f16_e32 v8, v6
	v_cvt_f32_f16_sdwa v11, v7 dst_sel:DWORD dst_unused:UNUSED_PAD src0_sel:WORD_1
	v_cvt_f32_f16_e32 v10, v7
	v_lshlrev_b64 v[2:3], 3, v[2:3]
	v_readlane_b32 s44, v230, 2
	v_add_co_u32_e32 v2, vcc, s44, v2
	v_readlane_b32 s44, v230, 3
	v_mov_b32_e32 v1, s44
	v_pk_fma_f32 v[8:9], v[4:5], v[8:9], 0 op_sel_hi:[0,1,0]
	v_mov_b32_e32 v4, v5
	v_addc_co_u32_e32 v3, vcc, v1, v3, vcc
	v_pk_fma_f32 v[4:5], v[4:5], v[10:11], v[8:9] op_sel_hi:[0,1,1]
	v_mov_b32_e32 v1, 0
	global_store_dwordx2 v[2:3], v[4:5], off
.LBB14_97:                              ;   in Loop: Header=BB14_14 Depth=1
	s_or_b64 exec, exec, s[42:43]
	s_movk_i32 s42, 0x47
	v_cmp_gt_i32_e32 vcc, s42, v1
	s_mov_b64 s[42:43], -1
	s_and_saveexec_b64 s[44:45], vcc
; %bb.98:                               ;   in Loop: Header=BB14_14 Depth=1
	v_cmp_eq_u32_e32 vcc, 0, v1
	s_orn2_b64 s[42:43], vcc, exec
; %bb.99:                               ;   in Loop: Header=BB14_14 Depth=1
	s_or_b64 exec, exec, s[44:45]
	s_and_b64 exec, exec, s[42:43]
	s_cbranch_execz .LBB14_122
; %bb.100:                              ;   in Loop: Header=BB14_14 Depth=1
	v_add_u32_e32 v2, s82, v114
	v_cmp_gt_i32_e32 vcc, s76, v2
	v_mov_b32_e32 v1, 0x47
	s_and_saveexec_b64 s[42:43], vcc
	s_cbranch_execz .LBB14_102
; %bb.101:                              ;   in Loop: Header=BB14_14 Depth=1
	v_add_u32_e32 v1, 0, v146
	v_add_u32_e32 v1, 0xc0, v1
	ds_read2st64_b32 v[4:5], v1 offset1:13
	ds_read2st64_b32 v[6:7], v147 offset1:13
	v_readlane_b32 s44, v231, 42
	v_mad_u64_u32 v[2:3], s[44:45], v2, s44, v[38:39]
	v_ashrrev_i32_e32 v3, 31, v2
	s_waitcnt lgkmcnt(0)
	v_cvt_f32_f16_sdwa v9, v6 dst_sel:DWORD dst_unused:UNUSED_PAD src0_sel:WORD_1
	v_cvt_f32_f16_e32 v8, v6
	v_cvt_f32_f16_sdwa v11, v7 dst_sel:DWORD dst_unused:UNUSED_PAD src0_sel:WORD_1
	v_cvt_f32_f16_e32 v10, v7
	v_lshlrev_b64 v[2:3], 3, v[2:3]
	v_readlane_b32 s44, v230, 2
	v_add_co_u32_e32 v2, vcc, s44, v2
	v_readlane_b32 s44, v230, 3
	v_mov_b32_e32 v1, s44
	v_pk_fma_f32 v[8:9], v[4:5], v[8:9], 0 op_sel_hi:[0,1,0]
	v_mov_b32_e32 v4, v5
	v_addc_co_u32_e32 v3, vcc, v1, v3, vcc
	v_pk_fma_f32 v[4:5], v[4:5], v[10:11], v[8:9] op_sel_hi:[0,1,1]
	v_mov_b32_e32 v1, 0
	global_store_dwordx2 v[2:3], v[4:5], off
.LBB14_102:                             ;   in Loop: Header=BB14_14 Depth=1
	s_or_b64 exec, exec, s[42:43]
	s_movk_i32 s42, 0x47
	v_cmp_gt_i32_e32 vcc, s42, v1
	s_mov_b64 s[42:43], -1
	s_and_saveexec_b64 s[44:45], vcc
; %bb.103:                              ;   in Loop: Header=BB14_14 Depth=1
	v_cmp_eq_u32_e32 vcc, 0, v1
	s_orn2_b64 s[42:43], vcc, exec
; %bb.104:                              ;   in Loop: Header=BB14_14 Depth=1
	s_or_b64 exec, exec, s[44:45]
	s_and_b64 exec, exec, s[42:43]
	s_cbranch_execz .LBB14_122
; %bb.105:                              ;   in Loop: Header=BB14_14 Depth=1
	v_add_u32_e32 v2, s82, v115
	v_cmp_gt_i32_e32 vcc, s76, v2
	v_mov_b32_e32 v1, 0x47
	s_and_saveexec_b64 s[42:43], vcc
	s_cbranch_execz .LBB14_107
; %bb.106:                              ;   in Loop: Header=BB14_14 Depth=1
	v_add_u32_e32 v1, 0, v148
	v_add_u32_e32 v1, 0xc0, v1
	ds_read2st64_b32 v[4:5], v1 offset1:13
	ds_read2st64_b32 v[6:7], v149 offset1:13
	v_readlane_b32 s44, v231, 42
	v_mad_u64_u32 v[2:3], s[44:45], v2, s44, v[38:39]
	v_ashrrev_i32_e32 v3, 31, v2
	s_waitcnt lgkmcnt(0)
	v_cvt_f32_f16_sdwa v9, v6 dst_sel:DWORD dst_unused:UNUSED_PAD src0_sel:WORD_1
	v_cvt_f32_f16_e32 v8, v6
	v_cvt_f32_f16_sdwa v11, v7 dst_sel:DWORD dst_unused:UNUSED_PAD src0_sel:WORD_1
	v_cvt_f32_f16_e32 v10, v7
	v_lshlrev_b64 v[2:3], 3, v[2:3]
	v_readlane_b32 s44, v230, 2
	v_add_co_u32_e32 v2, vcc, s44, v2
	v_readlane_b32 s44, v230, 3
	v_mov_b32_e32 v1, s44
	v_pk_fma_f32 v[8:9], v[4:5], v[8:9], 0 op_sel_hi:[0,1,0]
	v_mov_b32_e32 v4, v5
	v_addc_co_u32_e32 v3, vcc, v1, v3, vcc
	v_pk_fma_f32 v[4:5], v[4:5], v[10:11], v[8:9] op_sel_hi:[0,1,1]
	v_mov_b32_e32 v1, 0
	global_store_dwordx2 v[2:3], v[4:5], off
.LBB14_107:                             ;   in Loop: Header=BB14_14 Depth=1
	s_or_b64 exec, exec, s[42:43]
	s_movk_i32 s42, 0x47
	v_cmp_gt_i32_e32 vcc, s42, v1
	s_mov_b64 s[42:43], -1
	s_and_saveexec_b64 s[44:45], vcc
; %bb.108:                              ;   in Loop: Header=BB14_14 Depth=1
	v_cmp_eq_u32_e32 vcc, 0, v1
	s_orn2_b64 s[42:43], vcc, exec
; %bb.109:                              ;   in Loop: Header=BB14_14 Depth=1
	;; [unrolled: 43-line block ×4, first 2 shown]
	s_or_b64 exec, exec, s[44:45]
	s_and_b64 exec, exec, s[42:43]
	s_cbranch_execz .LBB14_122
; %bb.120:                              ;   in Loop: Header=BB14_14 Depth=1
	v_add_u32_e32 v1, s82, v118
	v_cmp_gt_i32_e32 vcc, s76, v1
	s_and_b64 exec, exec, vcc
	s_cbranch_execz .LBB14_122
; %bb.121:                              ;   in Loop: Header=BB14_14 Depth=1
	v_add_u32_e32 v2, 0, v154
	v_add_u32_e32 v2, 0xc0, v2
	ds_read2st64_b32 v[2:3], v2 offset1:13
	ds_read2st64_b32 v[4:5], v155 offset1:13
	v_readlane_b32 s42, v231, 42
	v_mad_u64_u32 v[6:7], s[42:43], v1, s42, v[38:39]
	v_ashrrev_i32_e32 v7, 31, v6
	s_waitcnt lgkmcnt(0)
	v_cvt_f32_f16_sdwa v9, v4 dst_sel:DWORD dst_unused:UNUSED_PAD src0_sel:WORD_1
	v_cvt_f32_f16_e32 v8, v4
	v_cvt_f32_f16_sdwa v11, v5 dst_sel:DWORD dst_unused:UNUSED_PAD src0_sel:WORD_1
	v_cvt_f32_f16_e32 v10, v5
	v_lshlrev_b64 v[6:7], 3, v[6:7]
	v_readlane_b32 s42, v230, 2
	v_add_co_u32_e32 v6, vcc, s42, v6
	v_readlane_b32 s42, v230, 3
	v_mov_b32_e32 v1, s42
	v_pk_fma_f32 v[8:9], v[2:3], v[8:9], 0 op_sel_hi:[0,1,0]
	v_mov_b32_e32 v2, v3
	v_addc_co_u32_e32 v7, vcc, v1, v7, vcc
	v_pk_fma_f32 v[2:3], v[2:3], v[10:11], v[8:9] op_sel_hi:[0,1,1]
	global_store_dwordx2 v[6:7], v[2:3], off
.LBB14_122:                             ;   in Loop: Header=BB14_14 Depth=1
	s_or_b64 exec, exec, s[40:41]
	v_add_u32_e32 v2, s82, v119
	v_cmp_gt_i32_e32 vcc, s76, v2
	v_mov_b32_e32 v1, 0x47
	s_and_saveexec_b64 s[40:41], vcc
	s_cbranch_execz .LBB14_124
; %bb.123:                              ;   in Loop: Header=BB14_14 Depth=1
	v_add_u32_e32 v4, 0x80, v157
	ds_read2st64_b32 v[4:5], v4 offset1:13
	v_readlane_b32 s42, v231, 42
	v_mul_lo_u32 v1, v2, s42
	v_add_u32_e32 v2, 0, v156
	v_add_u32_e32 v2, 0xc0, v2
	ds_read2st64_b32 v[2:3], v2 offset1:13
	v_ashrrev_i32_e32 v7, 31, v1
	v_add_co_u32_e32 v6, vcc, v1, v24
	s_waitcnt lgkmcnt(1)
	v_cvt_f32_f16_sdwa v9, v4 dst_sel:DWORD dst_unused:UNUSED_PAD src0_sel:WORD_1
	v_cvt_f32_f16_e32 v8, v4
	v_addc_co_u32_e32 v7, vcc, 0, v7, vcc
	v_cvt_f32_f16_sdwa v11, v5 dst_sel:DWORD dst_unused:UNUSED_PAD src0_sel:WORD_1
	v_cvt_f32_f16_e32 v10, v5
	v_lshlrev_b64 v[6:7], 3, v[6:7]
	v_readlane_b32 s42, v230, 2
	v_add_co_u32_e32 v6, vcc, s42, v6
	v_readlane_b32 s42, v230, 3
	v_mov_b32_e32 v1, s42
	s_waitcnt lgkmcnt(0)
	v_pk_fma_f32 v[8:9], v[2:3], v[8:9], 0 op_sel_hi:[0,1,0]
	v_mov_b32_e32 v2, v3
	v_addc_co_u32_e32 v7, vcc, v1, v7, vcc
	v_pk_fma_f32 v[2:3], v[2:3], v[10:11], v[8:9] op_sel_hi:[0,1,1]
	v_mov_b32_e32 v1, 0
	global_store_dwordx2 v[6:7], v[2:3], off offset:256
.LBB14_124:                             ;   in Loop: Header=BB14_14 Depth=1
	s_or_b64 exec, exec, s[40:41]
	s_movk_i32 s40, 0x47
	v_cmp_gt_i32_e32 vcc, s40, v1
	s_mov_b64 s[40:41], -1
	s_and_saveexec_b64 s[42:43], vcc
; %bb.125:                              ;   in Loop: Header=BB14_14 Depth=1
	v_cmp_eq_u32_e32 vcc, 0, v1
	s_orn2_b64 s[40:41], vcc, exec
; %bb.126:                              ;   in Loop: Header=BB14_14 Depth=1
	s_or_b64 exec, exec, s[42:43]
	s_and_b64 exec, exec, s[40:41]
	s_cbranch_execz .LBB14_139
; %bb.127:                              ;   in Loop: Header=BB14_14 Depth=1
	v_add_u32_e32 v2, s82, v120
	v_cmp_gt_i32_e32 vcc, s76, v2
	v_mov_b32_e32 v1, 0x47
	s_and_saveexec_b64 s[40:41], vcc
	s_cbranch_execz .LBB14_129
; %bb.128:                              ;   in Loop: Header=BB14_14 Depth=1
	v_add_u32_e32 v4, 0x80, v159
	ds_read2st64_b32 v[4:5], v4 offset1:13
	v_readlane_b32 s42, v231, 42
	v_mul_lo_u32 v1, v2, s42
	v_add_u32_e32 v2, 0, v158
	v_add_u32_e32 v2, 0xc0, v2
	ds_read2st64_b32 v[2:3], v2 offset1:13
	v_ashrrev_i32_e32 v7, 31, v1
	v_add_co_u32_e32 v6, vcc, v1, v24
	s_waitcnt lgkmcnt(1)
	v_cvt_f32_f16_sdwa v9, v4 dst_sel:DWORD dst_unused:UNUSED_PAD src0_sel:WORD_1
	v_cvt_f32_f16_e32 v8, v4
	v_addc_co_u32_e32 v7, vcc, 0, v7, vcc
	v_cvt_f32_f16_sdwa v11, v5 dst_sel:DWORD dst_unused:UNUSED_PAD src0_sel:WORD_1
	v_cvt_f32_f16_e32 v10, v5
	v_lshlrev_b64 v[6:7], 3, v[6:7]
	v_readlane_b32 s42, v230, 2
	v_add_co_u32_e32 v6, vcc, s42, v6
	v_readlane_b32 s42, v230, 3
	v_mov_b32_e32 v1, s42
	s_waitcnt lgkmcnt(0)
	v_pk_fma_f32 v[8:9], v[2:3], v[8:9], 0 op_sel_hi:[0,1,0]
	v_mov_b32_e32 v2, v3
	v_addc_co_u32_e32 v7, vcc, v1, v7, vcc
	v_pk_fma_f32 v[2:3], v[2:3], v[10:11], v[8:9] op_sel_hi:[0,1,1]
	v_mov_b32_e32 v1, 0
	global_store_dwordx2 v[6:7], v[2:3], off offset:256
.LBB14_129:                             ;   in Loop: Header=BB14_14 Depth=1
	s_or_b64 exec, exec, s[40:41]
	s_movk_i32 s40, 0x47
	v_cmp_gt_i32_e32 vcc, s40, v1
	s_mov_b64 s[40:41], -1
	s_and_saveexec_b64 s[42:43], vcc
; %bb.130:                              ;   in Loop: Header=BB14_14 Depth=1
	v_cmp_eq_u32_e32 vcc, 0, v1
	s_orn2_b64 s[40:41], vcc, exec
; %bb.131:                              ;   in Loop: Header=BB14_14 Depth=1
	s_or_b64 exec, exec, s[42:43]
	s_and_b64 exec, exec, s[40:41]
	s_cbranch_execz .LBB14_139
; %bb.132:                              ;   in Loop: Header=BB14_14 Depth=1
	;; [unrolled: 47-line block ×3, first 2 shown]
	v_add_u32_e32 v1, s82, v122
	v_cmp_gt_i32_e32 vcc, s76, v1
	s_and_b64 exec, exec, vcc
	s_cbranch_execz .LBB14_139
; %bb.138:                              ;   in Loop: Header=BB14_14 Depth=1
	v_add_u32_e32 v4, 0x80, v163
	ds_read2st64_b32 v[4:5], v4 offset1:13
	v_add_u32_e32 v2, 0, v162
	v_readlane_b32 s40, v231, 42
	v_add_u32_e32 v2, 0xc0, v2
	v_mul_lo_u32 v1, v1, s40
	ds_read2st64_b32 v[2:3], v2 offset1:13
	v_ashrrev_i32_e32 v7, 31, v1
	v_add_co_u32_e32 v6, vcc, v1, v24
	s_waitcnt lgkmcnt(1)
	v_cvt_f32_f16_sdwa v9, v4 dst_sel:DWORD dst_unused:UNUSED_PAD src0_sel:WORD_1
	v_cvt_f32_f16_e32 v8, v4
	v_addc_co_u32_e32 v7, vcc, 0, v7, vcc
	v_cvt_f32_f16_sdwa v11, v5 dst_sel:DWORD dst_unused:UNUSED_PAD src0_sel:WORD_1
	v_cvt_f32_f16_e32 v10, v5
	v_lshlrev_b64 v[6:7], 3, v[6:7]
	v_readlane_b32 s40, v230, 2
	v_add_co_u32_e32 v6, vcc, s40, v6
	v_readlane_b32 s40, v230, 3
	v_mov_b32_e32 v1, s40
	s_waitcnt lgkmcnt(0)
	v_pk_fma_f32 v[8:9], v[2:3], v[8:9], 0 op_sel_hi:[0,1,0]
	v_mov_b32_e32 v2, v3
	v_addc_co_u32_e32 v7, vcc, v1, v7, vcc
	v_pk_fma_f32 v[2:3], v[2:3], v[10:11], v[8:9] op_sel_hi:[0,1,1]
	global_store_dwordx2 v[6:7], v[2:3], off offset:256
.LBB14_139:                             ;   in Loop: Header=BB14_14 Depth=1
	s_or_b64 exec, exec, s[38:39]
	s_barrier
	s_branch .LBB14_13
.LBB14_140:                             ;   in Loop: Header=BB14_14 Depth=1
	s_lshl_b32 s87, s87, 5
	v_add_u32_e32 v1, s87, v124
	v_cmp_le_i32_e32 vcc, s76, v1
	s_and_saveexec_b64 s[38:39], vcc
	s_xor_b64 s[38:39], exec, s[38:39]
	s_cbranch_execz .LBB14_142
; %bb.141:                              ;   in Loop: Header=BB14_14 Depth=1
	ds_write_b32 v138, v177
                                        ; implicit-def: $vgpr1
.LBB14_142:                             ;   in Loop: Header=BB14_14 Depth=1
	s_andn2_saveexec_b64 s[38:39], s[38:39]
	s_cbranch_execz .LBB14_144
; %bb.143:                              ;   in Loop: Header=BB14_14 Depth=1
	v_mad_u64_u32 v[2:3], s[40:41], v1, s50, v[38:39]
	v_ashrrev_i32_e32 v3, 31, v2
	v_lshlrev_b64 v[2:3], 3, v[2:3]
	v_mov_b32_e32 v1, s88
	v_add_co_u32_e32 v2, vcc, s94, v2
	v_addc_co_u32_e32 v3, vcc, v1, v3, vcc
	global_load_dwordx2 v[2:3], v[2:3], off
	s_waitcnt vmcnt(0)
	v_cvt_f16_f32_e32 v1, v2
	v_cvt_f16_f32_e32 v2, v3
	v_pack_b32_f16 v1, v1, v2
	v_pk_mul_f16 v1, v39, v1
	ds_write_b32 v138, v1
.LBB14_144:                             ;   in Loop: Header=BB14_14 Depth=1
	s_or_b64 exec, exec, s[38:39]
	v_add_u32_e32 v1, s87, v205
	v_cmp_le_i32_e32 vcc, s76, v1
	s_and_saveexec_b64 s[38:39], vcc
	s_xor_b64 s[38:39], exec, s[38:39]
	s_cbranch_execz .LBB14_146
; %bb.145:                              ;   in Loop: Header=BB14_14 Depth=1
	ds_write_b32 v138, v177 offset:1664
                                        ; implicit-def: $vgpr1
.LBB14_146:                             ;   in Loop: Header=BB14_14 Depth=1
	s_andn2_saveexec_b64 s[38:39], s[38:39]
	s_cbranch_execz .LBB14_148
; %bb.147:                              ;   in Loop: Header=BB14_14 Depth=1
	v_mad_u64_u32 v[2:3], s[40:41], v1, s50, v[38:39]
	v_ashrrev_i32_e32 v3, 31, v2
	v_lshlrev_b64 v[2:3], 3, v[2:3]
	v_mov_b32_e32 v1, s88
	v_add_co_u32_e32 v2, vcc, s94, v2
	v_addc_co_u32_e32 v3, vcc, v1, v3, vcc
	global_load_dwordx2 v[2:3], v[2:3], off
	s_waitcnt vmcnt(0)
	v_cvt_f16_f32_e32 v1, v2
	v_cvt_f16_f32_e32 v2, v3
	v_pack_b32_f16 v1, v1, v2
	v_pk_mul_f16 v1, v39, v1
	ds_write_b32 v138, v1 offset:1664
.LBB14_148:                             ;   in Loop: Header=BB14_14 Depth=1
	s_or_b64 exec, exec, s[38:39]
	v_add_u32_e32 v1, s87, v206
	v_cmp_le_i32_e32 vcc, s76, v1
	s_and_saveexec_b64 s[38:39], vcc
	s_xor_b64 s[38:39], exec, s[38:39]
	s_cbranch_execz .LBB14_150
; %bb.149:                              ;   in Loop: Header=BB14_14 Depth=1
	ds_write_b32 v138, v177 offset:3328
                                        ; implicit-def: $vgpr1
.LBB14_150:                             ;   in Loop: Header=BB14_14 Depth=1
	s_andn2_saveexec_b64 s[38:39], s[38:39]
	s_cbranch_execz .LBB14_152
; %bb.151:                              ;   in Loop: Header=BB14_14 Depth=1
	v_mad_u64_u32 v[2:3], s[40:41], v1, s50, v[38:39]
	v_ashrrev_i32_e32 v3, 31, v2
	v_lshlrev_b64 v[2:3], 3, v[2:3]
	v_mov_b32_e32 v1, s88
	v_add_co_u32_e32 v2, vcc, s94, v2
	v_addc_co_u32_e32 v3, vcc, v1, v3, vcc
	global_load_dwordx2 v[2:3], v[2:3], off
	s_waitcnt vmcnt(0)
	v_cvt_f16_f32_e32 v1, v2
	v_cvt_f16_f32_e32 v2, v3
	v_pack_b32_f16 v1, v1, v2
	v_pk_mul_f16 v1, v39, v1
	ds_write_b32 v138, v1 offset:3328
.LBB14_152:                             ;   in Loop: Header=BB14_14 Depth=1
	;; [unrolled: 27-line block ×3, first 2 shown]
	s_or_b64 exec, exec, s[38:39]
	v_add_u32_e32 v1, s87, v125
	v_cmp_le_i32_e32 vcc, s76, v1
	s_and_saveexec_b64 s[38:39], vcc
	s_xor_b64 s[38:39], exec, s[38:39]
	s_cbranch_execz .LBB14_158
; %bb.157:                              ;   in Loop: Header=BB14_14 Depth=1
	ds_write_b32 v139, v177 offset:128
                                        ; implicit-def: $vgpr1
.LBB14_158:                             ;   in Loop: Header=BB14_14 Depth=1
	s_andn2_saveexec_b64 s[38:39], s[38:39]
	s_cbranch_execz .LBB14_160
; %bb.159:                              ;   in Loop: Header=BB14_14 Depth=1
	v_mul_lo_u32 v1, v1, s50
	v_ashrrev_i32_e32 v3, 31, v1
	v_add_co_u32_e32 v2, vcc, v1, v24
	v_addc_co_u32_e32 v3, vcc, 0, v3, vcc
	v_lshlrev_b64 v[2:3], 3, v[2:3]
	v_mov_b32_e32 v1, s88
	v_add_co_u32_e32 v2, vcc, s94, v2
	v_addc_co_u32_e32 v3, vcc, v1, v3, vcc
	global_load_dwordx2 v[2:3], v[2:3], off offset:256
	s_waitcnt vmcnt(0)
	v_cvt_f16_f32_e32 v1, v2
	v_cvt_f16_f32_e32 v2, v3
	v_pack_b32_f16 v1, v1, v2
	v_pk_mul_f16 v1, v39, v1
	ds_write_b32 v139, v1 offset:128
.LBB14_160:                             ;   in Loop: Header=BB14_14 Depth=1
	s_or_b64 exec, exec, s[38:39]
	v_add_u32_e32 v1, s87, v208
	v_cmp_le_i32_e32 vcc, s76, v1
	s_and_saveexec_b64 s[38:39], vcc
	s_xor_b64 s[38:39], exec, s[38:39]
	s_cbranch_execz .LBB14_162
; %bb.161:                              ;   in Loop: Header=BB14_14 Depth=1
	ds_write_b32 v139, v177 offset:3456
                                        ; implicit-def: $vgpr1
.LBB14_162:                             ;   in Loop: Header=BB14_14 Depth=1
	s_andn2_saveexec_b64 s[38:39], s[38:39]
	s_cbranch_execz .LBB14_164
; %bb.163:                              ;   in Loop: Header=BB14_14 Depth=1
	v_mul_lo_u32 v1, v1, s50
	v_ashrrev_i32_e32 v3, 31, v1
	v_add_co_u32_e32 v2, vcc, v1, v24
	v_addc_co_u32_e32 v3, vcc, 0, v3, vcc
	v_lshlrev_b64 v[2:3], 3, v[2:3]
	v_mov_b32_e32 v1, s88
	v_add_co_u32_e32 v2, vcc, s94, v2
	v_addc_co_u32_e32 v3, vcc, v1, v3, vcc
	global_load_dwordx2 v[2:3], v[2:3], off offset:256
	s_waitcnt vmcnt(0)
	v_cvt_f16_f32_e32 v1, v2
	v_cvt_f16_f32_e32 v2, v3
	v_pack_b32_f16 v1, v1, v2
	v_pk_mul_f16 v1, v39, v1
	ds_write_b32 v139, v1 offset:3456
.LBB14_164:                             ;   in Loop: Header=BB14_14 Depth=1
	s_or_b64 exec, exec, s[38:39]
	s_waitcnt lgkmcnt(0)
	s_barrier
	ds_read2_b64 v[10:13], v129 offset1:4
	ds_read2_b64 v[6:9], v129 offset0:8 offset1:12
	ds_read2_b64 v[2:5], v129 offset0:16 offset1:20
	s_mov_b32 s44, 0
	s_cmp_lt_i32 s9, 2
	v_mov_b32_e32 v219, 0
	v_cmp_ne_u64_e64 s[38:39], 0, v[52:53]
	s_waitcnt lgkmcnt(0)
	s_barrier
	s_cbranch_scc1 .LBB14_175
; %bb.165:                              ;   in Loop: Header=BB14_14 Depth=1
	v_add_u32_e32 v1, s87, v85
	v_mul_hi_u32 v14, s92, v1
	v_add_u32_e32 v14, v1, v14
	v_lshrrev_b32_e32 v14, s93, v14
	v_mul_lo_u32 v14, v14, s76
	v_sub_u32_e32 v14, v1, v14
	v_add_u32_e32 v1, s87, v178
	v_mul_hi_u32 v15, s92, v1
	v_add_u32_e32 v15, v1, v15
	v_lshrrev_b32_e32 v15, s93, v15
	v_mul_lo_u32 v15, v15, s76
	v_sub_u32_e32 v15, v1, v15
	;; [unrolled: 6-line block ×8, first 2 shown]
	v_and_b32_e32 v1, 64, v176
	v_add_u32_e32 v1, 64, v1
	v_xor_b32_e32 v23, 32, v176
	v_cmp_lt_i32_e32 vcc, v23, v1
	v_cndmask_b32_e32 v23, v176, v23, vcc
	s_add_i32 s44, s9, -1
	v_lshlrev_b32_e32 v57, 2, v23
	v_xor_b32_e32 v23, 16, v176
	v_readlane_b32 s9, v230, 4
	v_readlane_b32 s40, v230, 6
	v_cmp_lt_i32_e32 vcc, v23, v1
	s_add_u32 s9, s9, s40
	v_readlane_b32 s40, v230, 5
	v_readlane_b32 s41, v230, 7
	v_cndmask_b32_e32 v1, v176, v23, vcc
	s_addc_u32 s40, s40, s41
	v_lshlrev_b32_e32 v59, 2, v1
	v_mov_b32_e32 v1, s40
	v_add_co_u32_e32 v56, vcc, s9, v164
	v_addc_co_u32_e32 v1, vcc, v165, v1, vcc
	v_mov_b32_e32 v23, s40
	v_add_co_u32_e32 v58, vcc, s9, v166
	v_addc_co_u32_e32 v23, vcc, v167, v23, vcc
	v_mov_b32_e32 v25, s40
	v_add_co_u32_e32 v60, vcc, s9, v168
	v_readlane_b32 s9, v230, 8
	v_readlane_b32 s40, v230, 10
	s_add_u32 s9, s9, s40
	v_readlane_b32 s40, v230, 9
	v_readlane_b32 s41, v230, 11
	v_addc_co_u32_e32 v25, vcc, v169, v25, vcc
	s_addc_u32 s40, s40, s41
	v_mov_b32_e32 v27, s40
	v_add_co_u32_e32 v62, vcc, s9, v170
	v_addc_co_u32_e32 v27, vcc, v171, v27, vcc
	v_mov_b32_e32 v29, s40
	v_add_co_u32_e32 v64, vcc, s9, v172
	v_addc_co_u32_e32 v29, vcc, v173, v29, vcc
	v_mov_b32_e32 v37, s40
	v_readlane_b32 s40, v231, 60
	v_add_co_u32_e32 v66, vcc, s9, v174
	v_readlane_b32 s41, v231, 61
	s_mov_b32 s42, s40
	v_mov_b32_e32 v215, 0
	v_mov_b32_e32 v54, v50
	;; [unrolled: 1-line block ×3, first 2 shown]
	v_addc_co_u32_e32 v37, vcc, v175, v37, vcc
	v_mad_i64_i32 v[68:69], s[40:41], s42, v17, v[52:53]
	v_mad_i64_i32 v[70:71], s[40:41], s42, v16, v[52:53]
	;; [unrolled: 1-line block ×8, first 2 shown]
	v_mov_b32_e32 v221, 0
	v_mov_b32_e32 v222, 0xfeffffff
	s_mov_b32 s9, s44
	v_mov_b32_e32 v216, 0
	v_mov_b32_e32 v214, 0
	;; [unrolled: 1-line block ×11, first 2 shown]
	v_cndmask_b32_e64 v14, 0, 1, s[38:39]
	v_cmp_ne_u32_e64 s[40:41], 1, v14
	s_andn2_b64 vcc, exec, s[38:39]
	s_cbranch_vccnz .LBB14_171
.LBB14_166:                             ;   in Loop: Header=BB14_14 Depth=1
                                        ; implicit-def: $sgpr45
	s_and_saveexec_b64 s[42:43], s[4:5]
	s_xor_b64 s[42:43], exec, s[42:43]
	s_cbranch_execz .LBB14_168
; %bb.167:                              ;   in Loop: Header=BB14_14 Depth=1
	ds_write_b16 v126, v177 offset:13312
	ds_write_b16 v179, v177 offset:13312
	;; [unrolled: 1-line block ×4, first 2 shown]
	s_mov_b32 s45, 0
.LBB14_168:                             ;   in Loop: Header=BB14_14 Depth=1
	s_or_saveexec_b64 s[42:43], s[42:43]
	v_mov_b32_e32 v14, s45
	v_mov_b32_e32 v15, s45
	;; [unrolled: 1-line block ×4, first 2 shown]
	s_xor_b64 exec, exec, s[42:43]
	s_cbranch_execz .LBB14_170
; %bb.169:                              ;   in Loop: Header=BB14_14 Depth=1
	v_add_co_u32_e32 v14, vcc, v74, v36
	v_addc_co_u32_e32 v15, vcc, 0, v75, vcc
	flat_load_ushort v16, v[14:15]
	v_add_co_u32_e32 v14, vcc, v72, v36
	v_addc_co_u32_e32 v15, vcc, 0, v73, vcc
	flat_load_ushort v17, v[14:15]
	;; [unrolled: 3-line block ×4, first 2 shown]
	s_waitcnt vmcnt(0) lgkmcnt(0)
	ds_write_b16 v126, v16 offset:13312
	ds_write_b16 v179, v17 offset:13312
	ds_write_b16 v181, v18 offset:13312
	ds_write_b16 v183, v14 offset:13312
	v_add_co_u32_e32 v14, vcc, v82, v36
	v_addc_co_u32_e32 v15, vcc, 0, v83, vcc
	v_add_co_u32_e32 v16, vcc, v80, v36
	v_addc_co_u32_e32 v17, vcc, 0, v81, vcc
	flat_load_ushort v14, v[14:15]
	s_nop 0
	flat_load_ushort v15, v[16:17]
	v_add_co_u32_e32 v16, vcc, v78, v36
	v_addc_co_u32_e32 v17, vcc, 0, v79, vcc
	v_add_co_u32_e32 v18, vcc, v76, v36
	v_addc_co_u32_e32 v19, vcc, 0, v77, vcc
	flat_load_ushort v16, v[16:17]
	s_nop 0
	flat_load_ushort v17, v[18:19]
.LBB14_170:                             ;   in Loop: Header=BB14_14 Depth=1
	s_or_b64 exec, exec, s[42:43]
	s_waitcnt vmcnt(0) lgkmcnt(0)
	ds_write_b16 v185, v14 offset:13312
	ds_write_b16 v187, v15 offset:13312
	ds_write_b16 v189, v16 offset:13312
	ds_write_b16 v191, v17 offset:13312
.LBB14_171:                             ;   Parent Loop BB14_14 Depth=1
                                        ; =>  This Inner Loop Header: Depth=2
	v_mov_b32_e32 v18, s37
	v_mov_b32_e32 v19, s36
	buffer_store_dword v177, off, s[0:3], 0
	buffer_store_dword v177, off, s[0:3], 0 offset:4
	buffer_store_dword v177, off, s[0:3], 0 offset:8
	;; [unrolled: 1-line block ×3, first 2 shown]
	v_cndmask_b32_e64 v15, v18, v27, s[6:7]
	v_cndmask_b32_e64 v14, v19, v62, s[6:7]
	flat_load_dwordx4 v[14:17], v[14:15]
	v_add_u32_e32 v51, v49, v128
	s_waitcnt vmcnt(0) lgkmcnt(0)
	ds_write_b128 v90, v[14:17]
	v_add_co_u32_e32 v14, vcc, v64, v48
	v_addc_co_u32_e32 v15, vcc, 0, v29, vcc
	v_cndmask_b32_e64 v15, v18, v15, s[56:57]
	v_cndmask_b32_e64 v14, v19, v14, s[56:57]
	flat_load_dwordx4 v[14:17], v[14:15]
	s_waitcnt vmcnt(0) lgkmcnt(0)
	ds_write_b128 v92, v[14:17]
	v_add_co_u32_e32 v14, vcc, v66, v48
	v_addc_co_u32_e32 v15, vcc, 0, v37, vcc
	v_cndmask_b32_e64 v15, v18, v15, s[10:11]
	v_cndmask_b32_e64 v14, v19, v14, s[10:11]
	flat_load_dwordx4 v[14:17], v[14:15]
	s_and_b64 vcc, exec, s[40:41]
	s_waitcnt vmcnt(0) lgkmcnt(0)
	ds_write_b128 v193, v[14:17]
	s_waitcnt lgkmcnt(0)
	s_barrier
	ds_read2_b64 v[14:17], v51 offset1:4
	s_waitcnt lgkmcnt(0)
	v_mfma_f32_16x16x16f16 v[18:21], v[14:15], v[10:11], 0
	v_mfma_f32_16x16x16f16 v[14:17], v[16:17], v[12:13], v[18:21]
	s_nop 7
	s_nop 1
	ds_read2_b64 v[18:21], v51 offset0:8 offset1:12
	s_waitcnt lgkmcnt(0)
	v_mfma_f32_16x16x16f16 v[14:17], v[18:19], v[6:7], v[14:17]
	v_mfma_f32_16x16x16f16 v[14:17], v[20:21], v[8:9], v[14:17]
	ds_read2_b64 v[18:21], v51 offset0:16 offset1:20
	v_add_u32_e32 v51, 0x1800, v51
	s_waitcnt lgkmcnt(0)
	v_mfma_f32_16x16x16f16 v[14:17], v[18:19], v[2:3], v[14:17]
	v_mfma_f32_16x16x16f16 v[18:21], v[20:21], v[4:5], v[14:17]
	s_nop 7
	s_nop 1
	ds_read2_b64 v[14:17], v51 offset0:64 offset1:68
	s_waitcnt lgkmcnt(0)
	v_mfma_f32_16x16x16f16 v[224:227], v[14:15], v[10:11], 0
	v_mfma_f32_16x16x16f16 v[14:17], v[16:17], v[12:13], v[224:227]
	s_nop 7
	s_nop 1
	ds_read2_b64 v[224:227], v51 offset0:72 offset1:76
	s_waitcnt lgkmcnt(0)
	v_mfma_f32_16x16x16f16 v[14:17], v[224:225], v[6:7], v[14:17]
	v_mfma_f32_16x16x16f16 v[14:17], v[226:227], v[8:9], v[14:17]
	ds_read2_b64 v[224:227], v51 offset0:80 offset1:84
	s_waitcnt lgkmcnt(0)
	s_barrier
	v_mfma_f32_16x16x16f16 v[14:17], v[224:225], v[2:3], v[14:17]
	v_mfma_f32_16x16x16f16 v[14:17], v[226:227], v[4:5], v[14:17]
	s_cbranch_vccnz .LBB14_173
; %bb.172:                              ;   in Loop: Header=BB14_171 Depth=2
	v_add_u32_e32 v51, 0x3400, v130
	ds_read2_b32 v[224:225], v51 offset1:1
	ds_read_b32 v223, v132 offset:13312
	v_mov_b32_e32 v51, v50
	s_waitcnt lgkmcnt(1)
	v_cvt_f32_f16_e32 v226, v224
	v_cvt_f32_f16_sdwa v227, v224 dst_sel:DWORD dst_unused:UNUSED_PAD src0_sel:WORD_1
	v_cvt_f32_f16_e32 v224, v225
	v_cvt_f32_f16_sdwa v225, v225 dst_sel:DWORD dst_unused:UNUSED_PAD src0_sel:WORD_1
	v_pk_fma_f32 v[18:19], v[54:55], v[226:227], v[18:19]
	v_pk_fma_f32 v[20:21], v[50:51], v[224:225], v[20:21]
	s_waitcnt lgkmcnt(0)
	v_cvt_f32_f16_sdwa v225, v223 dst_sel:DWORD dst_unused:UNUSED_PAD src0_sel:WORD_1
	v_cvt_f32_f16_e32 v224, v223
	ds_read_b32 v223, v134 offset:13312
	v_pk_fma_f32 v[14:15], v[54:55], v[224:225], v[14:15]
	s_waitcnt lgkmcnt(0)
	v_cvt_f32_f16_sdwa v227, v223 dst_sel:DWORD dst_unused:UNUSED_PAD src0_sel:WORD_1
	v_cvt_f32_f16_e32 v226, v223
	v_pk_fma_f32 v[16:17], v[50:51], v[226:227], v[16:17]
.LBB14_173:                             ;   in Loop: Header=BB14_171 Depth=2
	v_add_f32_e32 v51, 0x40051340, v18
	v_max_f32_e32 v223, v222, v222
	v_max_f32_e32 v51, v223, v51
	v_cndmask_b32_e64 v51, v222, v51, s[12:13]
	v_add_f32_e32 v223, 0x40051340, v19
	v_max_f32_e32 v224, v51, v51
	v_max_f32_e32 v223, v224, v223
	v_cndmask_b32_e64 v51, v51, v223, s[14:15]
	;; [unrolled: 4-line block ×8, first 2 shown]
	ds_bpermute_b32 v223, v57, v51
	v_max_f32_e32 v51, v51, v51
	v_cndmask_b32_e64 v20, v20, v20, s[14:15]
	v_cndmask_b32_e64 v21, v21, v21, s[14:15]
	;; [unrolled: 1-line block ×3, first 2 shown]
	s_waitcnt lgkmcnt(0)
	v_max_f32_e32 v223, v223, v223
	v_max_f32_e32 v51, v51, v223
	ds_bpermute_b32 v223, v59, v51
	v_cndmask_b32_e64 v16, v16, v16, s[20:21]
	v_cndmask_b32_e64 v17, v17, v17, s[20:21]
	buffer_store_dword v177, off, s[0:3], 0
	buffer_store_dword v177, off, s[0:3], 0 offset:4
	buffer_store_dword v177, off, s[0:3], 0 offset:8
	;; [unrolled: 1-line block ×3, first 2 shown]
	s_add_i32 s9, s9, -1
	s_waitcnt lgkmcnt(0)
	v_max_f32_e32 v223, v223, v223
	v_max_f32_e32 v51, v51, v223
	v_sub_f32_e32 v18, v18, v51
	v_mul_f32_e32 v223, 0x3fb8aa3b, v18
	v_fma_f32 v224, v18, s86, -v223
	v_rndne_f32_e32 v225, v223
	v_fmac_f32_e32 v224, 0x32a5705f, v18
	v_sub_f32_e32 v223, v223, v225
	v_add_f32_e32 v223, v223, v224
	v_exp_f32_e32 v223, v223
	v_cvt_i32_f32_e32 v224, v225
	v_cmp_ngt_f32_e32 vcc, s28, v18
	v_sub_f32_e32 v14, v14, v51
	v_sub_f32_e32 v15, v15, v51
	v_ldexp_f32 v223, v223, v224
	v_cndmask_b32_e32 v223, 0, v223, vcc
	v_cmp_nlt_f32_e32 vcc, s77, v18
	v_cndmask_b32_e32 v18, v211, v223, vcc
	v_cndmask_b32_e64 v224, 0, v18, s[12:13]
	v_sub_f32_e32 v18, v19, v51
	v_mul_f32_e32 v19, 0x3fb8aa3b, v18
	v_fma_f32 v223, v18, s86, -v19
	v_rndne_f32_e32 v225, v19
	v_fmac_f32_e32 v223, 0x32a5705f, v18
	v_sub_f32_e32 v19, v19, v225
	v_add_f32_e32 v19, v19, v223
	v_exp_f32_e32 v19, v19
	v_cvt_i32_f32_e32 v223, v225
	v_cmp_ngt_f32_e32 vcc, s28, v18
	s_cmp_lg_u32 s9, 0
	v_ldexp_f32 v19, v19, v223
	v_cndmask_b32_e32 v19, 0, v19, vcc
	v_cmp_nlt_f32_e32 vcc, s77, v18
	v_cndmask_b32_e32 v18, v211, v19, vcc
	v_mov_b32_e32 v19, s89
	v_add_f32_e32 v223, v18, v224
	v_cndmask_b32_e64 v225, v19, v18, s[14:15]
	v_sub_f32_e32 v18, v20, v51
	v_mul_f32_e32 v20, 0x3fb8aa3b, v18
	v_cndmask_b32_e64 v19, v224, v223, s[14:15]
	v_fma_f32 v223, v18, s86, -v20
	v_rndne_f32_e32 v226, v20
	v_fmac_f32_e32 v223, 0x32a5705f, v18
	v_sub_f32_e32 v20, v20, v226
	v_add_f32_e32 v20, v20, v223
	v_exp_f32_e32 v20, v20
	v_cvt_i32_f32_e32 v223, v226
	v_cmp_ngt_f32_e32 vcc, s28, v18
	v_ldexp_f32 v20, v20, v223
	v_cndmask_b32_e32 v20, 0, v20, vcc
	v_cmp_nlt_f32_e32 vcc, s77, v18
	v_cndmask_b32_e32 v20, v211, v20, vcc
	v_add_f32_e32 v223, v19, v20
	v_mov_b32_e32 v18, s89
	v_cndmask_b32_e64 v226, v18, v20, s[16:17]
	v_cndmask_b32_e64 v18, v19, v223, s[16:17]
	v_sub_f32_e32 v19, v21, v51
	v_mul_f32_e32 v20, 0x3fb8aa3b, v19
	v_fma_f32 v21, v19, s86, -v20
	v_rndne_f32_e32 v223, v20
	v_fmac_f32_e32 v21, 0x32a5705f, v19
	v_sub_f32_e32 v20, v20, v223
	v_add_f32_e32 v20, v20, v21
	v_exp_f32_e32 v20, v20
	v_cvt_i32_f32_e32 v21, v223
	v_cmp_ngt_f32_e32 vcc, s28, v19
	v_ldexp_f32 v20, v20, v21
	v_cndmask_b32_e32 v20, 0, v20, vcc
	v_cmp_nlt_f32_e32 vcc, s77, v19
	v_cndmask_b32_e32 v20, v211, v20, vcc
	v_mov_b32_e32 v19, s89
	v_add_f32_e32 v21, v18, v20
	v_cndmask_b32_e64 v223, v19, v20, s[18:19]
	v_mul_f32_e32 v19, 0x3fb8aa3b, v14
	v_cndmask_b32_e64 v18, v18, v21, s[18:19]
	v_fma_f32 v20, v14, s86, -v19
	v_rndne_f32_e32 v21, v19
	v_fmac_f32_e32 v20, 0x32a5705f, v14
	v_sub_f32_e32 v19, v19, v21
	v_add_f32_e32 v19, v19, v20
	v_exp_f32_e32 v19, v19
	v_cvt_i32_f32_e32 v20, v21
	v_cmp_ngt_f32_e32 vcc, s28, v14
	v_ldexp_f32 v19, v19, v20
	v_cndmask_b32_e32 v19, 0, v19, vcc
	v_cmp_nlt_f32_e32 vcc, s77, v14
	v_cndmask_b32_e32 v19, v211, v19, vcc
	v_add_f32_e32 v20, v19, v18
	v_mov_b32_e32 v14, s89
	v_cndmask_b32_e64 v227, v14, v19, s[20:21]
	v_cndmask_b32_e64 v14, v18, v20, s[20:21]
	v_mul_f32_e32 v18, 0x3fb8aa3b, v15
	v_fma_f32 v19, v15, s86, -v18
	v_rndne_f32_e32 v20, v18
	v_fmac_f32_e32 v19, 0x32a5705f, v15
	v_sub_f32_e32 v18, v18, v20
	v_add_f32_e32 v18, v18, v19
	v_exp_f32_e32 v18, v18
	v_cvt_i32_f32_e32 v19, v20
	v_cmp_ngt_f32_e32 vcc, s28, v15
	v_ldexp_f32 v18, v18, v19
	v_cndmask_b32_e32 v18, 0, v18, vcc
	v_cmp_nlt_f32_e32 vcc, s77, v15
	v_cndmask_b32_e32 v18, v211, v18, vcc
	v_add_f32_e32 v19, v18, v14
	v_mov_b32_e32 v15, s89
	v_cndmask_b32_e64 v228, v15, v18, s[22:23]
	v_cndmask_b32_e64 v15, v14, v19, s[22:23]
	v_sub_f32_e32 v14, v16, v51
	v_mul_f32_e32 v16, 0x3fb8aa3b, v14
	v_fma_f32 v18, v14, s86, -v16
	v_rndne_f32_e32 v19, v16
	v_fmac_f32_e32 v18, 0x32a5705f, v14
	v_sub_f32_e32 v16, v16, v19
	v_add_f32_e32 v16, v16, v18
	v_exp_f32_e32 v16, v16
	v_cvt_i32_f32_e32 v18, v19
	v_cmp_ngt_f32_e32 vcc, s28, v14
	v_ldexp_f32 v16, v16, v18
	v_cndmask_b32_e32 v16, 0, v16, vcc
	v_cmp_nlt_f32_e32 vcc, s77, v14
	v_cndmask_b32_e32 v16, v211, v16, vcc
	v_add_f32_e32 v18, v16, v15
	v_mov_b32_e32 v14, s89
	v_cndmask_b32_e64 v229, v14, v16, s[24:25]
	v_cndmask_b32_e64 v14, v15, v18, s[24:25]
	v_sub_f32_e32 v15, v17, v51
	v_mul_f32_e32 v16, 0x3fb8aa3b, v15
	v_fma_f32 v17, v15, s86, -v16
	v_rndne_f32_e32 v18, v16
	v_fmac_f32_e32 v17, 0x32a5705f, v15
	v_sub_f32_e32 v16, v16, v18
	v_add_f32_e32 v16, v16, v17
	v_exp_f32_e32 v16, v16
	v_cvt_i32_f32_e32 v17, v18
	v_cmp_ngt_f32_e32 vcc, s28, v15
	v_ldexp_f32 v16, v16, v17
	v_cndmask_b32_e32 v16, 0, v16, vcc
	v_cmp_nlt_f32_e32 vcc, s77, v15
	v_cndmask_b32_e32 v16, v211, v16, vcc
	v_add_f32_e32 v17, v16, v14
	v_mov_b32_e32 v15, s89
	v_cndmask_b32_e64 v18, v14, v17, s[26:27]
	v_sub_f32_e32 v14, v222, v51
	v_cndmask_b32_e64 v15, v15, v16, s[26:27]
	v_mul_f32_e32 v16, 0x3fb8aa3b, v14
	v_fma_f32 v17, v14, s86, -v16
	v_rndne_f32_e32 v19, v16
	v_fmac_f32_e32 v17, 0x32a5705f, v14
	v_sub_f32_e32 v16, v16, v19
	v_add_f32_e32 v16, v16, v17
	v_exp_f32_e32 v16, v16
	v_cvt_i32_f32_e32 v17, v19
	v_cmp_ngt_f32_e32 vcc, s28, v14
	v_cvt_f16_f32_e32 v15, v15
	v_ldexp_f32 v16, v16, v17
	v_cndmask_b32_e32 v16, 0, v16, vcc
	v_cmp_nlt_f32_e32 vcc, s77, v14
	v_cndmask_b32_e32 v16, v211, v16, vcc
	v_cmp_le_f32_e32 vcc, s29, v14
	v_cndmask_b32_e32 v14, 0, v16, vcc
	v_fmac_f32_e32 v18, v221, v14
	v_cvt_f16_f32_e32 v14, v14
	v_cvt_f16_f32_e32 v16, v225
	v_cvt_f16_f32_e32 v17, v223
	v_pk_mul_f16 v63, v14, v63 op_sel_hi:[0,1]
	v_pk_mul_f16 v61, v14, v61 op_sel_hi:[0,1]
	;; [unrolled: 1-line block ×12, first 2 shown]
	v_cvt_f16_f32_e32 v14, v224
	v_cvt_f16_f32_e32 v216, v228
	v_mov_b32_e32 v219, s37
	v_mov_b32_e32 v220, s36
	v_pack_b32_f16 v16, v14, v16
	v_cvt_f16_f32_e32 v14, v226
	v_cndmask_b32_e64 v217, v219, v1, s[6:7]
	v_pack_b32_f16 v17, v14, v17
	v_cvt_f16_f32_e32 v14, v227
	v_pack_b32_f16 v14, v14, v216
	v_cvt_f16_f32_e32 v216, v229
	v_pack_b32_f16 v15, v216, v15
	v_cndmask_b32_e64 v216, v220, v56, s[6:7]
	flat_load_dwordx4 v[222:225], v[216:217]
	v_add_co_u32_e32 v216, vcc, v58, v48
	v_addc_co_u32_e32 v217, vcc, 0, v23, vcc
	v_cndmask_b32_e64 v217, v219, v217, s[56:57]
	v_cndmask_b32_e64 v216, v220, v216, s[56:57]
	s_waitcnt vmcnt(0) lgkmcnt(0)
	ds_write_b128 v90, v[222:225]
	flat_load_dwordx4 v[222:225], v[216:217]
	v_add_co_u32_e32 v216, vcc, v60, v48
	v_addc_co_u32_e32 v217, vcc, 0, v25, vcc
	v_cndmask_b32_e64 v217, v219, v217, s[10:11]
	v_cndmask_b32_e64 v216, v220, v216, s[10:11]
	v_add_co_u32_e32 v56, vcc, s96, v56
	s_waitcnt vmcnt(0) lgkmcnt(0)
	ds_write_b128 v92, v[222:225]
	flat_load_dwordx4 v[222:225], v[216:217]
	s_waitcnt vmcnt(0) lgkmcnt(0)
	ds_write_b128 v193, v[222:225]
	s_waitcnt lgkmcnt(0)
	s_barrier
	ds_read_u16 v216, v94 offset:208
	ds_read_u16 v217, v94 offset:416
	v_cvt_f32_f16_e32 v224, v61
	v_cvt_f32_f16_sdwa v225, v61 dst_sel:DWORD dst_unused:UNUSED_PAD src0_sel:WORD_1
	ds_read_u16 v61, v95
	ds_read_u16 v219, v95 offset:32
	v_cvt_f32_f16_e32 v222, v63
	v_cvt_f32_f16_sdwa v223, v63 dst_sel:DWORD dst_unused:UNUSED_PAD src0_sel:WORD_1
	s_waitcnt lgkmcnt(1)
	v_perm_b32 v217, v61, v217, s80
	ds_read_u16 v61, v93
	ds_read_u16 v220, v93 offset:32
	ds_read_u16 v226, v93 offset:6656
	;; [unrolled: 1-line block ×5, first 2 shown]
	s_waitcnt lgkmcnt(5)
	v_perm_b32 v216, v216, v61, s80
	s_nop 1
	v_mfma_f32_16x16x16f16 v[222:225], v[216:217], v[16:17], v[222:225]
	s_nop 7
	s_nop 2
	v_cvt_f16_f32_e32 v216, v224
	v_cvt_f16_f32_e32 v217, v225
	;; [unrolled: 1-line block ×4, first 2 shown]
	v_cvt_f32_f16_e32 v224, v216
	v_cvt_f32_f16_e32 v225, v217
	s_waitcnt lgkmcnt(0)
	v_perm_b32 v217, v229, v228, s80
	v_perm_b32 v216, v227, v226, s80
	v_cvt_f32_f16_e32 v222, v61
	v_cvt_f32_f16_e32 v223, v63
	s_nop 1
	v_mfma_f32_16x16x16f16 v[222:225], v[216:217], v[14:15], v[222:225]
	s_nop 7
	s_nop 2
	v_cvt_f16_f32_e32 v61, v222
	v_cvt_f16_f32_e32 v63, v223
	;; [unrolled: 1-line block ×4, first 2 shown]
	v_cvt_f32_f16_e32 v222, v67
	v_pack_b32_f16 v63, v61, v63
	v_cvt_f32_f16_sdwa v223, v67 dst_sel:DWORD dst_unused:UNUSED_PAD src0_sel:WORD_1
	v_pack_b32_f16 v61, v216, v217
	ds_read_u16 v216, v195 offset:208
	ds_read_u16 v217, v195 offset:416
	v_cvt_f32_f16_e32 v224, v65
	v_cvt_f32_f16_sdwa v225, v65 dst_sel:DWORD dst_unused:UNUSED_PAD src0_sel:WORD_1
	s_waitcnt lgkmcnt(1)
	v_perm_b32 v216, v216, v220, s80
	s_waitcnt lgkmcnt(0)
	v_perm_b32 v217, v219, v217, s80
	ds_read_u16 v219, v96 offset:6656
	ds_read_u16 v220, v97 offset:208
	;; [unrolled: 1-line block ×4, first 2 shown]
	v_mfma_f32_16x16x16f16 v[222:225], v[216:217], v[16:17], v[222:225]
	s_nop 7
	s_nop 2
	v_cvt_f16_f32_e32 v216, v224
	v_cvt_f16_f32_e32 v217, v225
	;; [unrolled: 1-line block ×4, first 2 shown]
	v_cvt_f32_f16_e32 v224, v216
	v_cvt_f32_f16_e32 v225, v217
	s_waitcnt lgkmcnt(0)
	v_perm_b32 v217, v227, v226, s80
	v_perm_b32 v216, v220, v219, s80
	v_cvt_f32_f16_e32 v222, v65
	v_cvt_f32_f16_e32 v223, v67
	s_nop 1
	v_mfma_f32_16x16x16f16 v[222:225], v[216:217], v[14:15], v[222:225]
	s_nop 7
	s_nop 2
	v_cvt_f16_f32_e32 v65, v222
	v_cvt_f16_f32_e32 v67, v223
	;; [unrolled: 1-line block ×4, first 2 shown]
	v_cvt_f32_f16_e32 v222, v214
	v_pack_b32_f16 v67, v65, v67
	v_cvt_f32_f16_sdwa v223, v214 dst_sel:DWORD dst_unused:UNUSED_PAD src0_sel:WORD_1
	v_pack_b32_f16 v65, v216, v217
	ds_read_u16 v216, v93 offset:64
	ds_read_u16 v219, v196 offset:208
	;; [unrolled: 1-line block ×4, first 2 shown]
	v_cvt_f32_f16_e32 v224, v213
	v_cvt_f32_f16_sdwa v225, v213 dst_sel:DWORD dst_unused:UNUSED_PAD src0_sel:WORD_1
	s_waitcnt lgkmcnt(2)
	v_perm_b32 v216, v219, v216, s80
	s_waitcnt lgkmcnt(0)
	v_perm_b32 v217, v220, v217, s80
	ds_read_u16 v219, v99 offset:6656
	ds_read_u16 v220, v100 offset:208
	;; [unrolled: 1-line block ×4, first 2 shown]
	v_mfma_f32_16x16x16f16 v[222:225], v[216:217], v[16:17], v[222:225]
	s_nop 7
	s_nop 2
	v_cvt_f16_f32_e32 v216, v224
	v_cvt_f16_f32_e32 v217, v225
	;; [unrolled: 1-line block ×4, first 2 shown]
	v_cvt_f32_f16_e32 v224, v216
	v_cvt_f32_f16_e32 v225, v217
	s_waitcnt lgkmcnt(0)
	v_perm_b32 v217, v227, v226, s80
	v_perm_b32 v216, v220, v219, s80
	v_cvt_f32_f16_e32 v222, v213
	v_cvt_f32_f16_e32 v223, v214
	;; [unrolled: 1-line block ×3, first 2 shown]
	v_cvt_f32_f16_sdwa v221, v221 dst_sel:DWORD dst_unused:UNUSED_PAD src0_sel:WORD_1
	v_mfma_f32_16x16x16f16 v[222:225], v[216:217], v[14:15], v[222:225]
	s_nop 7
	s_nop 2
	v_cvt_f16_f32_e32 v213, v222
	v_cvt_f16_f32_e32 v214, v223
	v_cvt_f16_f32_e32 v216, v224
	v_cvt_f16_f32_e32 v217, v225
	v_cvt_f32_f16_e32 v222, v215
	v_pack_b32_f16 v214, v213, v214
	v_cvt_f32_f16_sdwa v223, v215 dst_sel:DWORD dst_unused:UNUSED_PAD src0_sel:WORD_1
	v_pack_b32_f16 v213, v216, v217
	ds_read_u16 v216, v93 offset:96
	ds_read_u16 v219, v197 offset:208
	;; [unrolled: 1-line block ×4, first 2 shown]
	s_waitcnt lgkmcnt(2)
	v_perm_b32 v216, v219, v216, s80
	s_waitcnt lgkmcnt(0)
	v_perm_b32 v217, v224, v217, s80
	ds_read_u16 v224, v102 offset:6656
	ds_read_u16 v225, v103 offset:208
	;; [unrolled: 1-line block ×4, first 2 shown]
	v_mfma_f32_16x16x16f16 v[220:223], v[216:217], v[16:17], v[220:223]
	s_nop 7
	s_nop 2
	v_cvt_f16_f32_e32 v216, v221
	v_cvt_f16_f32_e32 v217, v222
	;; [unrolled: 1-line block ×4, first 2 shown]
	v_cvt_f32_f16_e32 v221, v216
	v_cvt_f32_f16_e32 v222, v217
	s_waitcnt lgkmcnt(0)
	v_perm_b32 v217, v227, v226, s80
	v_perm_b32 v216, v225, v224, s80
	v_cvt_f32_f16_e32 v220, v215
	v_cvt_f32_f16_e32 v223, v219
	s_nop 1
	v_mfma_f32_16x16x16f16 v[220:223], v[216:217], v[14:15], v[220:223]
	s_nop 7
	s_nop 2
	v_cvt_f16_f32_e32 v215, v220
	v_cvt_f16_f32_e32 v216, v221
	;; [unrolled: 1-line block ×4, first 2 shown]
	v_cvt_f32_f16_e32 v220, v218
	v_pack_b32_f16 v215, v215, v216
	v_cvt_f32_f16_sdwa v221, v218 dst_sel:DWORD dst_unused:UNUSED_PAD src0_sel:WORD_1
	v_pack_b32_f16 v216, v217, v219
	ds_read_u16 v217, v93 offset:128
	ds_read_u16 v224, v198 offset:208
	ds_read_u16 v219, v198 offset:416
	ds_read_u16 v225, v95 offset:128
	v_cvt_f32_f16_e32 v222, v21
	v_cvt_f32_f16_sdwa v223, v21 dst_sel:DWORD dst_unused:UNUSED_PAD src0_sel:WORD_1
	s_waitcnt lgkmcnt(2)
	v_perm_b32 v218, v224, v217, s80
	s_waitcnt lgkmcnt(0)
	v_perm_b32 v219, v225, v219, s80
	s_nop 1
	v_mfma_f32_16x16x16f16 v[218:221], v[218:219], v[16:17], v[220:223]
	s_nop 6
	ds_read_u16 v222, v105 offset:6656
	ds_read_u16 v224, v106 offset:208
	;; [unrolled: 1-line block ×4, first 2 shown]
	s_waitcnt lgkmcnt(2)
	v_perm_b32 v222, v224, v222, s80
	s_waitcnt lgkmcnt(0)
	v_perm_b32 v223, v225, v223, s80
	v_cvt_f16_f32_e32 v21, v218
	v_cvt_f16_f32_e32 v217, v219
	;; [unrolled: 1-line block ×4, first 2 shown]
	v_cvt_f32_f16_e32 v218, v21
	v_cvt_f32_f16_e32 v219, v217
	v_cvt_f32_f16_e32 v220, v220
	v_cvt_f32_f16_e32 v221, v221
	s_nop 1
	v_mfma_f32_16x16x16f16 v[218:221], v[222:223], v[14:15], v[218:221]
	v_cvt_f32_f16_e32 v222, v19
	v_cvt_f32_f16_sdwa v223, v19 dst_sel:DWORD dst_unused:UNUSED_PAD src0_sel:WORD_1
	s_nop 7
	s_nop 0
	v_cvt_f16_f32_e32 v21, v218
	v_cvt_f16_f32_e32 v217, v219
	v_cvt_f16_f32_e32 v219, v220
	v_cvt_f16_f32_e32 v220, v221
	v_cvt_f32_f16_sdwa v221, v20 dst_sel:DWORD dst_unused:UNUSED_PAD src0_sel:WORD_1
	v_pack_b32_f16 v218, v21, v217
	v_pack_b32_f16 v217, v219, v220
	ds_read_u16 v219, v93 offset:160
	ds_read_u16 v224, v199 offset:208
	;; [unrolled: 1-line block ×4, first 2 shown]
	v_cvt_f32_f16_e32 v220, v20
	s_waitcnt lgkmcnt(2)
	v_perm_b32 v20, v224, v219, s80
	s_waitcnt lgkmcnt(0)
	v_perm_b32 v21, v225, v21, s80
	s_nop 1
	v_mfma_f32_16x16x16f16 v[220:223], v[20:21], v[16:17], v[220:223]
	ds_read_u16 v21, v108 offset:6656
	ds_read_u16 v219, v109 offset:208
	;; [unrolled: 1-line block ×4, first 2 shown]
	s_waitcnt lgkmcnt(0)
	s_barrier
	s_nop 4
	v_cvt_f16_f32_e32 v16, v220
	v_cvt_f16_f32_e32 v17, v221
	;; [unrolled: 1-line block ×4, first 2 shown]
	v_cvt_f32_f16_e32 v220, v16
	v_cvt_f32_f16_e32 v221, v17
	v_perm_b32 v17, v225, v224, s80
	v_perm_b32 v16, v219, v21, s80
	v_cvt_f32_f16_e32 v222, v19
	v_cvt_f32_f16_e32 v223, v20
	s_nop 1
	v_mfma_f32_16x16x16f16 v[14:17], v[16:17], v[14:15], v[220:223]
	s_nop 7
	s_nop 2
	v_cvt_f16_f32_e32 v14, v14
	v_cvt_f16_f32_e32 v15, v15
	;; [unrolled: 1-line block ×4, first 2 shown]
	v_pack_b32_f16 v220, v14, v15
	v_mov_b32_e32 v14, s97
	v_addc_co_u32_e32 v1, vcc, v1, v14, vcc
	v_add_co_u32_e32 v58, vcc, s96, v58
	v_addc_co_u32_e32 v23, vcc, v23, v14, vcc
	v_add_co_u32_e32 v60, vcc, s96, v60
	;; [unrolled: 2-line block ×3, first 2 shown]
	v_mov_b32_e32 v14, s31
	v_addc_co_u32_e32 v27, vcc, v27, v14, vcc
	v_add_co_u32_e32 v64, vcc, s30, v64
	v_addc_co_u32_e32 v29, vcc, v29, v14, vcc
	v_add_co_u32_e32 v66, vcc, s30, v66
	v_addc_co_u32_e32 v37, vcc, v37, v14, vcc
	v_add_co_u32_e32 v68, vcc, s99, v68
	v_addc_co_u32_e32 v69, vcc, 0, v69, vcc
	v_add_co_u32_e32 v70, vcc, s99, v70
	v_addc_co_u32_e32 v71, vcc, 0, v71, vcc
	v_add_co_u32_e32 v72, vcc, s99, v72
	v_addc_co_u32_e32 v73, vcc, 0, v73, vcc
	v_add_co_u32_e32 v74, vcc, s99, v74
	v_addc_co_u32_e32 v75, vcc, 0, v75, vcc
	v_add_co_u32_e32 v76, vcc, s99, v76
	v_addc_co_u32_e32 v77, vcc, 0, v77, vcc
	v_add_co_u32_e32 v78, vcc, 0x80, v78
	v_addc_co_u32_e32 v79, vcc, 0, v79, vcc
	v_add_co_u32_e32 v80, vcc, 0x80, v80
	v_addc_co_u32_e32 v81, vcc, 0, v81, vcc
	v_add_co_u32_e32 v82, vcc, 0x80, v82
	v_pack_b32_f16 v219, v16, v17
	v_addc_co_u32_e32 v83, vcc, 0, v83, vcc
	s_cbranch_scc0 .LBB14_176
; %bb.174:                              ;   in Loop: Header=BB14_171 Depth=2
	v_mov_b32_e32 v221, v18
	v_mov_b32_e32 v222, v51
	v_cndmask_b32_e64 v14, 0, 1, s[38:39]
	v_cmp_ne_u32_e64 s[40:41], 1, v14
	s_andn2_b64 vcc, exec, s[38:39]
	s_cbranch_vccz .LBB14_166
	s_branch .LBB14_171
.LBB14_175:                             ;   in Loop: Header=BB14_14 Depth=1
	v_mov_b32_e32 v18, 0
	v_mov_b32_e32 v51, 0xfeffffff
	;; [unrolled: 1-line block ×13, first 2 shown]
.LBB14_176:                             ;   in Loop: Header=BB14_14 Depth=1
	s_lshl_b32 s88, s44, 6
	v_readlane_b32 s38, v231, 4
	v_cmp_eq_u64_e32 vcc, 0, v[52:53]
	s_sub_i32 s9, s38, s88
	v_cmp_ne_u64_e64 s[44:45], 0, v[52:53]
	v_readlane_b32 s39, v231, 5
	s_cbranch_vccnz .LBB14_186
; %bb.177:                              ;   in Loop: Header=BB14_14 Depth=1
	v_cmp_le_i32_e32 vcc, s9, v22
                                        ; implicit-def: $sgpr42
	s_and_saveexec_b64 s[38:39], vcc
	s_xor_b64 s[38:39], exec, s[38:39]
	s_cbranch_execz .LBB14_179
; %bb.178:                              ;   in Loop: Header=BB14_14 Depth=1
	ds_write_b16 v126, v177 offset:13312
	ds_write_b16 v179, v177 offset:13312
	s_mov_b32 s42, 0
.LBB14_179:                             ;   in Loop: Header=BB14_14 Depth=1
	s_or_saveexec_b64 s[40:41], s[38:39]
	s_lshl_b64 s[38:39], s[88:89], 1
	v_mov_b32_e32 v1, s39
	v_add_co_u32_e64 v14, s[38:39], s38, v52
	v_addc_co_u32_e64 v15, s[38:39], v53, v1, s[38:39]
	v_lshlrev_b32_e32 v1, 1, v22
	v_add_co_u32_e64 v1, s[38:39], v14, v1
	v_addc_co_u32_e64 v14, s[38:39], 0, v15, s[38:39]
	v_mov_b32_e32 v15, s42
	v_mov_b32_e32 v16, s42
	s_xor_b64 exec, exec, s[40:41]
	s_cbranch_execz .LBB14_181
; %bb.180:                              ;   in Loop: Header=BB14_14 Depth=1
	v_add_u32_e32 v15, s87, v85
	v_mul_hi_u32 v16, s92, v15
	v_add_u32_e32 v16, v15, v16
	v_lshrrev_b32_e32 v16, s93, v16
	v_mul_lo_u32 v16, v16, s76
	v_sub_u32_e32 v15, v15, v16
	v_mad_i64_i32 v[16:17], s[38:39], v15, s84, 0
	v_lshlrev_b64 v[16:17], 1, v[16:17]
	v_add_co_u32_e64 v16, s[38:39], v1, v16
	v_addc_co_u32_e64 v17, s[38:39], v14, v17, s[38:39]
	flat_load_ushort v15, v[16:17]
	v_add_u32_e32 v16, s87, v178
	v_mul_hi_u32 v17, s92, v16
	v_add_u32_e32 v17, v16, v17
	v_lshrrev_b32_e32 v17, s93, v17
	v_mul_lo_u32 v17, v17, s76
	v_sub_u32_e32 v16, v16, v17
	v_mad_i64_i32 v[16:17], s[38:39], v16, s84, 0
	v_lshlrev_b64 v[16:17], 1, v[16:17]
	v_add_co_u32_e64 v16, s[38:39], v1, v16
	v_addc_co_u32_e64 v17, s[38:39], v14, v17, s[38:39]
	flat_load_ushort v16, v[16:17]
	s_waitcnt vmcnt(0) lgkmcnt(0)
	ds_write_b16 v126, v15 offset:13312
	ds_write_b16 v179, v16 offset:13312
	v_add_u32_e32 v15, s87, v180
	v_mul_hi_u32 v16, s92, v15
	v_add_u32_e32 v16, v15, v16
	v_lshrrev_b32_e32 v16, s93, v16
	v_mul_lo_u32 v16, v16, s76
	v_sub_u32_e32 v15, v15, v16
	v_mad_i64_i32 v[16:17], s[38:39], v15, s84, 0
	v_lshlrev_b64 v[16:17], 1, v[16:17]
	v_add_co_u32_e64 v16, s[38:39], v1, v16
	v_addc_co_u32_e64 v17, s[38:39], v14, v17, s[38:39]
	flat_load_ushort v15, v[16:17]
	v_add_u32_e32 v16, s87, v182
	v_mul_hi_u32 v17, s92, v16
	v_add_u32_e32 v17, v16, v17
	v_lshrrev_b32_e32 v17, s93, v17
	v_mul_lo_u32 v17, v17, s76
	v_sub_u32_e32 v16, v16, v17
	v_mad_i64_i32 v[16:17], s[38:39], v16, s84, 0
	v_lshlrev_b64 v[16:17], 1, v[16:17]
	v_add_co_u32_e64 v16, s[38:39], v1, v16
	v_addc_co_u32_e64 v17, s[38:39], v14, v17, s[38:39]
	flat_load_ushort v16, v[16:17]
.LBB14_181:                             ;   in Loop: Header=BB14_14 Depth=1
	s_or_b64 exec, exec, s[40:41]
	s_waitcnt vmcnt(0) lgkmcnt(0)
	ds_write_b16 v181, v15 offset:13312
	ds_write_b16 v183, v16 offset:13312
                                        ; implicit-def: $sgpr40
	s_and_saveexec_b64 s[38:39], vcc
	s_xor_b64 s[38:39], exec, s[38:39]
	s_cbranch_execz .LBB14_183
; %bb.182:                              ;   in Loop: Header=BB14_14 Depth=1
	ds_write_b16 v185, v177 offset:13312
	ds_write_b16 v187, v177 offset:13312
	s_mov_b32 s40, 0
                                        ; implicit-def: $vgpr1
                                        ; implicit-def: $vgpr14
.LBB14_183:                             ;   in Loop: Header=BB14_14 Depth=1
	s_or_saveexec_b64 s[38:39], s[38:39]
	v_mov_b32_e32 v15, s40
	v_mov_b32_e32 v16, s40
	s_xor_b64 exec, exec, s[38:39]
	s_cbranch_execz .LBB14_185
; %bb.184:                              ;   in Loop: Header=BB14_14 Depth=1
	v_add_u32_e32 v15, s87, v184
	v_mul_hi_u32 v16, s92, v15
	v_add_u32_e32 v16, v15, v16
	v_lshrrev_b32_e32 v16, s93, v16
	v_mul_lo_u32 v16, v16, s76
	v_sub_u32_e32 v15, v15, v16
	v_mad_i64_i32 v[16:17], s[40:41], v15, s84, 0
	v_lshlrev_b64 v[16:17], 1, v[16:17]
	v_add_co_u32_e32 v16, vcc, v1, v16
	v_addc_co_u32_e32 v17, vcc, v14, v17, vcc
	flat_load_ushort v15, v[16:17]
	v_add_u32_e32 v16, s87, v186
	v_mul_hi_u32 v17, s92, v16
	v_add_u32_e32 v17, v16, v17
	v_lshrrev_b32_e32 v17, s93, v17
	v_mul_lo_u32 v17, v17, s76
	v_sub_u32_e32 v16, v16, v17
	v_mad_i64_i32 v[16:17], s[40:41], v16, s84, 0
	v_lshlrev_b64 v[16:17], 1, v[16:17]
	v_add_co_u32_e32 v16, vcc, v1, v16
	v_addc_co_u32_e32 v17, vcc, v14, v17, vcc
	flat_load_ushort v16, v[16:17]
	s_waitcnt vmcnt(0) lgkmcnt(0)
	ds_write_b16 v185, v15 offset:13312
	ds_write_b16 v187, v16 offset:13312
	v_add_u32_e32 v15, s87, v188
	v_mul_hi_u32 v16, s92, v15
	v_add_u32_e32 v16, v15, v16
	v_lshrrev_b32_e32 v16, s93, v16
	v_mul_lo_u32 v16, v16, s76
	v_sub_u32_e32 v15, v15, v16
	v_mad_i64_i32 v[16:17], s[40:41], v15, s84, 0
	v_lshlrev_b64 v[16:17], 1, v[16:17]
	v_add_co_u32_e32 v16, vcc, v1, v16
	v_addc_co_u32_e32 v17, vcc, v14, v17, vcc
	flat_load_ushort v15, v[16:17]
	v_add_u32_e32 v16, s87, v190
	v_mul_hi_u32 v17, s92, v16
	v_add_u32_e32 v17, v16, v17
	v_lshrrev_b32_e32 v17, s93, v17
	v_mul_lo_u32 v17, v17, s76
	v_sub_u32_e32 v16, v16, v17
	v_mad_i64_i32 v[16:17], s[40:41], v16, s84, 0
	v_lshlrev_b64 v[16:17], 1, v[16:17]
	v_add_co_u32_e32 v16, vcc, v1, v16
	v_addc_co_u32_e32 v17, vcc, v14, v17, vcc
	flat_load_ushort v16, v[16:17]
.LBB14_185:                             ;   in Loop: Header=BB14_14 Depth=1
	s_or_b64 exec, exec, s[38:39]
	s_waitcnt vmcnt(0) lgkmcnt(0)
	ds_write_b16 v189, v15 offset:13312
	ds_write_b16 v191, v16 offset:13312
.LBB14_186:                             ;   in Loop: Header=BB14_14 Depth=1
	s_mul_i32 s38, s88, s91
	s_mul_hi_u32 s39, s88, s90
	s_add_i32 s39, s39, s38
	s_mul_i32 s38, s88, s90
	s_lshl_b64 s[38:39], s[38:39], 2
	s_add_u32 s38, s95, s38
	s_addc_u32 s39, s98, s39
	v_mov_b32_e32 v1, s39
	v_add_co_u32_e32 v15, vcc, s38, v34
	v_addc_co_u32_e32 v1, vcc, v1, v35, vcc
	v_lshlrev_b32_e32 v14, 2, v26
	v_add_co_u32_e32 v15, vcc, v15, v14
	v_addc_co_u32_e32 v1, vcc, 0, v1, vcc
	v_add_co_u32_e32 v15, vcc, s99, v15
	v_addc_co_u32_e32 v1, vcc, 0, v1, vcc
	v_mov_b32_e32 v19, s37
	v_cmp_gt_i32_e64 s[42:43], s9, v89
	v_mov_b32_e32 v20, s36
	buffer_store_dword v177, off, s[0:3], 0
	buffer_store_dword v177, off, s[0:3], 0 offset:4
	buffer_store_dword v177, off, s[0:3], 0 offset:8
	;; [unrolled: 1-line block ×3, first 2 shown]
	v_cndmask_b32_e64 v17, v19, v1, s[42:43]
	v_cndmask_b32_e64 v16, v20, v15, s[42:43]
	flat_load_dwordx4 v[52:55], v[16:17]
	v_mov_b32_e32 v15, s39
	v_add_co_u32_e32 v16, vcc, s38, v44
	v_lshlrev_b32_e32 v1, 2, v28
	v_addc_co_u32_e32 v15, vcc, v15, v45, vcc
	v_add_co_u32_e32 v16, vcc, v16, v1
	v_addc_co_u32_e32 v15, vcc, 0, v15, vcc
	v_cmp_gt_i32_e64 s[40:41], s9, v91
	v_cndmask_b32_e64 v17, v19, v15, s[40:41]
	v_cndmask_b32_e64 v16, v20, v16, s[40:41]
	v_mov_b32_e32 v15, s39
	s_waitcnt vmcnt(0) lgkmcnt(0)
	ds_write_b128 v90, v[52:55]
	flat_load_dwordx4 v[52:55], v[16:17]
	v_add_co_u32_e32 v16, vcc, s38, v46
	v_addc_co_u32_e32 v15, vcc, v15, v47, vcc
	v_add_co_u32_e32 v16, vcc, v16, v1
	v_addc_co_u32_e32 v15, vcc, 0, v15, vcc
	v_cmp_gt_i32_e64 s[38:39], s9, v192
	v_cndmask_b32_e64 v17, v19, v15, s[38:39]
	v_cndmask_b32_e64 v16, v20, v16, s[38:39]
	v_add_u32_e32 v15, v49, v128
	s_andn2_b64 vcc, exec, s[44:45]
	s_waitcnt vmcnt(0) lgkmcnt(0)
	ds_write_b128 v92, v[52:55]
	flat_load_dwordx4 v[52:55], v[16:17]
	v_add_u32_e32 v16, 0x1800, v15
	s_waitcnt vmcnt(0) lgkmcnt(0)
	ds_write_b128 v193, v[52:55]
	s_waitcnt lgkmcnt(0)
	s_barrier
	ds_read2_b64 v[52:55], v15 offset1:4
	ds_read2_b64 v[68:71], v16 offset0:64 offset1:68
	s_waitcnt lgkmcnt(1)
	v_mfma_f32_16x16x16f16 v[56:59], v[52:53], v[10:11], 0
	s_waitcnt lgkmcnt(0)
	v_mfma_f32_16x16x16f16 v[72:75], v[68:69], v[10:11], 0
	v_mfma_f32_16x16x16f16 v[52:55], v[54:55], v[12:13], v[56:59]
	;; [unrolled: 1-line block ×3, first 2 shown]
	s_nop 6
	ds_read2_b64 v[56:59], v15 offset0:8 offset1:12
	ds_read2_b64 v[68:71], v16 offset0:72 offset1:76
	s_waitcnt lgkmcnt(1)
	v_mfma_f32_16x16x16f16 v[52:55], v[56:57], v[6:7], v[52:55]
	s_waitcnt lgkmcnt(0)
	v_mfma_f32_16x16x16f16 v[10:13], v[68:69], v[6:7], v[10:13]
	v_mfma_f32_16x16x16f16 v[52:55], v[58:59], v[8:9], v[52:55]
	ds_read2_b64 v[56:59], v16 offset0:80 offset1:84
	v_mfma_f32_16x16x16f16 v[6:9], v[70:71], v[8:9], v[10:13]
	s_nop 7
	ds_read2_b64 v[10:13], v15 offset0:16 offset1:20
	s_waitcnt lgkmcnt(0)
	v_mfma_f32_16x16x16f16 v[52:55], v[10:11], v[2:3], v[52:55]
	s_barrier
	v_mfma_f32_16x16x16f16 v[68:71], v[56:57], v[2:3], v[6:9]
	v_mfma_f32_16x16x16f16 v[6:9], v[12:13], v[4:5], v[52:55]
	v_mfma_f32_16x16x16f16 v[2:5], v[58:59], v[4:5], v[68:71]
	s_cbranch_vccnz .LBB14_188
; %bb.187:                              ;   in Loop: Header=BB14_14 Depth=1
	v_add_u32_e32 v10, 0x3400, v130
	ds_read2_b32 v[10:11], v10 offset1:1
	s_waitcnt lgkmcnt(0)
	v_cvt_f32_f16_e32 v12, v10
	v_cvt_f32_f16_sdwa v13, v10 dst_sel:DWORD dst_unused:UNUSED_PAD src0_sel:WORD_1
	v_cvt_f32_f16_e32 v10, v11
	v_cvt_f32_f16_sdwa v11, v11 dst_sel:DWORD dst_unused:UNUSED_PAD src0_sel:WORD_1
	s_nop 1
	v_pk_fma_f32 v[6:7], v[50:51], v[12:13], v[6:7] op_sel_hi:[0,1,1]
	ds_read_b32 v12, v134 offset:13312
	v_pk_fma_f32 v[8:9], v[50:51], v[10:11], v[8:9] op_sel_hi:[0,1,1]
	ds_read_b32 v10, v132 offset:13312
	s_waitcnt lgkmcnt(1)
	v_cvt_f32_f16_sdwa v13, v12 dst_sel:DWORD dst_unused:UNUSED_PAD src0_sel:WORD_1
	v_cvt_f32_f16_e32 v12, v12
	s_waitcnt lgkmcnt(0)
	v_cvt_f32_f16_sdwa v11, v10 dst_sel:DWORD dst_unused:UNUSED_PAD src0_sel:WORD_1
	v_cvt_f32_f16_e32 v10, v10
	v_pk_fma_f32 v[4:5], v[50:51], v[12:13], v[4:5] op_sel_hi:[0,1,1]
	v_pk_fma_f32 v[2:3], v[50:51], v[10:11], v[2:3] op_sel_hi:[0,1,1]
.LBB14_188:                             ;   in Loop: Header=BB14_14 Depth=1
	s_nop 7
	s_nop 0
	v_add_f32_e32 v10, 0x40051340, v6
	v_max_f32_e32 v11, v51, v51
	v_max_f32_e32 v10, v11, v10
	v_cmp_gt_u32_e64 s[44:45], s9, v127
	v_cndmask_b32_e64 v10, v51, v10, s[44:45]
	s_mul_i32 s46, s88, s79
	s_mul_hi_u32 s47, s88, s78
	v_add_f32_e32 v11, 0x40051340, v7
	v_max_f32_e32 v12, v10, v10
	s_add_i32 s47, s47, s46
	s_mul_i32 s46, s88, s78
	v_max_f32_e32 v11, v12, v11
	v_cmp_gt_u32_e32 vcc, s9, v200
	s_lshl_b64 s[46:47], s[46:47], 2
	v_cndmask_b32_e32 v12, v10, v11, vcc
	s_add_u32 s81, s81, s46
	v_add_f32_e32 v10, 0x40051340, v8
	v_max_f32_e32 v11, v12, v12
	s_addc_u32 s82, s83, s47
	v_max_f32_e32 v13, v11, v10
	v_mov_b32_e32 v10, s82
	v_add_co_u32_e64 v11, s[46:47], s81, v32
	v_addc_co_u32_e64 v10, s[46:47], v10, v33, s[46:47]
	v_add_co_u32_e64 v11, s[46:47], v11, v14
	v_addc_co_u32_e64 v10, s[46:47], 0, v10, s[46:47]
	;; [unrolled: 2-line block ×3, first 2 shown]
	v_mov_b32_e32 v16, s37
	v_mov_b32_e32 v17, s36
	buffer_store_dword v177, off, s[0:3], 0
	buffer_store_dword v177, off, s[0:3], 0 offset:4
	buffer_store_dword v177, off, s[0:3], 0 offset:8
	;; [unrolled: 1-line block ×3, first 2 shown]
	v_cndmask_b32_e64 v11, v16, v10, s[42:43]
	v_cndmask_b32_e64 v10, v17, v14, s[42:43]
	flat_load_dwordx4 v[52:55], v[10:11]
	v_cmp_gt_u32_e64 s[54:55], s9, v201
	v_cndmask_b32_e64 v10, v12, v13, s[54:55]
	v_add_f32_e32 v11, 0x40051340, v9
	v_max_f32_e32 v12, v10, v10
	v_max_f32_e32 v11, v12, v11
	v_cmp_gt_u32_e64 s[52:53], s9, v202
	v_cndmask_b32_e64 v10, v10, v11, s[52:53]
	v_add_f32_e32 v11, 0x40051340, v2
	v_max_f32_e32 v12, v10, v10
	v_max_f32_e32 v11, v12, v11
	;; [unrolled: 5-line block ×5, first 2 shown]
	v_cmp_gt_u32_e64 s[42:43], s9, v204
	v_cndmask_b32_e64 v10, v10, v11, s[42:43]
	v_and_b32_e32 v11, 64, v176
	v_add_u32_e32 v12, 64, v11
	v_xor_b32_e32 v11, 32, v176
	v_cmp_lt_i32_e64 s[58:59], v11, v12
	v_cndmask_b32_e64 v11, v176, v11, s[58:59]
	v_lshlrev_b32_e32 v11, 2, v11
	ds_bpermute_b32 v13, v11, v10
	v_max_f32_e32 v10, v10, v10
	v_cndmask_b32_e32 v8, v8, v8, vcc
	v_cndmask_b32_e32 v9, v9, v9, vcc
	v_cndmask_b32_e64 v3, v3, v3, s[50:51]
	s_waitcnt lgkmcnt(0)
	v_max_f32_e32 v13, v13, v13
	v_max_f32_e32 v10, v10, v13
	v_xor_b32_e32 v13, 16, v176
	v_cmp_lt_i32_e64 s[58:59], v13, v12
	v_cndmask_b32_e64 v12, v176, v13, s[58:59]
	v_lshlrev_b32_e32 v15, 2, v12
	ds_bpermute_b32 v12, v15, v10
	s_cmp_eq_u64 s[34:35], 0
	s_waitcnt lgkmcnt(0)
	v_max_f32_e32 v12, v12, v12
	v_max_f32_e32 v10, v10, v12
	v_sub_f32_e32 v6, v6, v10
	v_mul_f32_e32 v12, 0x3fb8aa3b, v6
	v_fma_f32 v13, v6, s86, -v12
	v_rndne_f32_e32 v14, v12
	v_fmac_f32_e32 v13, 0x32a5705f, v6
	v_sub_f32_e32 v12, v12, v14
	v_add_f32_e32 v12, v12, v13
	v_exp_f32_e32 v12, v12
	v_cvt_i32_f32_e32 v13, v14
	v_sub_f32_e32 v7, v7, v10
	v_cmp_ngt_f32_e64 s[58:59], s28, v6
	v_sub_f32_e32 v8, v8, v10
	v_ldexp_f32 v12, v12, v13
	v_mul_f32_e32 v13, 0x3fb8aa3b, v7
	v_fma_f32 v14, v7, s86, -v13
	v_rndne_f32_e32 v19, v13
	v_fmac_f32_e32 v14, 0x32a5705f, v7
	v_sub_f32_e32 v13, v13, v19
	v_add_f32_e32 v13, v13, v14
	v_exp_f32_e32 v13, v13
	v_cvt_i32_f32_e32 v14, v19
	v_cndmask_b32_e64 v12, 0, v12, s[58:59]
	v_cmp_nlt_f32_e64 s[58:59], s77, v6
	v_cndmask_b32_e64 v6, v211, v12, s[58:59]
	v_cndmask_b32_e64 v6, 0, v6, s[44:45]
	v_ldexp_f32 v14, v13, v14
	v_mov_b32_e32 v12, s82
	v_add_co_u32_e64 v13, s[44:45], s81, v40
	v_addc_co_u32_e64 v12, s[44:45], v12, v41, s[44:45]
	v_add_co_u32_e64 v19, s[44:45], v13, v1
	v_addc_co_u32_e64 v12, s[44:45], 0, v12, s[44:45]
	s_waitcnt vmcnt(0)
	ds_write_b128 v90, v[52:55]
	v_cndmask_b32_e64 v13, v16, v12, s[40:41]
	v_cndmask_b32_e64 v12, v17, v19, s[40:41]
	flat_load_dwordx4 v[52:55], v[12:13]
	v_cmp_ngt_f32_e64 s[40:41], s28, v7
	v_cndmask_b32_e64 v12, 0, v14, s[40:41]
	v_mul_f32_e32 v14, 0x3fb8aa3b, v8
	v_fma_f32 v19, v8, s86, -v14
	v_rndne_f32_e32 v20, v14
	v_fmac_f32_e32 v19, 0x32a5705f, v8
	v_sub_f32_e32 v14, v14, v20
	v_add_f32_e32 v14, v14, v19
	v_exp_f32_e32 v14, v14
	v_cvt_i32_f32_e32 v19, v20
	v_cmp_nlt_f32_e64 s[40:41], s77, v7
	v_cndmask_b32_e64 v12, v211, v12, s[40:41]
	v_add_f32_e32 v13, v12, v6
	v_mov_b32_e32 v7, s89
	v_cndmask_b32_e32 v12, v7, v12, vcc
	v_cndmask_b32_e32 v7, v6, v13, vcc
	v_ldexp_f32 v13, v14, v19
	v_cmp_ngt_f32_e32 vcc, s28, v8
	v_sub_f32_e32 v9, v9, v10
	v_cndmask_b32_e32 v13, 0, v13, vcc
	v_cmp_nlt_f32_e32 vcc, s77, v8
	v_mul_f32_e32 v8, 0x3fb8aa3b, v9
	v_fma_f32 v19, v9, s86, -v8
	v_rndne_f32_e32 v20, v8
	v_fmac_f32_e32 v19, 0x32a5705f, v9
	v_sub_f32_e32 v8, v8, v20
	v_add_f32_e32 v8, v8, v19
	v_exp_f32_e32 v19, v8
	v_cvt_i32_f32_e32 v20, v20
	v_cndmask_b32_e32 v13, v211, v13, vcc
	v_add_f32_e32 v14, v7, v13
	v_mov_b32_e32 v8, s89
	v_cndmask_b32_e64 v13, v8, v13, s[54:55]
	v_cndmask_b32_e64 v8, v7, v14, s[54:55]
	v_ldexp_f32 v7, v19, v20
	v_cmp_ngt_f32_e32 vcc, s28, v9
	v_cndmask_b32_e32 v7, 0, v7, vcc
	v_cmp_nlt_f32_e32 vcc, s77, v9
	v_sub_f32_e32 v2, v2, v10
	v_cndmask_b32_e32 v9, v211, v7, vcc
	v_mul_f32_e32 v7, 0x3fb8aa3b, v2
	v_fma_f32 v19, v2, s86, -v7
	v_rndne_f32_e32 v20, v7
	v_fmac_f32_e32 v19, 0x32a5705f, v2
	v_sub_f32_e32 v7, v7, v20
	v_add_f32_e32 v7, v7, v19
	v_exp_f32_e32 v19, v7
	v_cvt_i32_f32_e32 v20, v20
	v_add_f32_e32 v14, v8, v9
	v_mov_b32_e32 v7, s89
	v_cndmask_b32_e64 v9, v7, v9, s[52:53]
	v_cndmask_b32_e64 v7, v8, v14, s[52:53]
	v_ldexp_f32 v8, v19, v20
	v_sub_f32_e32 v20, v3, v10
	v_mul_f32_e32 v3, 0x3fb8aa3b, v20
	v_cndmask_b32_e64 v19, v5, v5, s[50:51]
	v_fma_f32 v5, v20, s86, -v3
	v_rndne_f32_e32 v21, v3
	v_fmac_f32_e32 v5, 0x32a5705f, v20
	v_sub_f32_e32 v3, v3, v21
	v_add_f32_e32 v3, v3, v5
	v_exp_f32_e32 v3, v3
	v_cvt_i32_f32_e32 v5, v21
	v_cmp_ngt_f32_e32 vcc, s28, v2
	v_cndmask_b32_e32 v8, 0, v8, vcc
	v_cmp_nlt_f32_e32 vcc, s77, v2
	v_cndmask_b32_e32 v8, v211, v8, vcc
	v_mov_b32_e32 v2, s89
	v_add_f32_e32 v14, v8, v7
	v_cndmask_b32_e64 v23, v2, v8, s[50:51]
	v_ldexp_f32 v8, v3, v5
	v_mov_b32_e32 v2, s82
	v_add_co_u32_e32 v3, vcc, s81, v42
	v_addc_co_u32_e32 v2, vcc, v2, v43, vcc
	v_add_co_u32_e32 v1, vcc, v3, v1
	v_addc_co_u32_e32 v2, vcc, 0, v2, vcc
	s_waitcnt vmcnt(0) lgkmcnt(0)
	ds_write_b128 v92, v[52:55]
	v_cndmask_b32_e64 v3, v16, v2, s[38:39]
	v_cndmask_b32_e64 v2, v17, v1, s[38:39]
	v_cndmask_b32_e64 v21, v4, v4, s[50:51]
	flat_load_dwordx4 v[2:5], v[2:3]
	v_cmp_ngt_f32_e32 vcc, s28, v20
	v_cndmask_b32_e32 v1, 0, v8, vcc
	v_cmp_nlt_f32_e32 vcc, s77, v20
	v_sub_f32_e32 v16, v21, v10
	v_cndmask_b32_e32 v8, v211, v1, vcc
	v_mul_f32_e32 v1, 0x3fb8aa3b, v16
	v_fma_f32 v17, v16, s86, -v1
	v_rndne_f32_e32 v20, v1
	v_fmac_f32_e32 v17, 0x32a5705f, v16
	v_sub_f32_e32 v1, v1, v20
	v_add_f32_e32 v1, v1, v17
	v_exp_f32_e32 v17, v1
	v_cvt_i32_f32_e32 v20, v20
	v_cndmask_b32_e64 v7, v7, v14, s[50:51]
	v_mov_b32_e32 v1, s89
	v_add_f32_e32 v14, v8, v7
	v_cndmask_b32_e64 v1, v1, v8, s[48:49]
	v_ldexp_f32 v8, v17, v20
	v_cmp_ngt_f32_e32 vcc, s28, v16
	v_cndmask_b32_e32 v8, 0, v8, vcc
	v_cmp_nlt_f32_e32 vcc, s77, v16
	v_sub_f32_e32 v17, v19, v10
	v_cndmask_b32_e64 v7, v7, v14, s[48:49]
	v_cndmask_b32_e32 v14, v211, v8, vcc
	v_mul_f32_e32 v8, 0x3fb8aa3b, v17
	v_fma_f32 v19, v17, s86, -v8
	v_rndne_f32_e32 v20, v8
	v_fmac_f32_e32 v19, 0x32a5705f, v17
	v_sub_f32_e32 v8, v8, v20
	v_add_f32_e32 v8, v8, v19
	v_exp_f32_e32 v19, v8
	v_cvt_i32_f32_e32 v20, v20
	v_add_f32_e32 v16, v14, v7
	v_mov_b32_e32 v8, s89
	v_cndmask_b32_e64 v8, v8, v14, s[46:47]
	v_cndmask_b32_e64 v14, v7, v16, s[46:47]
	v_sub_f32_e32 v16, v51, v10
	v_ldexp_f32 v7, v19, v20
	v_mul_f32_e32 v19, 0x3fb8aa3b, v16
	v_fma_f32 v20, v16, s86, -v19
	v_rndne_f32_e32 v21, v19
	v_fmac_f32_e32 v20, 0x32a5705f, v16
	v_sub_f32_e32 v19, v19, v21
	v_add_f32_e32 v19, v19, v20
	v_exp_f32_e32 v19, v19
	v_cvt_i32_f32_e32 v20, v21
	v_cmp_ngt_f32_e32 vcc, s28, v17
	v_cndmask_b32_e32 v7, 0, v7, vcc
	v_cmp_nlt_f32_e32 vcc, s77, v17
	v_cndmask_b32_e32 v17, v211, v7, vcc
	v_ldexp_f32 v19, v19, v20
	v_cmp_ngt_f32_e32 vcc, s28, v16
	v_cndmask_b32_e32 v19, 0, v19, vcc
	v_cmp_nlt_f32_e32 vcc, s77, v16
	v_cndmask_b32_e32 v19, v211, v19, vcc
	v_cmp_le_f32_e32 vcc, s29, v16
	v_cndmask_b32_e32 v16, 0, v19, vcc
	v_cvt_f16_f32_e32 v19, v16
	v_cvt_f16_f32_e32 v6, v6
	;; [unrolled: 1-line block ×5, first 2 shown]
	v_mov_b32_e32 v7, s89
	v_add_f32_e32 v21, v17, v14
	v_cndmask_b32_e64 v17, v7, v17, s[42:43]
	v_pk_mul_f16 v7, v19, v63 op_sel_hi:[0,1]
	v_pack_b32_f16 v12, v6, v12
	v_pack_b32_f16 v13, v13, v9
	v_cvt_f16_f32_e32 v9, v23
	v_cndmask_b32_e64 v25, v14, v21, s[42:43]
	v_pk_mul_f16 v14, v19, v61 op_sel_hi:[0,1]
	v_fmac_f32_e32 v25, v18, v16
	v_pk_mul_f16 v18, v19, v65 op_sel_hi:[0,1]
	v_cvt_f16_f32_e32 v1, v1
	v_cvt_f16_f32_e32 v8, v8
	v_pk_mul_f16 v16, v19, v67 op_sel_hi:[0,1]
	v_pk_mul_f16 v27, v19, v214 op_sel_hi:[0,1]
	;; [unrolled: 1-line block ×4, first 2 shown]
	s_waitcnt vmcnt(0) lgkmcnt(0)
	ds_write_b128 v193, v[2:5]
	s_waitcnt lgkmcnt(0)
	s_barrier
	ds_read_u16 v5, v94 offset:208
	v_cvt_f32_f16_e32 v2, v7
	v_cvt_f32_f16_sdwa v3, v7 dst_sel:DWORD dst_unused:UNUSED_PAD src0_sel:WORD_1
	ds_read_u16 v6, v94 offset:416
	ds_read_u16 v7, v95
	ds_read_u16 v23, v95 offset:32
	ds_read_u16 v50, v95 offset:64
	;; [unrolled: 1-line block ×6, first 2 shown]
	s_waitcnt lgkmcnt(6)
	v_perm_b32 v7, v7, v6, s80
	ds_read_u16 v6, v93
	ds_read_u16 v57, v93 offset:32
	ds_read_u16 v58, v93 offset:64
	;; [unrolled: 1-line block ×6, first 2 shown]
	s_waitcnt lgkmcnt(6)
	v_perm_b32 v6, v5, v6, s80
	v_cvt_f32_f16_e32 v4, v14
	v_cvt_f32_f16_sdwa v5, v14 dst_sel:DWORD dst_unused:UNUSED_PAD src0_sel:WORD_1
	v_cvt_f16_f32_e32 v14, v17
	v_pk_mul_f16 v52, v19, v216 op_sel_hi:[0,1]
	v_mfma_f32_16x16x16f16 v[2:5], v[6:7], v[12:13], v[2:5]
	ds_read_u16 v6, v194 offset:208
	ds_read_u16 v7, v194 offset:416
	;; [unrolled: 1-line block ×8, first 2 shown]
	s_waitcnt lgkmcnt(6)
	v_perm_b32 v7, v20, v7, s80
	v_perm_b32 v6, v6, v21, s80
	v_pack_b32_f16 v20, v9, v1
	v_pack_b32_f16 v21, v8, v14
	s_waitcnt lgkmcnt(4)
	v_perm_b32 v17, v23, v17, s80
	v_cvt_f32_f16_e32 v8, v18
	v_cvt_f16_f32_e32 v2, v2
	v_cvt_f16_f32_e32 v3, v3
	;; [unrolled: 1-line block ×4, first 2 shown]
	v_cvt_f32_f16_e32 v2, v2
	v_cvt_f32_f16_e32 v3, v3
	;; [unrolled: 1-line block ×4, first 2 shown]
	v_cvt_f32_f16_sdwa v9, v18 dst_sel:DWORD dst_unused:UNUSED_PAD src0_sel:WORD_1
	v_pk_mul_f16 v53, v19, v218 op_sel_hi:[0,1]
	v_mfma_f32_16x16x16f16 v[2:5], v[6:7], v[20:21], v[2:5]
	v_cvt_f32_f16_e32 v6, v16
	v_cvt_f32_f16_sdwa v7, v16 dst_sel:DWORD dst_unused:UNUSED_PAD src0_sel:WORD_1
	v_perm_b32 v16, v62, v57, s80
	v_pk_mul_f16 v54, v19, v217 op_sel_hi:[0,1]
	v_pk_mul_f16 v67, v19, v220 op_sel_hi:[0,1]
	;; [unrolled: 1-line block ×3, first 2 shown]
	v_cvt_f32_f16_e32 v18, v29
	v_mfma_f32_16x16x16f16 v[6:9], v[16:17], v[12:13], v[6:9]
	s_nop 2
	v_cvt_f16_f32_e32 v1, v2
	v_cvt_f16_f32_e32 v2, v3
	s_waitcnt lgkmcnt(0)
	v_perm_b32 v17, v66, v65, s80
	v_perm_b32 v16, v64, v63, s80
	v_cvt_f16_f32_e32 v23, v5
	v_pack_b32_f16 v2, v1, v2
	v_cvt_f32_f16_sdwa v19, v29 dst_sel:DWORD dst_unused:UNUSED_PAD src0_sel:WORD_1
	v_cvt_f16_f32_e32 v3, v6
	v_cvt_f16_f32_e32 v7, v7
	;; [unrolled: 1-line block ×4, first 2 shown]
	v_cvt_f32_f16_e32 v6, v3
	v_cvt_f32_f16_e32 v7, v7
	;; [unrolled: 1-line block ×4, first 2 shown]
	v_cvt_f16_f32_e32 v3, v4
	ds_bpermute_b32 v11, v11, v25
	v_mfma_f32_16x16x16f16 v[4:7], v[16:17], v[20:21], v[6:9]
	v_cvt_f32_f16_e32 v16, v27
	v_cvt_f32_f16_sdwa v17, v27 dst_sel:DWORD dst_unused:UNUSED_PAD src0_sel:WORD_1
	ds_read_u16 v1, v196 offset:208
	s_nop 3
	ds_read_u16 v8, v196 offset:416
	ds_read_u16 v27, v99 offset:6656
	;; [unrolled: 1-line block ×7, first 2 shown]
	s_waitcnt lgkmcnt(6)
	v_perm_b32 v9, v50, v8, s80
	v_perm_b32 v8, v1, v58, s80
	v_pack_b32_f16 v1, v3, v23
	s_waitcnt lgkmcnt(1)
	v_perm_b32 v50, v64, v59, s80
	v_mfma_f32_16x16x16f16 v[16:19], v[8:9], v[12:13], v[16:19]
	v_cvt_f16_f32_e32 v3, v4
	v_cvt_f16_f32_e32 v4, v5
	s_waitcnt lgkmcnt(0)
	v_perm_b32 v51, v51, v65, s80
	v_cvt_f16_f32_e32 v23, v7
	v_add_f32_e32 v11, v25, v11
	v_pack_b32_f16 v4, v3, v4
	v_readlane_b32 s44, v231, 52
	s_nop 2
	v_cvt_f16_f32_e32 v8, v17
	v_cvt_f16_f32_e32 v9, v18
	;; [unrolled: 1-line block ×4, first 2 shown]
	v_cvt_f32_f16_e32 v17, v8
	v_cvt_f32_f16_e32 v18, v9
	v_perm_b32 v9, v63, v62, s80
	v_perm_b32 v8, v57, v27, s80
	v_cvt_f32_f16_e32 v16, v5
	v_cvt_f32_f16_e32 v19, v19
	v_cvt_f16_f32_e32 v5, v6
	v_readlane_b32 s45, v231, 53
	v_mfma_f32_16x16x16f16 v[6:9], v[8:9], v[20:21], v[16:19]
	v_pack_b32_f16 v3, v5, v23
	s_cselect_b64 s[38:39], -1, 0
	s_xor_b64 s[40:41], s[44:45], -1
	s_or_b64 s[38:39], s[40:41], s[38:39]
	s_nop 2
	v_cvt_f32_f16_e32 v16, v37
	v_cvt_f32_f16_sdwa v17, v37 dst_sel:DWORD dst_unused:UNUSED_PAD src0_sel:WORD_1
	v_cvt_f32_f16_e32 v18, v52
	v_cvt_f32_f16_sdwa v19, v52 dst_sel:DWORD dst_unused:UNUSED_PAD src0_sel:WORD_1
	v_cvt_f16_f32_e32 v5, v6
	v_cvt_f16_f32_e32 v6, v7
	v_mfma_f32_16x16x16f16 v[16:19], v[50:51], v[12:13], v[16:19]
	v_cvt_f32_f16_e32 v52, v54
	v_pack_b32_f16 v6, v5, v6
	s_nop 7
	s_nop 0
	v_cvt_f16_f32_e32 v7, v16
	v_cvt_f16_f32_e32 v17, v17
	;; [unrolled: 1-line block ×4, first 2 shown]
	v_cvt_f32_f16_e32 v16, v7
	ds_read_u16 v7, v102 offset:6656
	ds_read_u16 v23, v103 offset:208
	;; [unrolled: 1-line block ×8, first 2 shown]
	s_waitcnt lgkmcnt(4)
	v_perm_b32 v51, v29, v27, s80
	v_perm_b32 v50, v23, v7, s80
	v_cvt_f32_f16_e32 v17, v17
	v_cvt_f32_f16_e32 v18, v18
	;; [unrolled: 1-line block ×3, first 2 shown]
	v_cvt_f16_f32_e32 v7, v8
	v_cvt_f16_f32_e32 v23, v9
	s_waitcnt lgkmcnt(2)
	v_perm_b32 v9, v55, v57, s80
	v_perm_b32 v8, v37, v60, s80
	v_mfma_f32_16x16x16f16 v[16:19], v[50:51], v[20:21], v[16:19]
	v_cvt_f32_f16_e32 v50, v53
	v_cvt_f32_f16_sdwa v51, v53 dst_sel:DWORD dst_unused:UNUSED_PAD src0_sel:WORD_1
	v_cvt_f32_f16_sdwa v53, v54 dst_sel:DWORD dst_unused:UNUSED_PAD src0_sel:WORD_1
	v_pack_b32_f16 v5, v7, v23
	s_nop 0
	v_mfma_f32_16x16x16f16 v[50:53], v[8:9], v[12:13], v[50:53]
	s_nop 4
	v_cvt_f16_f32_e32 v7, v16
	v_cvt_f16_f32_e32 v23, v17
	s_nop 3
	v_cvt_f16_f32_e32 v8, v50
	v_cvt_f16_f32_e32 v9, v51
	;; [unrolled: 1-line block ×4, first 2 shown]
	v_cvt_f32_f16_e32 v50, v8
	v_cvt_f32_f16_e32 v51, v9
	;; [unrolled: 1-line block ×3, first 2 shown]
	ds_read_u16 v8, v106 offset:416
	ds_read_u16 v9, v107 offset:6656
	ds_read_u16 v29, v199 offset:208
	ds_read_u16 v37, v199 offset:416
	ds_read_u16 v57, v108 offset:6656
	ds_read_u16 v60, v109 offset:208
	ds_read_u16 v62, v109 offset:416
	ds_read_u16 v63, v110 offset:6656
	s_waitcnt lgkmcnt(6)
	v_perm_b32 v17, v9, v8, s80
	v_perm_b32 v16, v59, v58, s80
	v_cvt_f32_f16_e32 v53, v27
	s_waitcnt lgkmcnt(4)
	v_perm_b32 v55, v56, v37, s80
	v_perm_b32 v54, v29, v61, s80
	v_cvt_f16_f32_e32 v9, v18
	v_cvt_f16_f32_e32 v27, v19
	v_mfma_f32_16x16x16f16 v[16:19], v[16:17], v[20:21], v[50:53]
	v_pack_b32_f16 v8, v7, v23
	s_waitcnt lgkmcnt(0)
	v_pack_b32_f16 v7, v9, v27
	s_barrier
	s_nop 2
	v_cvt_f32_f16_e32 v50, v67
	v_cvt_f32_f16_sdwa v51, v67 dst_sel:DWORD dst_unused:UNUSED_PAD src0_sel:WORD_1
	v_cvt_f32_f16_e32 v52, v14
	v_cvt_f32_f16_sdwa v53, v14 dst_sel:DWORD dst_unused:UNUSED_PAD src0_sel:WORD_1
	v_cvt_f16_f32_e32 v9, v16
	v_cvt_f16_f32_e32 v14, v17
	v_mfma_f32_16x16x16f16 v[50:53], v[54:55], v[12:13], v[50:53]
	v_perm_b32 v17, v63, v62, s80
	s_nop 7
	s_nop 1
	v_cvt_f16_f32_e32 v16, v52
	v_cvt_f16_f32_e32 v12, v50
	;; [unrolled: 1-line block ×4, first 2 shown]
	v_cvt_f32_f16_e32 v52, v16
	v_perm_b32 v16, v60, v57, s80
	v_cvt_f32_f16_e32 v50, v12
	v_cvt_f32_f16_e32 v51, v13
	;; [unrolled: 1-line block ×3, first 2 shown]
	v_cvt_f16_f32_e32 v13, v18
	v_cvt_f16_f32_e32 v23, v19
	v_mfma_f32_16x16x16f16 v[16:19], v[16:17], v[20:21], v[50:53]
	v_pack_b32_f16 v12, v9, v14
	v_pack_b32_f16 v9, v13, v23
	s_nop 7
	s_nop 0
	v_cvt_f16_f32_e32 v14, v16
	v_cvt_f16_f32_e32 v16, v17
	;; [unrolled: 1-line block ×4, first 2 shown]
	v_pack_b32_f16 v14, v14, v16
	ds_bpermute_b32 v16, v15, v11
	v_pack_b32_f16 v13, v13, v17
	s_waitcnt lgkmcnt(0)
	v_add_f32_e32 v11, v11, v16
	s_and_saveexec_b64 s[40:41], s[38:39]
	s_xor_b64 s[38:39], exec, s[40:41]
	s_andn2_saveexec_b64 s[38:39], s[38:39]
	s_cbranch_execz .LBB14_190
; %bb.189:                              ;   in Loop: Header=BB14_14 Depth=1
	global_load_dword v17, v177, s[34:35]
	v_max_f32_e32 v18, v10, v10
	s_waitcnt vmcnt(0)
	v_max_f32_e32 v16, v17, v17
	v_max_f32_e32 v16, v18, v16
	v_sub_f32_e32 v10, v10, v16
	v_mul_f32_e32 v18, 0x3fb8aa3b, v10
	v_fma_f32 v19, v10, s86, -v18
	v_rndne_f32_e32 v20, v18
	v_fmac_f32_e32 v19, 0x32a5705f, v10
	v_sub_f32_e32 v18, v18, v20
	v_add_f32_e32 v18, v18, v19
	v_exp_f32_e32 v18, v18
	v_cvt_i32_f32_e32 v19, v20
	v_cmp_ngt_f32_e32 vcc, s28, v10
	v_sub_f32_e32 v17, v17, v16
	v_ldexp_f32 v18, v18, v19
	v_cndmask_b32_e32 v18, 0, v18, vcc
	v_cmp_nlt_f32_e32 vcc, s77, v10
	v_cndmask_b32_e32 v18, v211, v18, vcc
	v_cmp_le_f32_e32 vcc, s29, v10
	v_cndmask_b32_e32 v10, 0, v18, vcc
	v_cvt_f16_f32_e32 v18, v10
	v_cmp_ngt_f32_e32 vcc, s28, v17
	v_pk_mul_f16 v2, v18, v2 op_sel_hi:[0,1]
	v_pk_mul_f16 v1, v18, v1 op_sel_hi:[0,1]
	;; [unrolled: 1-line block ×12, first 2 shown]
	v_mul_f32_e32 v18, 0x3fb8aa3b, v17
	v_fma_f32 v19, v17, s86, -v18
	v_rndne_f32_e32 v20, v18
	v_fmac_f32_e32 v19, 0x32a5705f, v17
	v_sub_f32_e32 v18, v18, v20
	v_add_f32_e32 v18, v18, v19
	v_exp_f32_e32 v18, v18
	v_cvt_i32_f32_e32 v19, v20
	v_ldexp_f32 v18, v18, v19
	v_cndmask_b32_e32 v18, 0, v18, vcc
	v_cmp_nlt_f32_e32 vcc, s77, v17
	v_cndmask_b32_e32 v17, v211, v18, vcc
	v_fmac_f32_e32 v17, v11, v10
	v_pk_mov_b32 v[10:11], v[16:17], v[16:17] op_sel:[0,1]
.LBB14_190:                             ;   in Loop: Header=BB14_14 Depth=1
	s_or_b64 exec, exec, s[38:39]
	s_mov_b64 s[34:35], exec
	v_readlane_b32 s38, v231, 56
	v_readlane_b32 s39, v231, 57
	s_and_b64 s[38:39], s[34:35], s[38:39]
	v_readlane_b32 s50, v230, 0
	s_mov_b64 exec, s[38:39]
	s_cbranch_execz .LBB14_192
; %bb.191:                              ;   in Loop: Header=BB14_14 Depth=1
	v_add_u32_e32 v16, 0, v135
	ds_write2_b32 v16, v10, v11 offset0:48 offset1:49
.LBB14_192:                             ;   in Loop: Header=BB14_14 Depth=1
	s_or_b64 exec, exec, s[34:35]
	s_waitcnt lgkmcnt(0)
	s_barrier
	s_mov_b64 s[34:35], exec
	v_readlane_b32 s38, v231, 54
	v_readlane_b32 s39, v231, 55
	s_and_b64 s[38:39], s[34:35], s[38:39]
	s_xor_b64 s[34:35], s[38:39], s[34:35]
	s_mov_b64 exec, s[38:39]
	s_cbranch_execz .LBB14_194
; %bb.193:                              ;   in Loop: Header=BB14_14 Depth=1
	s_barrier
	s_waitcnt lgkmcnt(0)
                                        ; implicit-def: $vgpr15
.LBB14_194:                             ;   in Loop: Header=BB14_14 Depth=1
	s_andn2_saveexec_b64 s[34:35], s[34:35]
	s_cbranch_execz .LBB14_198
; %bb.195:                              ;   in Loop: Header=BB14_14 Depth=1
	v_add_u32_e32 v16, 0, v136
	ds_read_b64 v[10:11], v16 offset:192
	s_waitcnt lgkmcnt(0)
	s_barrier
	ds_bpermute_b32 v17, v15, v10
	v_max_f32_e32 v18, v10, v10
	s_waitcnt lgkmcnt(0)
	v_max_f32_e32 v17, v17, v17
	v_max_f32_e32 v17, v18, v17
	v_sub_f32_e32 v10, v10, v17
	v_mul_f32_e32 v17, 0x3fb8aa3b, v10
	v_fma_f32 v18, v10, s86, -v17
	v_rndne_f32_e32 v19, v17
	v_fmac_f32_e32 v18, 0x32a5705f, v10
	v_sub_f32_e32 v17, v17, v19
	v_add_f32_e32 v17, v17, v18
	v_cvt_i32_f32_e32 v19, v19
	v_exp_f32_e32 v17, v17
	v_cmp_ngt_f32_e32 vcc, s28, v10
	v_ldexp_f32 v17, v17, v19
	v_cndmask_b32_e32 v17, 0, v17, vcc
	v_cmp_nlt_f32_e32 vcc, s77, v10
	v_cndmask_b32_e32 v10, v211, v17, vcc
	v_mul_f32_e32 v11, v11, v10
	ds_bpermute_b32 v15, v15, v11
	s_mov_b64 s[38:39], exec
	v_readlane_b32 s40, v231, 58
	v_readlane_b32 s41, v231, 59
	s_and_b64 s[40:41], s[38:39], s[40:41]
	s_mov_b64 exec, s[40:41]
	s_cbranch_execz .LBB14_197
; %bb.196:                              ;   in Loop: Header=BB14_14 Depth=1
	s_waitcnt lgkmcnt(0)
	v_add_f32_e32 v11, v11, v15
	ds_write_b64 v16, v[10:11] offset:192
.LBB14_197:                             ;   in Loop: Header=BB14_14 Depth=1
	s_or_b64 exec, exec, s[38:39]
.LBB14_198:                             ;   in Loop: Header=BB14_14 Depth=1
	s_or_b64 exec, exec, s[34:35]
	ds_write2_b32 v137, v2, v1 offset1:1
	ds_write2_b32 v137, v4, v3 offset0:8 offset1:9
	ds_write2_b32 v137, v6, v5 offset0:16 offset1:17
	;; [unrolled: 1-line block ×5, first 2 shown]
	s_waitcnt lgkmcnt(0)
	s_barrier
	s_and_saveexec_b64 s[34:35], s[44:45]
	s_cbranch_execz .LBB14_12
; %bb.199:                              ;   in Loop: Header=BB14_14 Depth=1
	v_add_u32_e32 v2, s87, v111
	v_cmp_gt_i32_e32 vcc, s76, v2
	v_mov_b32_e32 v1, 0x47
	s_and_saveexec_b64 s[38:39], vcc
	s_cbranch_execz .LBB14_201
; %bb.200:                              ;   in Loop: Header=BB14_14 Depth=1
	v_add_u32_e32 v1, 0, v140
	ds_read2_b32 v[4:5], v1 offset0:48 offset1:49
	ds_read2st64_b32 v[6:7], v141 offset1:13
	ds_read_b32 v8, v1 offset:3520
	v_readlane_b32 s9, v231, 42
	v_mad_u64_u32 v[2:3], s[40:41], v2, s9, v[38:39]
	s_waitcnt lgkmcnt(1)
	v_cvt_f32_f16_sdwa v11, v6 dst_sel:DWORD dst_unused:UNUSED_PAD src0_sel:WORD_1
	v_cvt_f32_f16_e32 v10, v6
	v_cvt_f32_f16_sdwa v13, v7 dst_sel:DWORD dst_unused:UNUSED_PAD src0_sel:WORD_1
	v_cvt_f32_f16_e32 v12, v7
	v_ashrrev_i32_e32 v3, 31, v2
	v_lshlrev_b64 v[2:3], 3, v[2:3]
	v_readlane_b32 s9, v230, 2
	v_add_co_u32_e32 v2, vcc, s9, v2
	v_readlane_b32 s9, v230, 3
	v_pk_fma_f32 v[10:11], v[4:5], v[10:11], 0 op_sel_hi:[0,1,0]
	v_mov_b32_e32 v1, s9
	s_waitcnt lgkmcnt(0)
	v_pk_fma_f32 v[6:7], v[8:9], v[12:13], v[10:11] op_sel_hi:[0,1,1]
	v_addc_co_u32_e32 v3, vcc, v1, v3, vcc
	v_div_scale_f32 v1, s[40:41], v5, v5, v7
	v_rcp_f32_e32 v4, v1
	v_fma_f32 v8, -v1, v4, 1.0
	v_fmac_f32_e32 v4, v8, v4
	v_div_scale_f32 v8, vcc, v7, v5, v7
	v_mul_f32_e32 v9, v8, v4
	v_fma_f32 v10, -v1, v9, v8
	v_fmac_f32_e32 v9, v10, v4
	v_fma_f32 v1, -v1, v9, v8
	v_div_fmas_f32 v1, v1, v4, v9
	v_div_fixup_f32 v7, v1, v5, v7
	v_div_scale_f32 v1, s[40:41], v5, v5, v6
	v_rcp_f32_e32 v4, v1
	v_fma_f32 v8, -v1, v4, 1.0
	v_fmac_f32_e32 v4, v8, v4
	v_div_scale_f32 v8, vcc, v6, v5, v6
	v_mul_f32_e32 v9, v8, v4
	v_fma_f32 v10, -v1, v9, v8
	v_fmac_f32_e32 v9, v10, v4
	v_fma_f32 v1, -v1, v9, v8
	v_div_fmas_f32 v1, v1, v4, v9
	v_div_fixup_f32 v6, v1, v5, v6
	v_mov_b32_e32 v1, 0
	global_store_dwordx2 v[2:3], v[6:7], off
.LBB14_201:                             ;   in Loop: Header=BB14_14 Depth=1
	s_or_b64 exec, exec, s[38:39]
	s_movk_i32 s9, 0x47
	v_cmp_gt_i32_e32 vcc, s9, v1
	s_mov_b64 s[40:41], -1
	s_and_saveexec_b64 s[38:39], vcc
; %bb.202:                              ;   in Loop: Header=BB14_14 Depth=1
	v_cmp_eq_u32_e32 vcc, 0, v1
	s_orn2_b64 s[40:41], vcc, exec
; %bb.203:                              ;   in Loop: Header=BB14_14 Depth=1
	s_or_b64 exec, exec, s[38:39]
	s_and_saveexec_b64 s[38:39], s[40:41]
	s_cbranch_execz .LBB14_236
; %bb.204:                              ;   in Loop: Header=BB14_14 Depth=1
	v_add_u32_e32 v2, s87, v112
	v_cmp_gt_i32_e32 vcc, s76, v2
	v_mov_b32_e32 v1, 0x47
	s_and_saveexec_b64 s[40:41], vcc
	s_cbranch_execz .LBB14_206
; %bb.205:                              ;   in Loop: Header=BB14_14 Depth=1
	v_add_u32_e32 v1, 0, v142
	ds_read2_b32 v[4:5], v1 offset0:48 offset1:49
	ds_read2st64_b32 v[6:7], v143 offset1:13
	ds_read_b32 v8, v1 offset:3520
	v_readlane_b32 s9, v231, 42
	v_mad_u64_u32 v[2:3], s[42:43], v2, s9, v[38:39]
	s_waitcnt lgkmcnt(1)
	v_cvt_f32_f16_sdwa v11, v6 dst_sel:DWORD dst_unused:UNUSED_PAD src0_sel:WORD_1
	v_cvt_f32_f16_e32 v10, v6
	v_cvt_f32_f16_sdwa v13, v7 dst_sel:DWORD dst_unused:UNUSED_PAD src0_sel:WORD_1
	v_cvt_f32_f16_e32 v12, v7
	v_ashrrev_i32_e32 v3, 31, v2
	v_lshlrev_b64 v[2:3], 3, v[2:3]
	v_readlane_b32 s9, v230, 2
	v_add_co_u32_e32 v2, vcc, s9, v2
	v_readlane_b32 s9, v230, 3
	v_pk_fma_f32 v[10:11], v[4:5], v[10:11], 0 op_sel_hi:[0,1,0]
	v_mov_b32_e32 v1, s9
	s_waitcnt lgkmcnt(0)
	v_pk_fma_f32 v[6:7], v[8:9], v[12:13], v[10:11] op_sel_hi:[0,1,1]
	v_addc_co_u32_e32 v3, vcc, v1, v3, vcc
	v_div_scale_f32 v1, s[42:43], v5, v5, v7
	v_rcp_f32_e32 v4, v1
	v_fma_f32 v8, -v1, v4, 1.0
	v_fmac_f32_e32 v4, v8, v4
	v_div_scale_f32 v8, vcc, v7, v5, v7
	v_mul_f32_e32 v9, v8, v4
	v_fma_f32 v10, -v1, v9, v8
	v_fmac_f32_e32 v9, v10, v4
	v_fma_f32 v1, -v1, v9, v8
	v_div_fmas_f32 v1, v1, v4, v9
	v_div_fixup_f32 v7, v1, v5, v7
	v_div_scale_f32 v1, s[42:43], v5, v5, v6
	v_rcp_f32_e32 v4, v1
	v_fma_f32 v8, -v1, v4, 1.0
	v_fmac_f32_e32 v4, v8, v4
	v_div_scale_f32 v8, vcc, v6, v5, v6
	v_mul_f32_e32 v9, v8, v4
	v_fma_f32 v10, -v1, v9, v8
	v_fmac_f32_e32 v9, v10, v4
	v_fma_f32 v1, -v1, v9, v8
	v_div_fmas_f32 v1, v1, v4, v9
	v_div_fixup_f32 v6, v1, v5, v6
	v_mov_b32_e32 v1, 0
	global_store_dwordx2 v[2:3], v[6:7], off
.LBB14_206:                             ;   in Loop: Header=BB14_14 Depth=1
	s_or_b64 exec, exec, s[40:41]
	s_movk_i32 s9, 0x47
	v_cmp_gt_i32_e32 vcc, s9, v1
	s_mov_b64 s[40:41], -1
	s_and_saveexec_b64 s[42:43], vcc
; %bb.207:                              ;   in Loop: Header=BB14_14 Depth=1
	v_cmp_eq_u32_e32 vcc, 0, v1
	s_orn2_b64 s[40:41], vcc, exec
; %bb.208:                              ;   in Loop: Header=BB14_14 Depth=1
	s_or_b64 exec, exec, s[42:43]
	s_and_b64 exec, exec, s[40:41]
	s_cbranch_execz .LBB14_236
; %bb.209:                              ;   in Loop: Header=BB14_14 Depth=1
	v_add_u32_e32 v2, s87, v113
	v_cmp_gt_i32_e32 vcc, s76, v2
	v_mov_b32_e32 v1, 0x47
	s_and_saveexec_b64 s[40:41], vcc
	s_cbranch_execz .LBB14_211
; %bb.210:                              ;   in Loop: Header=BB14_14 Depth=1
	v_add_u32_e32 v1, 0, v144
	ds_read2_b32 v[4:5], v1 offset0:48 offset1:49
	ds_read2st64_b32 v[6:7], v145 offset1:13
	ds_read_b32 v8, v1 offset:3520
	v_readlane_b32 s9, v231, 42
	v_mad_u64_u32 v[2:3], s[42:43], v2, s9, v[38:39]
	s_waitcnt lgkmcnt(1)
	v_cvt_f32_f16_sdwa v11, v6 dst_sel:DWORD dst_unused:UNUSED_PAD src0_sel:WORD_1
	v_cvt_f32_f16_e32 v10, v6
	v_cvt_f32_f16_sdwa v13, v7 dst_sel:DWORD dst_unused:UNUSED_PAD src0_sel:WORD_1
	v_cvt_f32_f16_e32 v12, v7
	v_ashrrev_i32_e32 v3, 31, v2
	v_lshlrev_b64 v[2:3], 3, v[2:3]
	v_readlane_b32 s9, v230, 2
	v_add_co_u32_e32 v2, vcc, s9, v2
	v_readlane_b32 s9, v230, 3
	v_pk_fma_f32 v[10:11], v[4:5], v[10:11], 0 op_sel_hi:[0,1,0]
	v_mov_b32_e32 v1, s9
	s_waitcnt lgkmcnt(0)
	v_pk_fma_f32 v[6:7], v[8:9], v[12:13], v[10:11] op_sel_hi:[0,1,1]
	v_addc_co_u32_e32 v3, vcc, v1, v3, vcc
	v_div_scale_f32 v1, s[42:43], v5, v5, v7
	v_rcp_f32_e32 v4, v1
	v_fma_f32 v8, -v1, v4, 1.0
	v_fmac_f32_e32 v4, v8, v4
	v_div_scale_f32 v8, vcc, v7, v5, v7
	v_mul_f32_e32 v9, v8, v4
	v_fma_f32 v10, -v1, v9, v8
	v_fmac_f32_e32 v9, v10, v4
	v_fma_f32 v1, -v1, v9, v8
	v_div_fmas_f32 v1, v1, v4, v9
	v_div_fixup_f32 v7, v1, v5, v7
	v_div_scale_f32 v1, s[42:43], v5, v5, v6
	v_rcp_f32_e32 v4, v1
	v_fma_f32 v8, -v1, v4, 1.0
	v_fmac_f32_e32 v4, v8, v4
	v_div_scale_f32 v8, vcc, v6, v5, v6
	v_mul_f32_e32 v9, v8, v4
	v_fma_f32 v10, -v1, v9, v8
	v_fmac_f32_e32 v9, v10, v4
	v_fma_f32 v1, -v1, v9, v8
	v_div_fmas_f32 v1, v1, v4, v9
	v_div_fixup_f32 v6, v1, v5, v6
	v_mov_b32_e32 v1, 0
	global_store_dwordx2 v[2:3], v[6:7], off
.LBB14_211:                             ;   in Loop: Header=BB14_14 Depth=1
	s_or_b64 exec, exec, s[40:41]
	s_movk_i32 s9, 0x47
	v_cmp_gt_i32_e32 vcc, s9, v1
	s_mov_b64 s[40:41], -1
	s_and_saveexec_b64 s[42:43], vcc
; %bb.212:                              ;   in Loop: Header=BB14_14 Depth=1
	v_cmp_eq_u32_e32 vcc, 0, v1
	s_orn2_b64 s[40:41], vcc, exec
; %bb.213:                              ;   in Loop: Header=BB14_14 Depth=1
	s_or_b64 exec, exec, s[42:43]
	s_and_b64 exec, exec, s[40:41]
	s_cbranch_execz .LBB14_236
; %bb.214:                              ;   in Loop: Header=BB14_14 Depth=1
	v_add_u32_e32 v2, s87, v114
	v_cmp_gt_i32_e32 vcc, s76, v2
	v_mov_b32_e32 v1, 0x47
	s_and_saveexec_b64 s[40:41], vcc
	s_cbranch_execz .LBB14_216
; %bb.215:                              ;   in Loop: Header=BB14_14 Depth=1
	v_add_u32_e32 v1, 0, v146
	ds_read2_b32 v[4:5], v1 offset0:48 offset1:49
	ds_read2st64_b32 v[6:7], v147 offset1:13
	ds_read_b32 v8, v1 offset:3520
	v_readlane_b32 s9, v231, 42
	v_mad_u64_u32 v[2:3], s[42:43], v2, s9, v[38:39]
	s_waitcnt lgkmcnt(1)
	v_cvt_f32_f16_sdwa v11, v6 dst_sel:DWORD dst_unused:UNUSED_PAD src0_sel:WORD_1
	v_cvt_f32_f16_e32 v10, v6
	v_cvt_f32_f16_sdwa v13, v7 dst_sel:DWORD dst_unused:UNUSED_PAD src0_sel:WORD_1
	v_cvt_f32_f16_e32 v12, v7
	v_ashrrev_i32_e32 v3, 31, v2
	v_lshlrev_b64 v[2:3], 3, v[2:3]
	v_readlane_b32 s9, v230, 2
	v_add_co_u32_e32 v2, vcc, s9, v2
	v_readlane_b32 s9, v230, 3
	v_pk_fma_f32 v[10:11], v[4:5], v[10:11], 0 op_sel_hi:[0,1,0]
	v_mov_b32_e32 v1, s9
	s_waitcnt lgkmcnt(0)
	v_pk_fma_f32 v[6:7], v[8:9], v[12:13], v[10:11] op_sel_hi:[0,1,1]
	v_addc_co_u32_e32 v3, vcc, v1, v3, vcc
	v_div_scale_f32 v1, s[42:43], v5, v5, v7
	v_rcp_f32_e32 v4, v1
	v_fma_f32 v8, -v1, v4, 1.0
	v_fmac_f32_e32 v4, v8, v4
	v_div_scale_f32 v8, vcc, v7, v5, v7
	v_mul_f32_e32 v9, v8, v4
	v_fma_f32 v10, -v1, v9, v8
	v_fmac_f32_e32 v9, v10, v4
	v_fma_f32 v1, -v1, v9, v8
	v_div_fmas_f32 v1, v1, v4, v9
	v_div_fixup_f32 v7, v1, v5, v7
	v_div_scale_f32 v1, s[42:43], v5, v5, v6
	v_rcp_f32_e32 v4, v1
	v_fma_f32 v8, -v1, v4, 1.0
	v_fmac_f32_e32 v4, v8, v4
	v_div_scale_f32 v8, vcc, v6, v5, v6
	v_mul_f32_e32 v9, v8, v4
	v_fma_f32 v10, -v1, v9, v8
	v_fmac_f32_e32 v9, v10, v4
	v_fma_f32 v1, -v1, v9, v8
	v_div_fmas_f32 v1, v1, v4, v9
	v_div_fixup_f32 v6, v1, v5, v6
	v_mov_b32_e32 v1, 0
	global_store_dwordx2 v[2:3], v[6:7], off
.LBB14_216:                             ;   in Loop: Header=BB14_14 Depth=1
	s_or_b64 exec, exec, s[40:41]
	s_movk_i32 s9, 0x47
	v_cmp_gt_i32_e32 vcc, s9, v1
	s_mov_b64 s[40:41], -1
	s_and_saveexec_b64 s[42:43], vcc
; %bb.217:                              ;   in Loop: Header=BB14_14 Depth=1
	v_cmp_eq_u32_e32 vcc, 0, v1
	s_orn2_b64 s[40:41], vcc, exec
; %bb.218:                              ;   in Loop: Header=BB14_14 Depth=1
	s_or_b64 exec, exec, s[42:43]
	s_and_b64 exec, exec, s[40:41]
	s_cbranch_execz .LBB14_236
; %bb.219:                              ;   in Loop: Header=BB14_14 Depth=1
	v_add_u32_e32 v2, s87, v115
	v_cmp_gt_i32_e32 vcc, s76, v2
	v_mov_b32_e32 v1, 0x47
	s_and_saveexec_b64 s[40:41], vcc
	s_cbranch_execz .LBB14_221
; %bb.220:                              ;   in Loop: Header=BB14_14 Depth=1
	v_add_u32_e32 v1, 0, v148
	ds_read2_b32 v[4:5], v1 offset0:48 offset1:49
	ds_read2st64_b32 v[6:7], v149 offset1:13
	ds_read_b32 v8, v1 offset:3520
	v_readlane_b32 s9, v231, 42
	v_mad_u64_u32 v[2:3], s[42:43], v2, s9, v[38:39]
	s_waitcnt lgkmcnt(1)
	v_cvt_f32_f16_sdwa v11, v6 dst_sel:DWORD dst_unused:UNUSED_PAD src0_sel:WORD_1
	v_cvt_f32_f16_e32 v10, v6
	v_cvt_f32_f16_sdwa v13, v7 dst_sel:DWORD dst_unused:UNUSED_PAD src0_sel:WORD_1
	v_cvt_f32_f16_e32 v12, v7
	v_ashrrev_i32_e32 v3, 31, v2
	v_lshlrev_b64 v[2:3], 3, v[2:3]
	v_readlane_b32 s9, v230, 2
	v_add_co_u32_e32 v2, vcc, s9, v2
	v_readlane_b32 s9, v230, 3
	v_pk_fma_f32 v[10:11], v[4:5], v[10:11], 0 op_sel_hi:[0,1,0]
	v_mov_b32_e32 v1, s9
	s_waitcnt lgkmcnt(0)
	v_pk_fma_f32 v[6:7], v[8:9], v[12:13], v[10:11] op_sel_hi:[0,1,1]
	v_addc_co_u32_e32 v3, vcc, v1, v3, vcc
	v_div_scale_f32 v1, s[42:43], v5, v5, v7
	v_rcp_f32_e32 v4, v1
	v_fma_f32 v8, -v1, v4, 1.0
	v_fmac_f32_e32 v4, v8, v4
	v_div_scale_f32 v8, vcc, v7, v5, v7
	v_mul_f32_e32 v9, v8, v4
	v_fma_f32 v10, -v1, v9, v8
	v_fmac_f32_e32 v9, v10, v4
	v_fma_f32 v1, -v1, v9, v8
	v_div_fmas_f32 v1, v1, v4, v9
	v_div_fixup_f32 v7, v1, v5, v7
	v_div_scale_f32 v1, s[42:43], v5, v5, v6
	v_rcp_f32_e32 v4, v1
	v_fma_f32 v8, -v1, v4, 1.0
	v_fmac_f32_e32 v4, v8, v4
	v_div_scale_f32 v8, vcc, v6, v5, v6
	v_mul_f32_e32 v9, v8, v4
	v_fma_f32 v10, -v1, v9, v8
	v_fmac_f32_e32 v9, v10, v4
	v_fma_f32 v1, -v1, v9, v8
	v_div_fmas_f32 v1, v1, v4, v9
	v_div_fixup_f32 v6, v1, v5, v6
	v_mov_b32_e32 v1, 0
	global_store_dwordx2 v[2:3], v[6:7], off
.LBB14_221:                             ;   in Loop: Header=BB14_14 Depth=1
	s_or_b64 exec, exec, s[40:41]
	s_movk_i32 s9, 0x47
	v_cmp_gt_i32_e32 vcc, s9, v1
	s_mov_b64 s[40:41], -1
	s_and_saveexec_b64 s[42:43], vcc
; %bb.222:                              ;   in Loop: Header=BB14_14 Depth=1
	v_cmp_eq_u32_e32 vcc, 0, v1
	s_orn2_b64 s[40:41], vcc, exec
; %bb.223:                              ;   in Loop: Header=BB14_14 Depth=1
	s_or_b64 exec, exec, s[42:43]
	s_and_b64 exec, exec, s[40:41]
	s_cbranch_execz .LBB14_236
; %bb.224:                              ;   in Loop: Header=BB14_14 Depth=1
	v_add_u32_e32 v2, s87, v116
	v_cmp_gt_i32_e32 vcc, s76, v2
	v_mov_b32_e32 v1, 0x47
	s_and_saveexec_b64 s[40:41], vcc
	s_cbranch_execz .LBB14_226
; %bb.225:                              ;   in Loop: Header=BB14_14 Depth=1
	v_add_u32_e32 v1, 0, v150
	ds_read2_b32 v[4:5], v1 offset0:48 offset1:49
	ds_read2st64_b32 v[6:7], v151 offset1:13
	ds_read_b32 v8, v1 offset:3520
	v_readlane_b32 s9, v231, 42
	v_mad_u64_u32 v[2:3], s[42:43], v2, s9, v[38:39]
	s_waitcnt lgkmcnt(1)
	v_cvt_f32_f16_sdwa v11, v6 dst_sel:DWORD dst_unused:UNUSED_PAD src0_sel:WORD_1
	v_cvt_f32_f16_e32 v10, v6
	v_cvt_f32_f16_sdwa v13, v7 dst_sel:DWORD dst_unused:UNUSED_PAD src0_sel:WORD_1
	v_cvt_f32_f16_e32 v12, v7
	v_ashrrev_i32_e32 v3, 31, v2
	v_lshlrev_b64 v[2:3], 3, v[2:3]
	v_readlane_b32 s9, v230, 2
	v_add_co_u32_e32 v2, vcc, s9, v2
	v_readlane_b32 s9, v230, 3
	v_pk_fma_f32 v[10:11], v[4:5], v[10:11], 0 op_sel_hi:[0,1,0]
	v_mov_b32_e32 v1, s9
	s_waitcnt lgkmcnt(0)
	v_pk_fma_f32 v[6:7], v[8:9], v[12:13], v[10:11] op_sel_hi:[0,1,1]
	v_addc_co_u32_e32 v3, vcc, v1, v3, vcc
	v_div_scale_f32 v1, s[42:43], v5, v5, v7
	v_rcp_f32_e32 v4, v1
	v_fma_f32 v8, -v1, v4, 1.0
	v_fmac_f32_e32 v4, v8, v4
	v_div_scale_f32 v8, vcc, v7, v5, v7
	v_mul_f32_e32 v9, v8, v4
	v_fma_f32 v10, -v1, v9, v8
	v_fmac_f32_e32 v9, v10, v4
	v_fma_f32 v1, -v1, v9, v8
	v_div_fmas_f32 v1, v1, v4, v9
	v_div_fixup_f32 v7, v1, v5, v7
	v_div_scale_f32 v1, s[42:43], v5, v5, v6
	v_rcp_f32_e32 v4, v1
	v_fma_f32 v8, -v1, v4, 1.0
	v_fmac_f32_e32 v4, v8, v4
	v_div_scale_f32 v8, vcc, v6, v5, v6
	v_mul_f32_e32 v9, v8, v4
	v_fma_f32 v10, -v1, v9, v8
	v_fmac_f32_e32 v9, v10, v4
	v_fma_f32 v1, -v1, v9, v8
	v_div_fmas_f32 v1, v1, v4, v9
	v_div_fixup_f32 v6, v1, v5, v6
	v_mov_b32_e32 v1, 0
	global_store_dwordx2 v[2:3], v[6:7], off
.LBB14_226:                             ;   in Loop: Header=BB14_14 Depth=1
	s_or_b64 exec, exec, s[40:41]
	s_movk_i32 s9, 0x47
	v_cmp_gt_i32_e32 vcc, s9, v1
	s_mov_b64 s[40:41], -1
	s_and_saveexec_b64 s[42:43], vcc
; %bb.227:                              ;   in Loop: Header=BB14_14 Depth=1
	v_cmp_eq_u32_e32 vcc, 0, v1
	s_orn2_b64 s[40:41], vcc, exec
; %bb.228:                              ;   in Loop: Header=BB14_14 Depth=1
	s_or_b64 exec, exec, s[42:43]
	s_and_b64 exec, exec, s[40:41]
	s_cbranch_execz .LBB14_236
; %bb.229:                              ;   in Loop: Header=BB14_14 Depth=1
	v_add_u32_e32 v2, s87, v117
	v_cmp_gt_i32_e32 vcc, s76, v2
	v_mov_b32_e32 v1, 0x47
	s_and_saveexec_b64 s[40:41], vcc
	s_cbranch_execz .LBB14_231
; %bb.230:                              ;   in Loop: Header=BB14_14 Depth=1
	v_add_u32_e32 v1, 0, v152
	ds_read2_b32 v[4:5], v1 offset0:48 offset1:49
	ds_read2st64_b32 v[6:7], v153 offset1:13
	ds_read_b32 v8, v1 offset:3520
	v_readlane_b32 s9, v231, 42
	v_mad_u64_u32 v[2:3], s[42:43], v2, s9, v[38:39]
	s_waitcnt lgkmcnt(1)
	v_cvt_f32_f16_sdwa v11, v6 dst_sel:DWORD dst_unused:UNUSED_PAD src0_sel:WORD_1
	v_cvt_f32_f16_e32 v10, v6
	v_cvt_f32_f16_sdwa v13, v7 dst_sel:DWORD dst_unused:UNUSED_PAD src0_sel:WORD_1
	v_cvt_f32_f16_e32 v12, v7
	v_ashrrev_i32_e32 v3, 31, v2
	v_lshlrev_b64 v[2:3], 3, v[2:3]
	v_readlane_b32 s9, v230, 2
	v_add_co_u32_e32 v2, vcc, s9, v2
	v_readlane_b32 s9, v230, 3
	v_pk_fma_f32 v[10:11], v[4:5], v[10:11], 0 op_sel_hi:[0,1,0]
	v_mov_b32_e32 v1, s9
	s_waitcnt lgkmcnt(0)
	v_pk_fma_f32 v[6:7], v[8:9], v[12:13], v[10:11] op_sel_hi:[0,1,1]
	v_addc_co_u32_e32 v3, vcc, v1, v3, vcc
	v_div_scale_f32 v1, s[42:43], v5, v5, v7
	v_rcp_f32_e32 v4, v1
	v_fma_f32 v8, -v1, v4, 1.0
	v_fmac_f32_e32 v4, v8, v4
	v_div_scale_f32 v8, vcc, v7, v5, v7
	v_mul_f32_e32 v9, v8, v4
	v_fma_f32 v10, -v1, v9, v8
	v_fmac_f32_e32 v9, v10, v4
	v_fma_f32 v1, -v1, v9, v8
	v_div_fmas_f32 v1, v1, v4, v9
	v_div_fixup_f32 v7, v1, v5, v7
	v_div_scale_f32 v1, s[42:43], v5, v5, v6
	v_rcp_f32_e32 v4, v1
	v_fma_f32 v8, -v1, v4, 1.0
	v_fmac_f32_e32 v4, v8, v4
	v_div_scale_f32 v8, vcc, v6, v5, v6
	v_mul_f32_e32 v9, v8, v4
	v_fma_f32 v10, -v1, v9, v8
	v_fmac_f32_e32 v9, v10, v4
	v_fma_f32 v1, -v1, v9, v8
	v_div_fmas_f32 v1, v1, v4, v9
	v_div_fixup_f32 v6, v1, v5, v6
	v_mov_b32_e32 v1, 0
	global_store_dwordx2 v[2:3], v[6:7], off
.LBB14_231:                             ;   in Loop: Header=BB14_14 Depth=1
	s_or_b64 exec, exec, s[40:41]
	s_movk_i32 s9, 0x47
	v_cmp_gt_i32_e32 vcc, s9, v1
	s_mov_b64 s[40:41], -1
	s_and_saveexec_b64 s[42:43], vcc
; %bb.232:                              ;   in Loop: Header=BB14_14 Depth=1
	v_cmp_eq_u32_e32 vcc, 0, v1
	s_orn2_b64 s[40:41], vcc, exec
; %bb.233:                              ;   in Loop: Header=BB14_14 Depth=1
	s_or_b64 exec, exec, s[42:43]
	s_and_b64 exec, exec, s[40:41]
	s_cbranch_execz .LBB14_236
; %bb.234:                              ;   in Loop: Header=BB14_14 Depth=1
	v_add_u32_e32 v1, s87, v118
	v_cmp_gt_i32_e32 vcc, s76, v1
	s_and_b64 exec, exec, vcc
	s_cbranch_execz .LBB14_236
; %bb.235:                              ;   in Loop: Header=BB14_14 Depth=1
	v_add_u32_e32 v6, 0, v154
	ds_read2_b32 v[2:3], v6 offset0:48 offset1:49
	ds_read2st64_b32 v[4:5], v155 offset1:13
	ds_read_b32 v6, v6 offset:3520
	v_readlane_b32 s9, v231, 42
	v_mad_u64_u32 v[8:9], s[40:41], v1, s9, v[38:39]
	s_waitcnt lgkmcnt(1)
	v_cvt_f32_f16_sdwa v11, v4 dst_sel:DWORD dst_unused:UNUSED_PAD src0_sel:WORD_1
	v_cvt_f32_f16_e32 v10, v4
	v_cvt_f32_f16_sdwa v13, v5 dst_sel:DWORD dst_unused:UNUSED_PAD src0_sel:WORD_1
	v_cvt_f32_f16_e32 v12, v5
	v_ashrrev_i32_e32 v9, 31, v8
	v_lshlrev_b64 v[8:9], 3, v[8:9]
	v_readlane_b32 s9, v230, 2
	v_add_co_u32_e32 v8, vcc, s9, v8
	v_readlane_b32 s9, v230, 3
	v_pk_fma_f32 v[10:11], v[2:3], v[10:11], 0 op_sel_hi:[0,1,0]
	v_mov_b32_e32 v1, s9
	s_waitcnt lgkmcnt(0)
	v_pk_fma_f32 v[4:5], v[6:7], v[12:13], v[10:11] op_sel_hi:[0,1,1]
	v_addc_co_u32_e32 v9, vcc, v1, v9, vcc
	v_div_scale_f32 v1, s[40:41], v3, v3, v5
	v_rcp_f32_e32 v2, v1
	v_fma_f32 v6, -v1, v2, 1.0
	v_fmac_f32_e32 v2, v6, v2
	v_div_scale_f32 v6, vcc, v5, v3, v5
	v_mul_f32_e32 v7, v6, v2
	v_fma_f32 v10, -v1, v7, v6
	v_fmac_f32_e32 v7, v10, v2
	v_fma_f32 v1, -v1, v7, v6
	v_div_fmas_f32 v1, v1, v2, v7
	v_div_fixup_f32 v5, v1, v3, v5
	v_div_scale_f32 v1, s[40:41], v3, v3, v4
	v_rcp_f32_e32 v2, v1
	v_fma_f32 v6, -v1, v2, 1.0
	v_fmac_f32_e32 v2, v6, v2
	v_div_scale_f32 v6, vcc, v4, v3, v4
	v_mul_f32_e32 v7, v6, v2
	v_fma_f32 v10, -v1, v7, v6
	v_fmac_f32_e32 v7, v10, v2
	v_fma_f32 v1, -v1, v7, v6
	v_div_fmas_f32 v1, v1, v2, v7
	v_div_fixup_f32 v4, v1, v3, v4
	global_store_dwordx2 v[8:9], v[4:5], off
.LBB14_236:                             ;   in Loop: Header=BB14_14 Depth=1
	s_or_b64 exec, exec, s[38:39]
	v_add_u32_e32 v2, s87, v119
	v_cmp_gt_i32_e32 vcc, s76, v2
	v_mov_b32_e32 v1, 0x47
	s_and_saveexec_b64 s[38:39], vcc
	s_cbranch_execz .LBB14_238
; %bb.237:                              ;   in Loop: Header=BB14_14 Depth=1
	v_readlane_b32 s9, v231, 42
	v_add_u32_e32 v6, 0, v156
	v_add_u32_e32 v4, 0x80, v157
	v_mul_lo_u32 v1, v2, s9
	ds_read2_b32 v[2:3], v6 offset0:48 offset1:49
	ds_read2st64_b32 v[4:5], v4 offset1:13
	ds_read_b32 v6, v6 offset:3520
	v_ashrrev_i32_e32 v7, 31, v1
	v_add_co_u32_e32 v8, vcc, v1, v24
	s_waitcnt lgkmcnt(1)
	v_cvt_f32_f16_sdwa v11, v4 dst_sel:DWORD dst_unused:UNUSED_PAD src0_sel:WORD_1
	v_cvt_f32_f16_e32 v10, v4
	v_cvt_f32_f16_sdwa v13, v5 dst_sel:DWORD dst_unused:UNUSED_PAD src0_sel:WORD_1
	v_cvt_f32_f16_e32 v12, v5
	v_addc_co_u32_e32 v9, vcc, 0, v7, vcc
	v_lshlrev_b64 v[8:9], 3, v[8:9]
	v_readlane_b32 s9, v230, 2
	v_add_co_u32_e32 v8, vcc, s9, v8
	v_readlane_b32 s9, v230, 3
	v_pk_fma_f32 v[10:11], v[2:3], v[10:11], 0 op_sel_hi:[0,1,0]
	v_mov_b32_e32 v1, s9
	s_waitcnt lgkmcnt(0)
	v_pk_fma_f32 v[4:5], v[6:7], v[12:13], v[10:11] op_sel_hi:[0,1,1]
	v_addc_co_u32_e32 v9, vcc, v1, v9, vcc
	v_div_scale_f32 v1, s[40:41], v3, v3, v5
	v_rcp_f32_e32 v2, v1
	v_fma_f32 v6, -v1, v2, 1.0
	v_fmac_f32_e32 v2, v6, v2
	v_div_scale_f32 v6, vcc, v5, v3, v5
	v_mul_f32_e32 v7, v6, v2
	v_fma_f32 v10, -v1, v7, v6
	v_fmac_f32_e32 v7, v10, v2
	v_fma_f32 v1, -v1, v7, v6
	v_div_fmas_f32 v1, v1, v2, v7
	v_div_fixup_f32 v5, v1, v3, v5
	v_div_scale_f32 v1, s[40:41], v3, v3, v4
	v_rcp_f32_e32 v2, v1
	v_fma_f32 v6, -v1, v2, 1.0
	v_fmac_f32_e32 v2, v6, v2
	v_div_scale_f32 v6, vcc, v4, v3, v4
	v_mul_f32_e32 v7, v6, v2
	v_fma_f32 v10, -v1, v7, v6
	v_fmac_f32_e32 v7, v10, v2
	v_fma_f32 v1, -v1, v7, v6
	v_div_fmas_f32 v1, v1, v2, v7
	v_div_fixup_f32 v4, v1, v3, v4
	v_mov_b32_e32 v1, 0
	global_store_dwordx2 v[8:9], v[4:5], off offset:256
.LBB14_238:                             ;   in Loop: Header=BB14_14 Depth=1
	s_or_b64 exec, exec, s[38:39]
	s_movk_i32 s9, 0x47
	v_cmp_gt_i32_e32 vcc, s9, v1
	s_mov_b64 s[38:39], -1
	s_and_saveexec_b64 s[40:41], vcc
; %bb.239:                              ;   in Loop: Header=BB14_14 Depth=1
	v_cmp_eq_u32_e32 vcc, 0, v1
	s_orn2_b64 s[38:39], vcc, exec
; %bb.240:                              ;   in Loop: Header=BB14_14 Depth=1
	s_or_b64 exec, exec, s[40:41]
	s_and_b64 exec, exec, s[38:39]
	s_cbranch_execz .LBB14_12
; %bb.241:                              ;   in Loop: Header=BB14_14 Depth=1
	v_add_u32_e32 v2, s87, v120
	v_cmp_gt_i32_e32 vcc, s76, v2
	v_mov_b32_e32 v1, 0x47
	s_and_saveexec_b64 s[38:39], vcc
	s_cbranch_execz .LBB14_243
; %bb.242:                              ;   in Loop: Header=BB14_14 Depth=1
	v_readlane_b32 s9, v231, 42
	v_add_u32_e32 v6, 0, v158
	v_add_u32_e32 v4, 0x80, v159
	v_mul_lo_u32 v1, v2, s9
	ds_read2_b32 v[2:3], v6 offset0:48 offset1:49
	ds_read2st64_b32 v[4:5], v4 offset1:13
	ds_read_b32 v6, v6 offset:3520
	v_ashrrev_i32_e32 v7, 31, v1
	v_add_co_u32_e32 v8, vcc, v1, v24
	s_waitcnt lgkmcnt(1)
	v_cvt_f32_f16_sdwa v11, v4 dst_sel:DWORD dst_unused:UNUSED_PAD src0_sel:WORD_1
	v_cvt_f32_f16_e32 v10, v4
	v_cvt_f32_f16_sdwa v13, v5 dst_sel:DWORD dst_unused:UNUSED_PAD src0_sel:WORD_1
	v_cvt_f32_f16_e32 v12, v5
	v_addc_co_u32_e32 v9, vcc, 0, v7, vcc
	v_lshlrev_b64 v[8:9], 3, v[8:9]
	v_readlane_b32 s9, v230, 2
	v_add_co_u32_e32 v8, vcc, s9, v8
	v_readlane_b32 s9, v230, 3
	v_pk_fma_f32 v[10:11], v[2:3], v[10:11], 0 op_sel_hi:[0,1,0]
	v_mov_b32_e32 v1, s9
	s_waitcnt lgkmcnt(0)
	v_pk_fma_f32 v[4:5], v[6:7], v[12:13], v[10:11] op_sel_hi:[0,1,1]
	v_addc_co_u32_e32 v9, vcc, v1, v9, vcc
	v_div_scale_f32 v1, s[40:41], v3, v3, v5
	v_rcp_f32_e32 v2, v1
	v_fma_f32 v6, -v1, v2, 1.0
	v_fmac_f32_e32 v2, v6, v2
	v_div_scale_f32 v6, vcc, v5, v3, v5
	v_mul_f32_e32 v7, v6, v2
	v_fma_f32 v10, -v1, v7, v6
	v_fmac_f32_e32 v7, v10, v2
	v_fma_f32 v1, -v1, v7, v6
	v_div_fmas_f32 v1, v1, v2, v7
	v_div_fixup_f32 v5, v1, v3, v5
	v_div_scale_f32 v1, s[40:41], v3, v3, v4
	v_rcp_f32_e32 v2, v1
	v_fma_f32 v6, -v1, v2, 1.0
	v_fmac_f32_e32 v2, v6, v2
	v_div_scale_f32 v6, vcc, v4, v3, v4
	v_mul_f32_e32 v7, v6, v2
	v_fma_f32 v10, -v1, v7, v6
	v_fmac_f32_e32 v7, v10, v2
	v_fma_f32 v1, -v1, v7, v6
	v_div_fmas_f32 v1, v1, v2, v7
	v_div_fixup_f32 v4, v1, v3, v4
	v_mov_b32_e32 v1, 0
	global_store_dwordx2 v[8:9], v[4:5], off offset:256
.LBB14_243:                             ;   in Loop: Header=BB14_14 Depth=1
	s_or_b64 exec, exec, s[38:39]
	s_movk_i32 s9, 0x47
	v_cmp_gt_i32_e32 vcc, s9, v1
	s_mov_b64 s[38:39], -1
	s_and_saveexec_b64 s[40:41], vcc
; %bb.244:                              ;   in Loop: Header=BB14_14 Depth=1
	v_cmp_eq_u32_e32 vcc, 0, v1
	s_orn2_b64 s[38:39], vcc, exec
; %bb.245:                              ;   in Loop: Header=BB14_14 Depth=1
	s_or_b64 exec, exec, s[40:41]
	s_and_b64 exec, exec, s[38:39]
	s_cbranch_execz .LBB14_12
; %bb.246:                              ;   in Loop: Header=BB14_14 Depth=1
	v_add_u32_e32 v2, s87, v121
	v_cmp_gt_i32_e32 vcc, s76, v2
	v_mov_b32_e32 v1, 0x47
	s_and_saveexec_b64 s[38:39], vcc
	s_cbranch_execz .LBB14_248
; %bb.247:                              ;   in Loop: Header=BB14_14 Depth=1
	v_readlane_b32 s9, v231, 42
	v_add_u32_e32 v6, 0, v160
	v_add_u32_e32 v4, 0x80, v161
	v_mul_lo_u32 v1, v2, s9
	ds_read2_b32 v[2:3], v6 offset0:48 offset1:49
	ds_read2st64_b32 v[4:5], v4 offset1:13
	ds_read_b32 v6, v6 offset:3520
	v_ashrrev_i32_e32 v7, 31, v1
	v_add_co_u32_e32 v8, vcc, v1, v24
	s_waitcnt lgkmcnt(1)
	v_cvt_f32_f16_sdwa v11, v4 dst_sel:DWORD dst_unused:UNUSED_PAD src0_sel:WORD_1
	v_cvt_f32_f16_e32 v10, v4
	v_cvt_f32_f16_sdwa v13, v5 dst_sel:DWORD dst_unused:UNUSED_PAD src0_sel:WORD_1
	v_cvt_f32_f16_e32 v12, v5
	v_addc_co_u32_e32 v9, vcc, 0, v7, vcc
	v_lshlrev_b64 v[8:9], 3, v[8:9]
	v_readlane_b32 s9, v230, 2
	v_add_co_u32_e32 v8, vcc, s9, v8
	v_readlane_b32 s9, v230, 3
	v_pk_fma_f32 v[10:11], v[2:3], v[10:11], 0 op_sel_hi:[0,1,0]
	v_mov_b32_e32 v1, s9
	s_waitcnt lgkmcnt(0)
	v_pk_fma_f32 v[4:5], v[6:7], v[12:13], v[10:11] op_sel_hi:[0,1,1]
	v_addc_co_u32_e32 v9, vcc, v1, v9, vcc
	v_div_scale_f32 v1, s[40:41], v3, v3, v5
	v_rcp_f32_e32 v2, v1
	v_fma_f32 v6, -v1, v2, 1.0
	v_fmac_f32_e32 v2, v6, v2
	v_div_scale_f32 v6, vcc, v5, v3, v5
	v_mul_f32_e32 v7, v6, v2
	v_fma_f32 v10, -v1, v7, v6
	v_fmac_f32_e32 v7, v10, v2
	v_fma_f32 v1, -v1, v7, v6
	v_div_fmas_f32 v1, v1, v2, v7
	v_div_fixup_f32 v5, v1, v3, v5
	v_div_scale_f32 v1, s[40:41], v3, v3, v4
	v_rcp_f32_e32 v2, v1
	v_fma_f32 v6, -v1, v2, 1.0
	v_fmac_f32_e32 v2, v6, v2
	v_div_scale_f32 v6, vcc, v4, v3, v4
	v_mul_f32_e32 v7, v6, v2
	v_fma_f32 v10, -v1, v7, v6
	v_fmac_f32_e32 v7, v10, v2
	v_fma_f32 v1, -v1, v7, v6
	v_div_fmas_f32 v1, v1, v2, v7
	v_div_fixup_f32 v4, v1, v3, v4
	v_mov_b32_e32 v1, 0
	global_store_dwordx2 v[8:9], v[4:5], off offset:256
.LBB14_248:                             ;   in Loop: Header=BB14_14 Depth=1
	s_or_b64 exec, exec, s[38:39]
	s_movk_i32 s9, 0x47
	v_cmp_gt_i32_e32 vcc, s9, v1
	s_mov_b64 s[38:39], -1
	s_and_saveexec_b64 s[40:41], vcc
; %bb.249:                              ;   in Loop: Header=BB14_14 Depth=1
	v_cmp_eq_u32_e32 vcc, 0, v1
	s_orn2_b64 s[38:39], vcc, exec
; %bb.250:                              ;   in Loop: Header=BB14_14 Depth=1
	s_or_b64 exec, exec, s[40:41]
	s_and_b64 exec, exec, s[38:39]
	s_cbranch_execz .LBB14_12
; %bb.251:                              ;   in Loop: Header=BB14_14 Depth=1
	v_add_u32_e32 v1, s87, v122
	v_cmp_gt_i32_e32 vcc, s76, v1
	s_and_b64 exec, exec, vcc
	s_cbranch_execz .LBB14_12
; %bb.252:                              ;   in Loop: Header=BB14_14 Depth=1
	v_add_u32_e32 v6, 0, v162
	v_add_u32_e32 v4, 0x80, v163
	ds_read2_b32 v[2:3], v6 offset0:48 offset1:49
	ds_read2st64_b32 v[4:5], v4 offset1:13
	ds_read_b32 v6, v6 offset:3520
	v_readlane_b32 s9, v231, 42
	v_mul_lo_u32 v1, v1, s9
	v_ashrrev_i32_e32 v7, 31, v1
	s_waitcnt lgkmcnt(1)
	v_cvt_f32_f16_sdwa v11, v4 dst_sel:DWORD dst_unused:UNUSED_PAD src0_sel:WORD_1
	v_cvt_f32_f16_e32 v10, v4
	v_add_co_u32_e32 v8, vcc, v1, v24
	v_cvt_f32_f16_sdwa v13, v5 dst_sel:DWORD dst_unused:UNUSED_PAD src0_sel:WORD_1
	v_cvt_f32_f16_e32 v12, v5
	v_addc_co_u32_e32 v9, vcc, 0, v7, vcc
	v_lshlrev_b64 v[8:9], 3, v[8:9]
	v_readlane_b32 s9, v230, 2
	v_add_co_u32_e32 v8, vcc, s9, v8
	v_readlane_b32 s9, v230, 3
	v_pk_fma_f32 v[10:11], v[2:3], v[10:11], 0 op_sel_hi:[0,1,0]
	v_mov_b32_e32 v1, s9
	s_waitcnt lgkmcnt(0)
	v_pk_fma_f32 v[4:5], v[6:7], v[12:13], v[10:11] op_sel_hi:[0,1,1]
	v_addc_co_u32_e32 v9, vcc, v1, v9, vcc
	v_div_scale_f32 v1, s[38:39], v3, v3, v5
	v_rcp_f32_e32 v2, v1
	v_fma_f32 v6, -v1, v2, 1.0
	v_fmac_f32_e32 v2, v6, v2
	v_div_scale_f32 v6, vcc, v5, v3, v5
	v_mul_f32_e32 v7, v6, v2
	v_fma_f32 v10, -v1, v7, v6
	v_fmac_f32_e32 v7, v10, v2
	v_fma_f32 v1, -v1, v7, v6
	v_div_fmas_f32 v1, v1, v2, v7
	v_div_fixup_f32 v5, v1, v3, v5
	v_div_scale_f32 v1, s[38:39], v3, v3, v4
	v_rcp_f32_e32 v2, v1
	v_fma_f32 v6, -v1, v2, 1.0
	v_fmac_f32_e32 v2, v6, v2
	v_div_scale_f32 v6, vcc, v4, v3, v4
	v_mul_f32_e32 v7, v6, v2
	v_fma_f32 v10, -v1, v7, v6
	v_fmac_f32_e32 v7, v10, v2
	v_fma_f32 v1, -v1, v7, v6
	v_div_fmas_f32 v1, v1, v2, v7
	v_div_fixup_f32 v4, v1, v3, v4
	global_store_dwordx2 v[8:9], v[4:5], off offset:256
	s_branch .LBB14_12
.LBB14_253:
	v_readlane_b32 s24, v231, 36
	v_readlane_b32 s58, v231, 31
	;; [unrolled: 1-line block ×8, first 2 shown]
	s_andn2_b64 vcc, exec, s[34:35]
	s_cbranch_vccnz .LBB14_10
.LBB14_254:
	v_readlane_b32 s13, v231, 7
	s_abs_i32 s4, s13
	v_cvt_f32_u32_e32 v1, s4
	s_sub_i32 s7, 0, s4
	s_abs_i32 s6, s8
	s_xor_b32 s5, s8, s13
	v_rcp_iflag_f32_e32 v1, v1
	s_ashr_i32 s5, s5, 31
	v_readlane_b32 s15, v231, 6
	v_readlane_b32 s14, v231, 3
	v_mul_f32_e32 v1, 0x4f7ffffe, v1
	v_cvt_u32_f32_e32 v1, v1
	s_mov_b64 s[42:43], 0
	v_readfirstlane_b32 s10, v1
	s_mul_i32 s7, s7, s10
	s_mul_hi_u32 s7, s10, s7
	s_add_i32 s10, s10, s7
	s_mul_hi_u32 s7, s6, s10
	s_mul_i32 s10, s7, s4
	s_sub_i32 s6, s6, s10
	s_add_i32 s11, s7, 1
	s_sub_i32 s10, s6, s4
	s_cmp_ge_u32 s6, s4
	s_cselect_b32 s7, s11, s7
	s_cselect_b32 s6, s10, s6
	s_add_i32 s10, s7, 1
	s_cmp_ge_u32 s6, s4
	s_cselect_b32 s4, s10, s7
	s_abs_i32 s6, s15
	v_cvt_f32_u32_e32 v1, s6
	s_xor_b32 s4, s4, s5
	s_sub_i32 s7, 0, s6
	s_sub_i32 s12, s4, s5
	v_rcp_iflag_f32_e32 v1, v1
	s_mul_i32 s4, s12, s13
	s_sub_i32 s4, s8, s4
	s_abs_i32 s8, s4
	v_mul_f32_e32 v1, 0x4f7ffffe, v1
	v_cvt_u32_f32_e32 v1, v1
	s_xor_b32 s5, s4, s15
	s_ashr_i32 s5, s5, 31
	v_readfirstlane_b32 s10, v1
	s_mul_i32 s7, s7, s10
	s_mul_hi_u32 s7, s10, s7
	s_add_i32 s10, s10, s7
	s_mul_hi_u32 s7, s8, s10
	s_mul_i32 s10, s7, s6
	s_sub_i32 s8, s8, s10
	s_add_i32 s11, s7, 1
	s_sub_i32 s10, s8, s6
	s_cmp_ge_u32 s8, s6
	s_cselect_b32 s7, s11, s7
	s_cselect_b32 s8, s10, s8
	s_add_i32 s10, s7, 1
	s_cmp_ge_u32 s8, s6
	s_cselect_b32 s6, s10, s7
	s_abs_i32 s7, s14
	v_cvt_f32_u32_e32 v1, s7
	s_xor_b32 s6, s6, s5
	s_sub_i32 s8, 0, s7
	s_sub_i32 s13, s6, s5
	v_rcp_iflag_f32_e32 v1, v1
	s_mul_i32 s5, s13, s15
	s_sub_i32 s5, s4, s5
	s_abs_i32 s6, s5
	v_mul_f32_e32 v1, 0x4f7ffffe, v1
	v_cvt_u32_f32_e32 v1, v1
	s_xor_b32 s4, s5, s14
	s_ashr_i32 s4, s4, 31
	v_readfirstlane_b32 s10, v1
	s_mul_i32 s8, s8, s10
	s_mul_hi_u32 s8, s10, s8
	s_add_i32 s10, s10, s8
	s_mul_hi_u32 s8, s6, s10
	s_mul_i32 s10, s8, s7
	s_sub_i32 s6, s6, s10
	s_add_i32 s11, s8, 1
	s_sub_i32 s10, s6, s7
	s_cmp_ge_u32 s6, s7
	s_cselect_b32 s8, s11, s8
	s_cselect_b32 s6, s10, s6
	s_add_i32 s10, s8, 1
	s_cmp_ge_u32 s6, s7
	s_cselect_b32 s6, s10, s8
	s_xor_b32 s6, s6, s4
	s_sub_i32 s4, s6, s4
	s_mul_i32 s6, s4, s14
	s_sub_i32 s5, s5, s6
	s_abs_i32 s15, s5
	s_ashr_i32 s14, s12, 31
	s_mul_hi_u32 s8, s15, s45
	s_cmp_eq_u64 s[66:67], 0
	s_cbranch_scc1 .LBB14_256
; %bb.255:
	s_abs_i32 s6, s16
	v_cvt_f32_u32_e32 v1, s6
	s_sub_i32 s10, 0, s6
	s_abs_i32 s7, s12
	v_readlane_b32 s16, v231, 15
	v_rcp_iflag_f32_e32 v1, v1
	v_readlane_b32 s17, v231, 16
	v_mul_f32_e32 v1, 0x4f7ffffe, v1
	v_cvt_u32_f32_e32 v1, v1
	v_readfirstlane_b32 s11, v1
	s_mul_i32 s10, s10, s11
	s_mul_hi_u32 s10, s11, s10
	s_add_i32 s11, s11, s10
	s_mul_hi_u32 s10, s7, s11
	s_mul_i32 s10, s10, s6
	s_sub_i32 s7, s7, s10
	s_sub_i32 s10, s7, s6
	s_cmp_ge_u32 s7, s6
	s_cselect_b32 s7, s10, s7
	s_sub_i32 s10, s7, s6
	s_cmp_ge_u32 s7, s6
	s_cselect_b32 s6, s10, s7
	s_xor_b32 s6, s6, s14
	s_sub_i32 s6, s6, s14
	s_ashr_i32 s7, s6, 31
	s_mul_i32 s10, s6, s17
	s_mul_hi_u32 s11, s6, s16
	s_add_i32 s10, s11, s10
	s_mul_i32 s7, s7, s16
	s_add_i32 s10, s10, s7
	s_mul_i32 s6, s6, s16
	s_add_u32 s42, s66, s6
	s_addc_u32 s43, s67, s10
.LBB14_256:
	s_ashr_i32 s17, s5, 31
	v_readlane_b32 s5, v231, 2
	s_mul_i32 s16, s13, s5
	s_add_i32 s16, s16, s4
	v_cmp_le_f32_e64 s[4:5], s25, 0
	s_and_b64 vcc, exec, s[4:5]
	v_mov_b32_e32 v22, 1.0
	s_cbranch_vccnz .LBB14_258
; %bb.257:
	v_readlane_b32 s5, v231, 12
	s_sub_i32 s4, s16, s5
	s_lshl_b32 s4, s4, 1
	s_add_i32 s6, s16, 1
	s_or_b32 s7, s4, 1
	s_cmp_lt_u32 s16, s5
	s_cselect_b64 vcc, -1, 0
	s_and_b64 s[4:5], vcc, exec
	v_mov_b32_e32 v1, s27
	v_mov_b32_e32 v2, s26
	s_cselect_b32 s4, s6, s7
	v_cndmask_b32_e32 v18, v1, v2, vcc
	v_cvt_f32_i32_e32 v1, s4
	v_cmp_neq_f32_e32 vcc, 1.0, v18
	s_mov_b32 s4, 0x3f2aaaab
	s_movk_i32 s6, 0x204
	v_cndmask_b32_e32 v19, 1.0, v1, vcc
	v_cmp_eq_f32_e32 vcc, 0, v19
	v_cndmask_b32_e64 v20, |v18|, 1.0, vcc
	v_frexp_mant_f32_e32 v1, v20
	v_cmp_gt_f32_e64 s[4:5], s4, v1
	v_cndmask_b32_e64 v2, 1.0, 2.0, s[4:5]
	v_mul_f32_e32 v1, v1, v2
	v_add_f32_e32 v2, 1.0, v1
	v_rcp_f32_e32 v10, v2
	v_add_f32_e32 v3, -1.0, v2
	v_sub_f32_e32 v5, v1, v3
	v_add_f32_e32 v3, -1.0, v1
	v_mul_f32_e32 v1, v3, v10
	v_mul_f32_e32 v4, v2, v1
	v_fma_f32 v6, v1, v2, -v4
	v_fmac_f32_e32 v6, v1, v5
	v_add_f32_e32 v2, v4, v6
	v_sub_f32_e32 v5, v3, v2
	v_pk_add_f32 v[8:9], v[2:3], v[4:5] neg_lo:[0,1] neg_hi:[0,1]
	v_mov_b32_e32 v7, v2
	v_pk_add_f32 v[2:3], v[8:9], v[6:7] neg_lo:[0,1] neg_hi:[0,1]
	v_add_f32_e32 v2, v2, v3
	v_add_f32_e32 v2, v5, v2
	v_mul_f32_e32 v3, v10, v2
	v_add_f32_e32 v2, v1, v3
	v_sub_f32_e32 v1, v2, v1
	v_sub_f32_e32 v1, v3, v1
	v_mul_f32_e32 v3, v2, v2
	v_fma_f32 v5, v2, v2, -v3
	v_add_f32_e32 v4, v1, v1
	v_fmac_f32_e32 v5, v2, v4
	v_add_f32_e32 v4, v3, v5
	v_mov_b32_e32 v6, 0x3e91f4c4
	v_fmac_f32_e32 v6, 0x3e76c4e1, v4
	v_mov_b32_e32 v7, 0x3ecccdef
	v_fmac_f32_e32 v7, v4, v6
	v_sub_f32_e32 v3, v4, v3
	v_sub_f32_e32 v12, v5, v3
	v_mul_f32_e32 v3, v4, v7
	v_fma_f32 v5, v4, v7, -v3
	v_fmac_f32_e32 v5, v12, v7
	v_add_f32_e32 v6, v3, v5
	v_add_f32_e32 v7, 0x3f2aaaaa, v6
	v_sub_f32_e32 v3, v6, v3
	v_sub_f32_e32 v3, v5, v3
	v_add_f32_e32 v5, 0xbf2aaaaa, v7
	v_add_f32_e32 v3, 0x31739010, v3
	v_sub_f32_e32 v5, v6, v5
	v_pk_mul_f32 v[8:9], v[2:3], v[4:5]
	v_fma_f32 v6, v4, v2, -v8
	v_pk_add_f32 v[10:11], v[2:3], v[4:5]
	v_fmac_f32_e32 v6, v4, v1
	v_mov_b32_e32 v9, v11
	v_fmac_f32_e32 v6, v12, v2
	v_pk_add_f32 v[4:5], v[8:9], v[6:7]
	v_sub_f32_e32 v3, v4, v8
	v_sub_f32_e32 v3, v6, v3
	;; [unrolled: 1-line block ×3, first 2 shown]
	v_add_f32_e32 v9, v11, v6
	v_mov_b32_e32 v6, v5
	v_pk_mul_f32 v[6:7], v[4:5], v[6:7]
	v_cvt_f64_f32_e32 v[10:11], v20
	v_frexp_exp_i32_f64_e32 v7, v[10:11]
	v_subbrev_co_u32_e64 v7, s[4:5], 0, v7, s[4:5]
	v_cvt_f32_i32_e32 v7, v7
	v_fma_f32 v8, v4, v5, -v6
	v_fmac_f32_e32 v8, v4, v9
	s_mov_b32 s4, 0x3f317218
	v_mul_f32_e32 v4, 0x3f317218, v7
	v_fmac_f32_e32 v8, v3, v5
	v_fma_f32 v10, v7, s4, -v4
	v_fmac_f32_e32 v10, 0xb102e308, v7
	v_ldexp_f32 v11, v2, 1
	v_add_f32_e32 v5, v6, v8
	v_pk_add_f32 v[2:3], v[4:5], v[10:11]
	v_mov_b32_e32 v12, v5
	v_mov_b32_e32 v13, v3
	;; [unrolled: 1-line block ×3, first 2 shown]
	v_pk_add_f32 v[6:7], v[12:13], v[6:7] neg_lo:[0,1] neg_hi:[0,1]
	v_mov_b32_e32 v9, v5
	v_ldexp_f32 v1, v1, 1
	v_pk_add_f32 v[6:7], v[8:9], v[6:7] neg_lo:[0,1] neg_hi:[0,1]
	v_add_f32_e32 v1, v1, v6
	v_add_f32_e32 v5, v1, v7
	v_pk_add_f32 v[6:7], v[2:3], v[4:5] neg_lo:[0,1] neg_hi:[0,1]
	v_pk_add_f32 v[8:9], v[2:3], v[4:5]
	v_mov_b32_e32 v12, v6
	v_mov_b32_e32 v13, v9
	v_mov_b32_e32 v11, v2
	v_pk_add_f32 v[12:13], v[10:11], v[12:13]
	v_mov_b32_e32 v4, v13
	v_pk_add_f32 v[14:15], v[4:5], v[2:3] neg_lo:[0,1] neg_hi:[0,1]
	v_mov_b32_e32 v1, v14
	v_mov_b32_e32 v12, v9
	;; [unrolled: 1-line block ×4, first 2 shown]
	v_pk_add_f32 v[6:7], v[10:11], v[6:7] neg_lo:[0,1] neg_hi:[0,1]
	v_pk_add_f32 v[16:17], v[8:9], v[0:1] neg_lo:[0,1] neg_hi:[0,1]
	;; [unrolled: 1-line block ×3, first 2 shown]
	v_mov_b32_e32 v10, v5
	v_pk_add_f32 v[2:3], v[10:11], v[2:3] neg_lo:[0,1] neg_hi:[0,1]
	v_mov_b32_e32 v16, v6
	v_pk_add_f32 v[8:9], v[16:17], v[2:3]
	v_mov_b32_e32 v10, v9
	v_pk_add_f32 v[10:11], v[8:9], v[10:11]
	v_pk_add_f32 v[4:5], v[4:5], v[10:11]
	v_mov_b32_e32 v7, v13
	v_mov_b32_e32 v9, v4
	v_pk_add_f32 v[12:13], v[8:9], v[6:7] neg_lo:[0,1] neg_hi:[0,1]
	v_mov_b32_e32 v3, v10
	v_sub_f32_e32 v1, v8, v12
	v_pk_add_f32 v[2:3], v[2:3], v[12:13] neg_lo:[0,1] neg_hi:[0,1]
	v_sub_f32_e32 v1, v6, v1
	v_add_f32_e32 v1, v2, v1
	v_add_f32_e32 v1, v1, v3
	;; [unrolled: 1-line block ×3, first 2 shown]
	v_sub_f32_e32 v3, v2, v4
	v_sub_f32_e32 v1, v1, v3
	v_mul_f32_e32 v3, v19, v2
	v_fma_f32 v2, v19, v2, -v3
	v_fmac_f32_e32 v2, v19, v1
	v_add_f32_e32 v1, v3, v2
	v_cmp_class_f32_e64 s[4:5], v3, s6
	v_sub_f32_e32 v4, v1, v3
	v_cndmask_b32_e64 v1, v1, v3, s[4:5]
	s_mov_b32 s10, 0x42b17218
	v_mov_b32_e32 v3, 0x37000000
	v_cmp_eq_f32_e64 s[4:5], s10, v1
	v_cndmask_b32_e64 v3, 0, v3, s[4:5]
	v_sub_f32_e32 v2, v2, v4
	v_sub_f32_e32 v4, v1, v3
	s_mov_b32 s4, 0x3fb8aa3b
	v_mul_f32_e32 v5, 0x3fb8aa3b, v4
	v_fma_f32 v6, v4, s4, -v5
	v_rndne_f32_e32 v7, v5
	v_fmac_f32_e32 v6, 0x32a5705f, v4
	v_sub_f32_e32 v5, v5, v7
	v_add_f32_e32 v5, v5, v6
	v_exp_f32_e32 v5, v5
	v_cvt_i32_f32_e32 v6, v7
	s_mov_b32 s7, 0x7f800000
	v_cmp_neq_f32_e64 s[4:5], |v1|, s7
	v_cndmask_b32_e64 v1, 0, v2, s[4:5]
	s_mov_b32 s4, 0xc2ce8ed0
	v_ldexp_f32 v2, v5, v6
	v_cmp_ngt_f32_e64 s[4:5], s4, v4
	v_add_f32_e32 v1, v3, v1
	v_cndmask_b32_e64 v2, 0, v2, s[4:5]
	v_mov_b32_e32 v3, 0x7f800000
	v_cmp_nlt_f32_e64 s[4:5], s10, v4
	v_cndmask_b32_e64 v2, v3, v2, s[4:5]
	v_fma_f32 v1, v2, v1, v2
	v_cmp_class_f32_e64 s[4:5], v2, s6
	v_trunc_f32_e32 v4, v19
	v_cndmask_b32_e64 v1, v1, v2, s[4:5]
	v_cndmask_b32_e64 v2, v18, 1.0, vcc
	v_cmp_eq_f32_e32 vcc, v4, v19
	v_mul_f32_e32 v4, 0.5, v19
	v_trunc_f32_e32 v6, v4
	v_cmp_neq_f32_e64 s[4:5], v6, v4
	s_and_b64 s[4:5], vcc, s[4:5]
	v_cndmask_b32_e64 v4, 1.0, v2, s[4:5]
	s_brev_b32 s18, -2
	v_mov_b32_e32 v5, 0x7fc00000
	v_bfi_b32 v1, s18, v1, v4
	v_cndmask_b32_e32 v4, v5, v1, vcc
	v_cmp_gt_f32_e32 vcc, 0, v2
	v_cndmask_b32_e32 v1, v1, v4, vcc
	v_cmp_eq_f32_e32 vcc, s7, v20
	v_cmp_eq_f32_e64 s[6:7], 0, v2
	v_cmp_gt_f32_e64 s[10:11], 0, v19
	s_xor_b64 s[10:11], s[10:11], s[6:7]
	v_cndmask_b32_e64 v3, v3, 0, s[10:11]
	v_cndmask_b32_e64 v4, 0, v2, s[4:5]
	v_bfi_b32 v3, s18, v3, v4
	s_or_b64 vcc, vcc, s[6:7]
	v_cndmask_b32_e32 v1, v1, v3, vcc
	v_cmp_o_f32_e32 vcc, v2, v2
	v_cndmask_b32_e32 v22, v5, v1, vcc
.LBB14_258:
	s_mul_i32 s5, s8, s33
	v_readlane_b32 s4, v231, 23
	s_sub_i32 s5, s15, s5
	s_xor_b32 s4, s17, s4
	s_add_i32 s6, s8, 1
	s_sub_i32 s7, s5, s33
	s_cmp_ge_u32 s5, s33
	s_cselect_b32 s6, s6, s8
	s_cselect_b32 s5, s7, s5
	s_add_i32 s7, s6, 1
	s_cmp_ge_u32 s5, s33
	s_cselect_b32 s5, s7, s6
	s_xor_b32 s5, s5, s4
	s_sub_i32 s4, s5, s4
	s_cmp_eq_u64 s[70:71], 0
	v_mov_b32_e32 v12, s9
	s_cbranch_scc1 .LBB14_260
; %bb.259:
	v_readlane_b32 s5, v231, 0
	s_mul_i32 s5, s12, s5
	s_add_i32 s6, s4, s5
	s_ashr_i32 s7, s6, 31
	s_lshl_b64 s[6:7], s[6:7], 2
	s_add_u32 s6, s70, s6
	s_addc_u32 s7, s71, s7
	v_mov_b32_e32 v1, 0
	global_load_dword v1, v1, s[6:7]
	s_waitcnt vmcnt(0)
	v_ashrrev_i32_e32 v2, 31, v1
	v_lshrrev_b32_e32 v2, 26, v2
	v_add_u32_e32 v1, v1, v2
	v_ashrrev_i32_e32 v1, 6, v1
	v_min_i32_e32 v12, s9, v1
.LBB14_260:
	v_readlane_b32 s8, v231, 8
	v_readlane_b32 s9, v231, 9
	s_mul_i32 s5, s12, s9
	s_ashr_i32 s6, s5, 31
	s_add_u32 s5, s60, s5
	s_mul_i32 s16, s16, s8
	s_addc_u32 s7, s61, s6
	s_ashr_i32 s8, s16, 31
	v_and_b32_e32 v60, 0x3ff, v0
	s_add_u32 s6, s5, s16
	v_lshrrev_b32_e32 v59, 5, v60
	s_addc_u32 s7, s7, s8
	s_lshl_b32 s8, s4, 5
	v_add_u32_e32 v0, v59, v84
	v_add_u32_e32 v1, s8, v0
	v_and_b32_e32 v26, 31, v60
	v_cmp_le_i32_e32 vcc, s76, v1
	s_and_saveexec_b64 s[4:5], vcc
	s_xor_b64 s[4:5], exec, s[4:5]
	s_cbranch_execz .LBB14_262
; %bb.261:
	v_mad_u32_u24 v1, v0, 52, v26
	v_lshl_add_u32 v1, v1, 2, 0
	v_mov_b32_e32 v2, 0
	ds_write_b32 v1, v2
                                        ; implicit-def: $vgpr1
.LBB14_262:
	s_andn2_saveexec_b64 s[4:5], s[4:5]
	s_cbranch_execz .LBB14_264
; %bb.263:
	v_mad_u64_u32 v[2:3], s[10:11], v1, s50, v[26:27]
	v_ashrrev_i32_e32 v3, 31, v2
	v_lshlrev_b64 v[2:3], 3, v[2:3]
	v_mov_b32_e32 v1, s7
	v_add_co_u32_e32 v2, vcc, s6, v2
	v_addc_co_u32_e32 v3, vcc, v1, v3, vcc
	global_load_dwordx2 v[2:3], v[2:3], off
	s_waitcnt vmcnt(0)
	v_cvt_f16_f32_e32 v1, v2
	v_cvt_f16_f32_e32 v2, v3
	v_mad_u32_u24 v3, v0, 52, v26
	v_pack_b32_f16 v1, v1, v2
	v_pk_mul_f16 v1, v39, v1
	v_lshl_add_u32 v2, v3, 2, 0
	ds_write_b32 v2, v1
.LBB14_264:
	s_or_b64 exec, exec, s[4:5]
	v_add_u32_e32 v1, 8, v0
	v_add_u32_e32 v2, s8, v1
	v_cmp_le_i32_e32 vcc, s76, v2
	s_and_saveexec_b64 s[4:5], vcc
	s_xor_b64 s[4:5], exec, s[4:5]
	s_cbranch_execz .LBB14_266
; %bb.265:
	v_mad_u32_u24 v1, v1, 52, v26
	v_lshl_add_u32 v1, v1, 2, 0
	v_mov_b32_e32 v2, 0
	ds_write_b32 v1, v2
                                        ; implicit-def: $vgpr2
                                        ; implicit-def: $vgpr1
.LBB14_266:
	s_andn2_saveexec_b64 s[4:5], s[4:5]
	s_cbranch_execz .LBB14_268
; %bb.267:
	v_mad_u64_u32 v[2:3], s[10:11], v2, s50, v[26:27]
	v_ashrrev_i32_e32 v3, 31, v2
	v_lshlrev_b64 v[2:3], 3, v[2:3]
	v_mov_b32_e32 v4, s7
	v_add_co_u32_e32 v2, vcc, s6, v2
	v_addc_co_u32_e32 v3, vcc, v4, v3, vcc
	global_load_dwordx2 v[2:3], v[2:3], off
	v_mad_u32_u24 v1, v1, 52, v26
	v_lshl_add_u32 v1, v1, 2, 0
	s_waitcnt vmcnt(0)
	v_cvt_f16_f32_e32 v2, v2
	v_cvt_f16_f32_e32 v3, v3
	v_pack_b32_f16 v2, v2, v3
	v_pk_mul_f16 v2, v39, v2
	ds_write_b32 v1, v2
.LBB14_268:
	s_or_b64 exec, exec, s[4:5]
	v_add_u32_e32 v1, 16, v0
	v_add_u32_e32 v2, s8, v1
	v_cmp_le_i32_e32 vcc, s76, v2
	s_and_saveexec_b64 s[4:5], vcc
	s_xor_b64 s[4:5], exec, s[4:5]
	s_cbranch_execz .LBB14_270
; %bb.269:
	v_mad_u32_u24 v1, v1, 52, v26
	v_lshl_add_u32 v1, v1, 2, 0
	v_mov_b32_e32 v2, 0
	ds_write_b32 v1, v2
                                        ; implicit-def: $vgpr2
                                        ; implicit-def: $vgpr1
.LBB14_270:
	s_andn2_saveexec_b64 s[4:5], s[4:5]
	s_cbranch_execz .LBB14_272
; %bb.271:
	v_mad_u64_u32 v[2:3], s[10:11], v2, s50, v[26:27]
	v_ashrrev_i32_e32 v3, 31, v2
	v_lshlrev_b64 v[2:3], 3, v[2:3]
	v_mov_b32_e32 v4, s7
	v_add_co_u32_e32 v2, vcc, s6, v2
	v_addc_co_u32_e32 v3, vcc, v4, v3, vcc
	global_load_dwordx2 v[2:3], v[2:3], off
	v_mad_u32_u24 v1, v1, 52, v26
	v_lshl_add_u32 v1, v1, 2, 0
	s_waitcnt vmcnt(0)
	v_cvt_f16_f32_e32 v2, v2
	v_cvt_f16_f32_e32 v3, v3
	v_pack_b32_f16 v2, v2, v3
	v_pk_mul_f16 v2, v39, v2
	ds_write_b32 v1, v2
.LBB14_272:
	s_or_b64 exec, exec, s[4:5]
	v_add_u32_e32 v0, 24, v0
	v_add_u32_e32 v1, s8, v0
	v_cmp_le_i32_e32 vcc, s76, v1
	s_and_saveexec_b64 s[4:5], vcc
	s_xor_b64 s[4:5], exec, s[4:5]
	s_cbranch_execz .LBB14_274
; %bb.273:
	v_mad_u32_u24 v0, v0, 52, v26
	v_lshl_add_u32 v0, v0, 2, 0
	v_mov_b32_e32 v1, 0
	ds_write_b32 v0, v1
                                        ; implicit-def: $vgpr1
                                        ; implicit-def: $vgpr0
.LBB14_274:
	s_andn2_saveexec_b64 s[4:5], s[4:5]
	s_cbranch_execz .LBB14_276
; %bb.275:
	v_mad_u64_u32 v[2:3], s[10:11], v1, s50, v[26:27]
	v_ashrrev_i32_e32 v3, 31, v2
	v_lshlrev_b64 v[2:3], 3, v[2:3]
	v_mov_b32_e32 v1, s7
	v_add_co_u32_e32 v2, vcc, s6, v2
	v_addc_co_u32_e32 v3, vcc, v1, v3, vcc
	global_load_dwordx2 v[2:3], v[2:3], off
	v_mad_u32_u24 v0, v0, 52, v26
	v_lshl_add_u32 v0, v0, 2, 0
	s_waitcnt vmcnt(0)
	v_cvt_f16_f32_e32 v1, v2
	v_cvt_f16_f32_e32 v2, v3
	v_pack_b32_f16 v1, v1, v2
	v_pk_mul_f16 v1, v39, v1
	ds_write_b32 v0, v1
.LBB14_276:
	s_or_b64 exec, exec, s[4:5]
	v_lshrrev_b32_e32 v58, 4, v60
	v_lshl_add_u32 v0, v85, 2, v58
	v_add_u32_e32 v1, s8, v0
	v_and_b32_e32 v27, 15, v60
	v_cmp_le_i32_e32 vcc, s76, v1
	s_and_saveexec_b64 s[4:5], vcc
	s_xor_b64 s[4:5], exec, s[4:5]
	s_cbranch_execz .LBB14_278
; %bb.277:
	v_mad_u32_u24 v1, v0, 52, v27
	v_lshl_add_u32 v1, v1, 2, 0
	v_mov_b32_e32 v2, 0
	ds_write_b32 v1, v2 offset:128
                                        ; implicit-def: $vgpr1
.LBB14_278:
	s_andn2_saveexec_b64 s[4:5], s[4:5]
	s_cbranch_execz .LBB14_280
; %bb.279:
	v_mul_lo_u32 v1, v1, s50
	v_ashrrev_i32_e32 v3, 31, v1
	v_add_co_u32_e32 v2, vcc, v1, v27
	v_addc_co_u32_e32 v3, vcc, 0, v3, vcc
	v_lshlrev_b64 v[2:3], 3, v[2:3]
	v_mov_b32_e32 v1, s7
	v_add_co_u32_e32 v2, vcc, s6, v2
	v_addc_co_u32_e32 v3, vcc, v1, v3, vcc
	global_load_dwordx2 v[2:3], v[2:3], off offset:256
	s_waitcnt vmcnt(0)
	v_cvt_f16_f32_e32 v1, v2
	v_cvt_f16_f32_e32 v2, v3
	v_mad_u32_u24 v3, v0, 52, v27
	v_pack_b32_f16 v1, v1, v2
	v_pk_mul_f16 v1, v39, v1
	v_lshl_add_u32 v2, v3, 2, 0
	ds_write_b32 v2, v1 offset:128
.LBB14_280:
	s_or_b64 exec, exec, s[4:5]
	v_add_u32_e32 v0, 16, v0
	v_add_u32_e32 v1, s8, v0
	v_cmp_le_i32_e32 vcc, s76, v1
	s_and_saveexec_b64 s[4:5], vcc
	s_xor_b64 s[4:5], exec, s[4:5]
	s_cbranch_execz .LBB14_282
; %bb.281:
	v_mad_u32_u24 v0, v0, 52, v27
	v_lshl_add_u32 v0, v0, 2, 0
	v_mov_b32_e32 v1, 0
	ds_write_b32 v0, v1 offset:128
                                        ; implicit-def: $vgpr1
                                        ; implicit-def: $vgpr39
                                        ; implicit-def: $vgpr0
.LBB14_282:
	s_andn2_saveexec_b64 s[4:5], s[4:5]
	s_cbranch_execz .LBB14_284
; %bb.283:
	v_mul_lo_u32 v1, v1, s50
	v_ashrrev_i32_e32 v3, 31, v1
	v_add_co_u32_e32 v2, vcc, v1, v27
	v_addc_co_u32_e32 v3, vcc, 0, v3, vcc
	v_lshlrev_b64 v[2:3], 3, v[2:3]
	v_mov_b32_e32 v1, s7
	v_add_co_u32_e32 v2, vcc, s6, v2
	v_addc_co_u32_e32 v3, vcc, v1, v3, vcc
	global_load_dwordx2 v[2:3], v[2:3], off offset:256
	v_mad_u32_u24 v0, v0, 52, v27
	v_lshl_add_u32 v0, v0, 2, 0
	s_waitcnt vmcnt(0)
	v_cvt_f16_f32_e32 v1, v2
	v_cvt_f16_f32_e32 v2, v3
	v_pack_b32_f16 v1, v1, v2
	v_pk_mul_f16 v1, v39, v1
	ds_write_b32 v0, v1 offset:128
.LBB14_284:
	s_or_b64 exec, exec, s[4:5]
	v_readlane_b32 s6, v231, 13
	v_readlane_b32 s7, v231, 14
	s_mul_i32 s4, s12, s7
	s_mul_hi_u32 s5, s12, s6
	s_add_i32 s4, s5, s4
	s_mul_i32 s5, s14, s6
	v_readlane_b32 s16, v231, 19
	s_add_i32 s4, s4, s5
	s_mul_i32 s5, s12, s6
	v_readlane_b32 s19, v231, 22
	s_add_u32 s5, s64, s5
	s_mul_i32 s6, s13, s19
	v_lshrrev_b32_e32 v14, 3, v60
	s_addc_u32 s4, s65, s4
	s_ashr_i32 s7, s6, 31
	v_and_b32_e32 v13, 0x1ff0, v87
	s_movk_i32 s28, 0xd0
	v_and_b32_e32 v61, 0x7e, v14
	v_readlane_b32 s17, v231, 20
	s_add_u32 s33, s5, s6
	v_mad_u32_u24 v0, v13, s28, 0
	v_mul_u32_u24_e32 v80, 0xd0, v27
	v_lshlrev_b32_e32 v81, 2, v61
	s_addc_u32 s44, s4, s7
	s_mul_i32 s4, s12, s17
	s_mul_hi_u32 s5, s12, s16
	v_add3_u32 v0, v0, v80, v81
	s_add_i32 s4, s5, s4
	s_mul_i32 s14, s14, s16
	v_readlane_b32 s6, v231, 17
	s_waitcnt lgkmcnt(0)
	s_barrier
	ds_read2_b64 v[8:11], v0 offset1:4
	ds_read2_b64 v[4:7], v0 offset0:8 offset1:12
	ds_read2_b64 v[0:3], v0 offset0:16 offset1:20
	s_add_i32 s4, s4, s14
	s_mul_i32 s12, s12, s16
	v_readlane_b32 s7, v231, 18
	s_add_u32 s5, s62, s12
	s_mul_i32 s13, s13, s7
	s_addc_u32 s4, s63, s4
	s_ashr_i32 s6, s13, 31
	v_add_u32_e32 v90, -1, v12
	s_add_u32 s9, s5, s13
	v_cmp_ge_i32_e32 vcc, s46, v90
	v_add_u32_e32 v82, v87, v14
	s_addc_u32 s45, s4, s6
	s_mov_b32 s47, 0
	s_and_b64 vcc, exec, vcc
	v_mov_b32_e32 v64, 0
	v_or_b32_e32 v79, v13, v27
	v_lshlrev_b32_e32 v89, 1, v60
	v_mbcnt_lo_u32_b32 v68, -1, 0
	v_lshrrev_b32_e32 v65, 2, v60
	v_lshlrev_b32_e32 v83, 2, v60
	v_mul_lo_u32 v24, s90, v82
	v_mul_lo_u32 v20, s78, v82
	v_and_b32_e32 v63, 8, v87
	v_lshlrev_b32_e32 v62, 1, v27
	v_readlane_b32 s18, v231, 21
	s_waitcnt lgkmcnt(0)
	s_barrier
	s_cbranch_vccnz .LBB14_297
; %bb.285:
	v_add_u32_e32 v21, s8, v85
	v_add_u32_e32 v23, 16, v21
	v_mul_hi_u32 v25, s92, v23
	v_add_u32_e32 v25, v23, v25
	v_lshrrev_b32_e32 v25, s93, v25
	v_mul_lo_u32 v25, v25, s76
	v_sub_u32_e32 v23, v23, v25
	v_mad_i64_i32 v[38:39], s[6:7], v23, s84, 0
	v_add_u32_e32 v23, 20, v21
	v_mul_hi_u32 v25, s92, v23
	v_add_u32_e32 v25, v23, v25
	v_lshrrev_b32_e32 v25, s93, v25
	v_mul_lo_u32 v25, v25, s76
	v_sub_u32_e32 v23, v23, v25
	v_mov_b32_e32 v12, s43
	v_add_co_u32_e32 v92, vcc, s42, v89
	v_mad_i64_i32 v[40:41], s[6:7], v23, s84, 0
	v_add_u32_e32 v23, 24, v21
	v_addc_co_u32_e32 v93, vcc, 0, v12, vcc
	v_mul_hi_u32 v12, s92, v21
	v_mul_hi_u32 v25, s92, v23
	v_add_u32_e32 v12, v21, v12
	v_add_u32_e32 v25, v23, v25
	v_lshrrev_b32_e32 v12, s93, v12
	v_lshrrev_b32_e32 v25, s93, v25
	v_mul_lo_u32 v12, v12, s76
	v_mul_u32_u24_e32 v14, 0x90, v85
	v_mul_lo_u32 v25, v25, s76
	v_sub_u32_e32 v12, v21, v12
	v_add3_u32 v94, 0, v14, v89
	v_add_u32_e32 v14, 4, v21
	v_add_u32_e32 v16, 8, v21
	;; [unrolled: 1-line block ×3, first 2 shown]
	v_sub_u32_e32 v23, v23, v25
	v_add_u32_e32 v21, 28, v21
	v_mad_i64_i32 v[42:43], s[6:7], v23, s84, 0
	v_mul_hi_u32 v23, s92, v21
	v_add_u32_e32 v23, v21, v23
	v_lshrrev_b32_e32 v23, s93, v23
	v_mul_lo_u32 v23, v23, s76
	v_sub_u32_e32 v21, v21, v23
	v_mad_i64_i32 v[44:45], s[6:7], v21, s84, 0
	v_mbcnt_hi_u32_b32 v21, -1, v68
	v_and_b32_e32 v23, 64, v21
	v_add_u32_e32 v23, 64, v23
	v_xor_b32_e32 v25, 32, v21
	v_cmp_lt_i32_e32 vcc, v25, v23
	v_cndmask_b32_e32 v25, v21, v25, vcc
	v_lshlrev_b32_e32 v102, 2, v25
	v_xor_b32_e32 v25, 16, v21
	v_cmp_lt_i32_e32 vcc, v25, v23
	v_cndmask_b32_e32 v21, v21, v25, vcc
	v_lshlrev_b32_e32 v103, 2, v21
	v_add_u32_e32 v21, v86, v65
	v_and_b32_e32 v48, 12, v83
	v_mad_u32_u24 v23, v21, s28, 0
	v_lshlrev_b32_e32 v25, 2, v48
	s_movk_i32 s48, 0x80
	v_and_b32_e32 v50, 28, v83
	v_add3_u32 v104, v23, v25, s48
	v_mul_u32_u24_e32 v23, 0xd0, v82
	v_lshlrev_b32_e32 v25, 2, v50
	v_add3_u32 v105, 0, v23, v25
	v_and_b32_e32 v23, 16, v86
	v_and_b32_e32 v28, 0xfc, v65
	s_movk_i32 s12, 0x90
	v_mul_u32_u24_e32 v66, 0xd0, v23
	v_add_u32_e32 v29, v23, v28
	v_add_u16_e32 v23, v23, v28
	v_mad_u32_u24 v30, v79, s12, 0
	v_lshrrev_b16_e32 v23, 1, v23
	v_lshl_add_u32 v23, v23, 2, v30
	v_lshl_add_u32 v30, v29, 1, v30
	v_cmp_gt_u32_e64 s[12:13], 64, v29
	v_cmp_gt_u32_e64 s[14:15], 63, v29
	;; [unrolled: 1-line block ×8, first 2 shown]
	v_mul_u32_u24_e32 v29, 0x68, v28
	s_movk_i32 s38, 0x1a0
	v_add_u32_e32 v107, 64, v30
	v_add_u32_e32 v108, 0x44, v30
	v_or_b32_e32 v29, v29, v27
	v_mul_u32_u24_e32 v30, 0xd0, v28
	v_or_b32_e32 v31, 3, v65
	v_mul_u32_u24_e32 v32, 0x1a0, v63
	v_mad_u32_u24 v33, v63, s38, 0
	s_cmp_lg_u64 s[42:43], 0
	v_mul_u32_u24_e32 v31, 0xd0, v31
	v_lshlrev_b32_e32 v29, 1, v29
	v_add3_u32 v110, v33, v30, v62
	v_add3_u32 v30, 0, 32, v32
	s_cselect_b64 s[34:35], -1, 0
	v_add_u32_e32 v109, v33, v29
	v_add3_u32 v111, v33, v31, v62
	v_add_u32_e32 v114, v30, v29
	v_mad_u32_u24 v33, v28, s28, v30
	v_add3_u32 v116, v30, v31, v62
	v_add3_u32 v30, 0, 64, v32
	s_add_i32 s39, 0, 0x60
	v_mul_hi_u32 v15, s92, v14
	v_mul_hi_u32 v17, s92, v16
	v_mul_hi_u32 v19, s92, v18
	v_add_u32_e32 v118, v30, v29
	v_mad_u32_u24 v32, v28, s28, v30
	v_add3_u32 v120, v30, v31, v62
	v_mov_b32_e32 v30, s39
	v_add_u32_e32 v15, v14, v15
	v_add_u32_e32 v17, v16, v17
	v_add_u32_e32 v19, v18, v19
	s_movk_i32 s29, 0x1a00
	v_mad_u32_u24 v30, v63, s38, v30
	s_add_i32 s39, 0, 0x80
	v_lshrrev_b32_e32 v15, s93, v15
	v_lshrrev_b32_e32 v17, s93, v17
	;; [unrolled: 1-line block ×3, first 2 shown]
	v_add3_u32 v119, v32, v62, s29
	v_add_u32_e32 v122, v30, v29
	v_mad_u32_u24 v32, v28, s28, v30
	v_add3_u32 v124, v30, v31, v62
	v_mov_b32_e32 v30, s39
	v_mul_lo_u32 v15, v15, s76
	v_mul_lo_u32 v17, v17, s76
	;; [unrolled: 1-line block ×3, first 2 shown]
	v_mad_u32_u24 v30, v63, s38, v30
	s_add_i32 s39, 0, 0xa0
	v_sub_u32_e32 v14, v14, v15
	v_sub_u32_e32 v16, v16, v17
	v_sub_u32_e32 v18, v18, v19
	v_add3_u32 v123, v32, v62, s29
	v_add_u32_e32 v126, v30, v29
	v_mad_u32_u24 v32, v28, s28, v30
	v_add3_u32 v128, v30, v31, v62
	v_mov_b32_e32 v30, s39
	v_mad_i64_i32 v[12:13], s[6:7], v12, s84, 0
	v_mad_i64_i32 v[14:15], s[6:7], v14, s84, 0
	;; [unrolled: 1-line block ×4, first 2 shown]
	v_mul_lo_u32 v46, s90, v21
	v_lshl_add_u32 v52, s90, 5, v24
	v_mul_lo_u32 v54, s78, v21
	v_lshl_add_u32 v56, s78, 5, v20
	v_mad_u32_u24 v30, v63, s38, v30
	s_mov_b64 s[36:37], src_private_base
	v_cmp_gt_u32_e64 s[6:7], 64, v21
	v_ashrrev_i32_e32 v47, 31, v46
	v_ashrrev_i32_e32 v25, 31, v24
	v_ashrrev_i32_e32 v53, 31, v52
	v_add3_u32 v64, 0, v80, v81
	v_ashrrev_i32_e32 v55, 31, v54
	v_ashrrev_i32_e32 v21, 31, v20
	;; [unrolled: 1-line block ×3, first 2 shown]
	v_mad_u32_u24 v28, v28, s28, v30
	v_cmp_lt_u32_e64 s[4:5], 63, v60
	v_mov_b32_e32 v91, 0
	v_add_u32_e32 v95, 0x240, v94
	v_add_u32_e32 v96, 0x480, v94
	;; [unrolled: 1-line block ×7, first 2 shown]
	s_mov_b32 s36, 0
	v_cmp_gt_u32_e64 s[30:31], 64, v82
	v_add_u32_e32 v106, 0x1a00, v105
	v_cmp_gt_u32_e64 s[10:11], 32, v82
	v_add_u32_e32 v112, 0x1a00, v110
	v_add_u32_e32 v113, 32, v110
	v_add3_u32 v115, v33, v62, s29
	v_add_u32_e32 v117, 64, v110
	v_add_u32_e32 v121, 0x60, v110
	;; [unrolled: 1-line block ×3, first 2 shown]
	v_add3_u32 v127, v32, v62, s29
	v_add_u32_e32 v129, 0xa0, v110
	v_add_u32_e32 v130, v30, v29
	v_add3_u32 v131, v28, v62, s29
	v_add3_u32 v132, v30, v31, v62
	v_mov_b32_e32 v28, v22
	v_mov_b32_e32 v29, v22
	s_lshl_b32 s38, s46, 6
	v_mov_b32_e32 v78, 0xfeffffff
	v_lshlrev_b64 v[30:31], 1, v[12:13]
	v_lshlrev_b64 v[32:33], 1, v[14:15]
	;; [unrolled: 1-line block ×9, first 2 shown]
	v_lshlrev_b32_e32 v133, 2, v48
	v_lshlrev_b64 v[48:49], 2, v[24:25]
	v_lshlrev_b32_e32 v25, 2, v50
	v_lshlrev_b64 v[50:51], 2, v[52:53]
	v_add_u32_e32 v134, v64, v66
	v_add_u32_e32 v135, 0x3400, v23
	s_mov_b32 s49, 0x3fb8aa3b
	s_mov_b32 s50, 0xc2ce8ed0
	;; [unrolled: 1-line block ×4, first 2 shown]
	v_lshlrev_b64 v[52:53], 2, v[54:55]
	v_lshlrev_b64 v[54:55], 2, v[20:21]
	v_lshlrev_b64 v[56:57], 2, v[56:57]
	s_mov_b32 s53, 0x5040100
	v_mov_b32_e32 v21, 0x7f800000
	v_mov_b32_e32 v136, 0
	;; [unrolled: 1-line block ×14, first 2 shown]
.LBB14_286:                             ; =>This Inner Loop Header: Depth=1
	s_nop 0
	v_cndmask_b32_e64 v12, 0, 1, s[34:35]
	v_cmp_ne_u32_e64 s[28:29], 1, v12
	s_andn2_b64 vcc, exec, s[34:35]
	s_ashr_i32 s39, s38, 31
	s_cbranch_vccnz .LBB14_292
; %bb.287:                              ;   in Loop: Header=BB14_286 Depth=1
                                        ; implicit-def: $sgpr54
	s_and_saveexec_b64 s[40:41], s[4:5]
	s_xor_b64 s[40:41], exec, s[40:41]
	s_cbranch_execz .LBB14_289
; %bb.288:                              ;   in Loop: Header=BB14_286 Depth=1
	ds_write_b16 v94, v91 offset:13312
	ds_write_b16 v95, v91 offset:13312
	;; [unrolled: 1-line block ×4, first 2 shown]
	s_mov_b32 s54, 0
.LBB14_289:                             ;   in Loop: Header=BB14_286 Depth=1
	s_or_saveexec_b64 s[40:41], s[40:41]
	v_mov_b32_e32 v12, s54
	v_mov_b32_e32 v13, s54
	;; [unrolled: 1-line block ×4, first 2 shown]
	s_xor_b64 exec, exec, s[40:41]
	s_cbranch_execz .LBB14_291
; %bb.290:                              ;   in Loop: Header=BB14_286 Depth=1
	s_lshl_b64 s[54:55], s[38:39], 1
	v_mov_b32_e32 v12, s55
	v_add_co_u32_e32 v23, vcc, s54, v92
	v_addc_co_u32_e32 v137, vcc, v93, v12, vcc
	v_add_co_u32_e32 v12, vcc, v23, v30
	v_addc_co_u32_e32 v13, vcc, v137, v31, vcc
	;; [unrolled: 2-line block ×5, first 2 shown]
	flat_load_ushort v138, v[12:13]
	flat_load_ushort v139, v[14:15]
	;; [unrolled: 1-line block ×4, first 2 shown]
	v_add_co_u32_e32 v12, vcc, v23, v38
	v_addc_co_u32_e32 v13, vcc, v137, v39, vcc
	v_add_co_u32_e32 v14, vcc, v23, v40
	v_addc_co_u32_e32 v15, vcc, v137, v41, vcc
	;; [unrolled: 2-line block ×4, first 2 shown]
	s_waitcnt vmcnt(0) lgkmcnt(0)
	ds_write_b16 v94, v138 offset:13312
	ds_write_b16 v95, v139 offset:13312
	;; [unrolled: 1-line block ×4, first 2 shown]
	flat_load_ushort v12, v[12:13]
	s_nop 0
	flat_load_ushort v13, v[14:15]
	s_nop 0
	flat_load_ushort v14, v[16:17]
	flat_load_ushort v15, v[18:19]
.LBB14_291:                             ;   in Loop: Header=BB14_286 Depth=1
	s_or_b64 exec, exec, s[40:41]
	s_waitcnt vmcnt(0) lgkmcnt(0)
	ds_write_b16 v98, v12 offset:13312
	ds_write_b16 v99, v13 offset:13312
	;; [unrolled: 1-line block ×4, first 2 shown]
.LBB14_292:                             ;   in Loop: Header=BB14_286 Depth=1
	s_mul_hi_i32 s41, s38, s90
	s_mul_i32 s40, s38, s90
	s_lshl_b64 s[40:41], s[40:41], 2
	s_add_u32 s39, s9, s40
	s_addc_u32 s40, s45, s41
	v_mov_b32_e32 v12, s40
	v_add_co_u32_e32 v13, vcc, s39, v46
	v_addc_co_u32_e32 v12, vcc, v12, v47, vcc
	v_add_co_u32_e32 v13, vcc, v13, v133
	v_addc_co_u32_e32 v12, vcc, 0, v12, vcc
	;; [unrolled: 2-line block ×3, first 2 shown]
	v_mov_b32_e32 v18, s37
	v_mov_b32_e32 v19, s36
	buffer_store_dword v91, off, s[0:3], 0
	buffer_store_dword v91, off, s[0:3], 0 offset:4
	buffer_store_dword v91, off, s[0:3], 0 offset:8
	;; [unrolled: 1-line block ×3, first 2 shown]
	v_cndmask_b32_e64 v13, v18, v12, s[6:7]
	v_cndmask_b32_e64 v12, v19, v14, s[6:7]
	flat_load_dwordx4 v[12:15], v[12:13]
	v_mov_b32_e32 v16, s40
	v_add_co_u32_e32 v17, vcc, s39, v48
	v_addc_co_u32_e32 v16, vcc, v16, v49, vcc
	v_add_co_u32_e32 v17, vcc, v17, v25
	v_addc_co_u32_e32 v23, vcc, 0, v16, vcc
	v_cndmask_b32_e64 v16, v19, v17, s[30:31]
	v_cndmask_b32_e64 v17, v18, v23, s[30:31]
	s_waitcnt vmcnt(0) lgkmcnt(0)
	ds_write_b128 v104, v[12:15]
	flat_load_dwordx4 v[12:15], v[16:17]
	v_mov_b32_e32 v16, s40
	v_add_co_u32_e32 v17, vcc, s39, v50
	v_addc_co_u32_e32 v16, vcc, v16, v51, vcc
	v_add_co_u32_e32 v17, vcc, v17, v25
	v_addc_co_u32_e32 v23, vcc, 0, v16, vcc
	v_cndmask_b32_e64 v16, v19, v17, s[10:11]
	v_cndmask_b32_e64 v17, v18, v23, s[10:11]
	v_add_u32_e32 v23, 0x1800, v134
	s_and_b64 vcc, exec, s[28:29]
	s_waitcnt vmcnt(0) lgkmcnt(0)
	ds_write_b128 v105, v[12:15]
	flat_load_dwordx4 v[12:15], v[16:17]
	s_waitcnt vmcnt(0) lgkmcnt(0)
	ds_write_b128 v106, v[12:15]
	s_waitcnt lgkmcnt(0)
	s_barrier
	ds_read2_b64 v[12:15], v134 offset1:4
	ds_read2_b64 v[138:141], v23 offset0:64 offset1:68
	s_waitcnt lgkmcnt(1)
	v_mfma_f32_16x16x16f16 v[16:19], v[12:13], v[8:9], 0
	s_waitcnt lgkmcnt(0)
	v_mfma_f32_16x16x16f16 v[142:145], v[138:139], v[8:9], 0
	v_mfma_f32_16x16x16f16 v[12:15], v[14:15], v[10:11], v[16:19]
	;; [unrolled: 1-line block ×3, first 2 shown]
	ds_read2_b64 v[138:141], v134 offset0:8 offset1:12
	s_nop 7
	ds_read2_b64 v[142:145], v23 offset0:72 offset1:76
	s_waitcnt lgkmcnt(1)
	v_mfma_f32_16x16x16f16 v[12:15], v[138:139], v[4:5], v[12:15]
	s_waitcnt lgkmcnt(0)
	v_mfma_f32_16x16x16f16 v[16:19], v[142:143], v[4:5], v[16:19]
	v_mfma_f32_16x16x16f16 v[12:15], v[140:141], v[6:7], v[12:15]
	ds_read2_b64 v[138:141], v134 offset0:16 offset1:20
	v_mfma_f32_16x16x16f16 v[16:19], v[144:145], v[6:7], v[16:19]
	ds_read2_b64 v[142:145], v23 offset0:80 offset1:84
	s_waitcnt lgkmcnt(0)
	s_barrier
	v_mfma_f32_16x16x16f16 v[12:15], v[138:139], v[0:1], v[12:15]
	v_mfma_f32_16x16x16f16 v[146:149], v[142:143], v[0:1], v[16:19]
	v_mfma_f32_16x16x16f16 v[16:19], v[140:141], v[2:3], v[12:15]
	v_mfma_f32_16x16x16f16 v[12:15], v[144:145], v[2:3], v[146:149]
	s_cbranch_vccnz .LBB14_294
; %bb.293:                              ;   in Loop: Header=BB14_286 Depth=1
	ds_read2_b32 v[138:139], v135 offset1:1
	ds_read_b32 v137, v107 offset:13312
	ds_read_b32 v142, v108 offset:13312
	v_mov_b32_e32 v23, v22
	s_waitcnt lgkmcnt(2)
	v_cvt_f32_f16_e32 v140, v138
	v_cvt_f32_f16_sdwa v141, v138 dst_sel:DWORD dst_unused:UNUSED_PAD src0_sel:WORD_1
	v_cvt_f32_f16_e32 v138, v139
	v_cvt_f32_f16_sdwa v139, v139 dst_sel:DWORD dst_unused:UNUSED_PAD src0_sel:WORD_1
	s_waitcnt lgkmcnt(1)
	v_cvt_f32_f16_sdwa v143, v137 dst_sel:DWORD dst_unused:UNUSED_PAD src0_sel:WORD_1
	s_waitcnt lgkmcnt(0)
	v_cvt_f32_f16_sdwa v145, v142 dst_sel:DWORD dst_unused:UNUSED_PAD src0_sel:WORD_1
	v_cvt_f32_f16_e32 v144, v142
	v_cvt_f32_f16_e32 v142, v137
	v_pk_fma_f32 v[18:19], v[22:23], v[138:139], v[18:19]
	v_pk_fma_f32 v[16:17], v[28:29], v[140:141], v[16:17]
	;; [unrolled: 1-line block ×4, first 2 shown]
.LBB14_294:                             ;   in Loop: Header=BB14_286 Depth=1
	s_mul_hi_i32 s29, s38, s78
	s_mul_i32 s28, s38, s78
	s_lshl_b64 s[28:29], s[28:29], 2
	s_add_u32 s28, s33, s28
	s_addc_u32 s29, s44, s29
	v_mov_b32_e32 v23, s29
	v_add_co_u32_e32 v137, vcc, s28, v52
	v_addc_co_u32_e32 v23, vcc, v23, v53, vcc
	v_add_co_u32_e32 v137, vcc, v137, v133
	v_addc_co_u32_e32 v23, vcc, 0, v23, vcc
	;; [unrolled: 2-line block ×3, first 2 shown]
	v_mov_b32_e32 v142, s37
	v_mov_b32_e32 v143, s36
	buffer_store_dword v91, off, s[0:3], 0
	buffer_store_dword v91, off, s[0:3], 0 offset:4
	buffer_store_dword v91, off, s[0:3], 0 offset:8
	;; [unrolled: 1-line block ×3, first 2 shown]
	v_cndmask_b32_e64 v139, v142, v23, s[6:7]
	v_cndmask_b32_e64 v138, v143, v137, s[6:7]
	flat_load_dwordx4 v[138:141], v[138:139]
	v_add_f32_e32 v23, 0x40051340, v16
	v_max_f32_e32 v137, v78, v78
	v_max_f32_e32 v23, v137, v23
	v_cndmask_b32_e64 v23, v78, v23, s[12:13]
	v_add_f32_e32 v137, 0x40051340, v17
	v_max_f32_e32 v144, v23, v23
	v_max_f32_e32 v137, v144, v137
	v_cndmask_b32_e64 v23, v23, v137, s[14:15]
	;; [unrolled: 4-line block ×8, first 2 shown]
	ds_bpermute_b32 v137, v102, v23
	v_max_f32_e32 v23, v23, v23
	v_cndmask_b32_e64 v18, v18, v18, s[14:15]
	v_cndmask_b32_e64 v19, v19, v19, s[14:15]
	;; [unrolled: 1-line block ×3, first 2 shown]
	s_waitcnt lgkmcnt(0)
	v_max_f32_e32 v137, v137, v137
	v_max_f32_e32 v23, v23, v137
	ds_bpermute_b32 v137, v103, v23
	v_cndmask_b32_e64 v14, v14, v14, s[20:21]
	v_cndmask_b32_e64 v15, v15, v15, s[20:21]
	s_add_i32 s46, s46, 1
	s_add_i32 s38, s38, 64
	s_waitcnt lgkmcnt(0)
	v_max_f32_e32 v137, v137, v137
	v_max_f32_e32 v23, v23, v137
	v_sub_f32_e32 v16, v16, v23
	v_mul_f32_e32 v137, 0x3fb8aa3b, v16
	v_fma_f32 v144, v16, s49, -v137
	v_rndne_f32_e32 v145, v137
	v_fmac_f32_e32 v144, 0x32a5705f, v16
	v_sub_f32_e32 v137, v137, v145
	v_add_f32_e32 v137, v137, v144
	v_exp_f32_e32 v137, v137
	v_cvt_i32_f32_e32 v144, v145
	v_cmp_ngt_f32_e32 vcc, s50, v16
	v_sub_f32_e32 v17, v17, v23
	v_sub_f32_e32 v18, v18, v23
	v_ldexp_f32 v137, v137, v144
	v_cndmask_b32_e32 v137, 0, v137, vcc
	v_cmp_nlt_f32_e32 vcc, s51, v16
	v_cndmask_b32_e32 v16, v21, v137, vcc
	v_mul_f32_e32 v137, 0x3fb8aa3b, v17
	v_fma_f32 v144, v17, s49, -v137
	v_rndne_f32_e32 v145, v137
	v_fmac_f32_e32 v144, 0x32a5705f, v17
	v_sub_f32_e32 v137, v137, v145
	v_add_f32_e32 v137, v137, v144
	v_exp_f32_e32 v137, v137
	v_cvt_i32_f32_e32 v144, v145
	v_mul_f32_e32 v145, 0x3fb8aa3b, v18
	v_fma_f32 v146, v18, s49, -v145
	v_rndne_f32_e32 v147, v145
	v_fmac_f32_e32 v146, 0x32a5705f, v18
	v_sub_f32_e32 v145, v145, v147
	v_add_f32_e32 v145, v145, v146
	v_ldexp_f32 v137, v137, v144
	v_exp_f32_e32 v145, v145
	v_cvt_i32_f32_e32 v146, v147
	s_waitcnt vmcnt(0)
	ds_write_b128 v104, v[138:141]
	v_mov_b32_e32 v138, s29
	v_add_co_u32_e32 v139, vcc, s28, v54
	v_addc_co_u32_e32 v138, vcc, v138, v55, vcc
	v_add_co_u32_e32 v140, vcc, v139, v25
	v_addc_co_u32_e32 v138, vcc, 0, v138, vcc
	v_cndmask_b32_e64 v139, v142, v138, s[30:31]
	v_cndmask_b32_e64 v138, v143, v140, s[30:31]
	flat_load_dwordx4 v[138:141], v[138:139]
	v_cmp_ngt_f32_e32 vcc, s50, v17
	v_cndmask_b32_e32 v137, 0, v137, vcc
	v_cmp_nlt_f32_e32 vcc, s51, v17
	v_cndmask_b32_e64 v16, 0, v16, s[12:13]
	v_cndmask_b32_e32 v137, v21, v137, vcc
	v_add_f32_e32 v144, v137, v16
	v_mov_b32_e32 v17, s47
	v_cndmask_b32_e64 v137, v17, v137, s[14:15]
	v_cndmask_b32_e64 v17, v16, v144, s[14:15]
	v_ldexp_f32 v144, v145, v146
	v_cmp_ngt_f32_e32 vcc, s50, v18
	v_sub_f32_e32 v19, v19, v23
	v_cndmask_b32_e32 v144, 0, v144, vcc
	v_cmp_nlt_f32_e32 vcc, s51, v18
	v_mul_f32_e32 v18, 0x3fb8aa3b, v19
	v_fma_f32 v146, v19, s49, -v18
	v_rndne_f32_e32 v147, v18
	v_fmac_f32_e32 v146, 0x32a5705f, v19
	v_sub_f32_e32 v18, v18, v147
	v_add_f32_e32 v18, v18, v146
	v_exp_f32_e32 v146, v18
	v_cvt_i32_f32_e32 v147, v147
	v_cndmask_b32_e32 v144, v21, v144, vcc
	v_add_f32_e32 v145, v17, v144
	v_mov_b32_e32 v18, s47
	v_cndmask_b32_e64 v18, v18, v144, s[16:17]
	v_cndmask_b32_e64 v144, v17, v145, s[16:17]
	v_ldexp_f32 v17, v146, v147
	v_cmp_ngt_f32_e32 vcc, s50, v19
	v_cndmask_b32_e32 v17, 0, v17, vcc
	v_cmp_nlt_f32_e32 vcc, s51, v19
	v_sub_f32_e32 v12, v12, v23
	v_cndmask_b32_e32 v19, v21, v17, vcc
	v_mul_f32_e32 v17, 0x3fb8aa3b, v12
	v_fma_f32 v146, v12, s49, -v17
	v_rndne_f32_e32 v147, v17
	v_fmac_f32_e32 v146, 0x32a5705f, v12
	v_sub_f32_e32 v17, v17, v147
	v_add_f32_e32 v17, v17, v146
	v_exp_f32_e32 v146, v17
	v_cvt_i32_f32_e32 v147, v147
	v_add_f32_e32 v145, v144, v19
	v_mov_b32_e32 v17, s47
	v_cndmask_b32_e64 v17, v17, v19, s[18:19]
	v_cndmask_b32_e64 v19, v144, v145, s[18:19]
	v_ldexp_f32 v144, v146, v147
	v_cmp_ngt_f32_e32 vcc, s50, v12
	v_cndmask_b32_e32 v144, 0, v144, vcc
	v_cmp_nlt_f32_e32 vcc, s51, v12
	v_cndmask_b32_e32 v144, v21, v144, vcc
	v_add_f32_e32 v145, v144, v19
	v_mov_b32_e32 v12, s47
	v_cndmask_b32_e64 v19, v19, v145, s[20:21]
	v_sub_f32_e32 v145, v13, v23
	v_cndmask_b32_e64 v144, v12, v144, s[20:21]
	v_mul_f32_e32 v12, 0x3fb8aa3b, v145
	v_fma_f32 v13, v145, s49, -v12
	v_rndne_f32_e32 v146, v12
	v_fmac_f32_e32 v13, 0x32a5705f, v145
	v_sub_f32_e32 v12, v12, v146
	v_add_f32_e32 v12, v12, v13
	v_exp_f32_e32 v147, v12
	v_mov_b32_e32 v12, s29
	v_add_co_u32_e32 v13, vcc, s28, v56
	v_addc_co_u32_e32 v12, vcc, v12, v57, vcc
	v_cvt_i32_f32_e32 v146, v146
	v_sub_f32_e32 v14, v14, v23
	v_sub_f32_e32 v15, v15, v23
	s_waitcnt vmcnt(0) lgkmcnt(0)
	ds_write_b128 v105, v[138:141]
	v_add_co_u32_e32 v138, vcc, v13, v25
	v_addc_co_u32_e32 v12, vcc, 0, v12, vcc
	v_cndmask_b32_e64 v13, v142, v12, s[10:11]
	v_cndmask_b32_e64 v12, v143, v138, s[10:11]
	flat_load_dwordx4 v[138:141], v[12:13]
	v_ldexp_f32 v12, v147, v146
	v_cmp_ngt_f32_e32 vcc, s50, v145
	v_mul_f32_e32 v13, 0x3fb8aa3b, v14
	v_cndmask_b32_e32 v12, 0, v12, vcc
	v_cmp_nlt_f32_e32 vcc, s51, v145
	v_fma_f32 v143, v14, s49, -v13
	v_rndne_f32_e32 v145, v13
	v_fmac_f32_e32 v143, 0x32a5705f, v14
	v_sub_f32_e32 v13, v13, v145
	v_add_f32_e32 v13, v13, v143
	v_exp_f32_e32 v143, v13
	v_cvt_i32_f32_e32 v145, v145
	v_cndmask_b32_e32 v12, v21, v12, vcc
	v_mov_b32_e32 v13, s47
	v_add_f32_e32 v142, v12, v19
	v_cndmask_b32_e64 v146, v13, v12, s[22:23]
	v_ldexp_f32 v12, v143, v145
	v_cmp_ngt_f32_e32 vcc, s50, v14
	v_cndmask_b32_e32 v12, 0, v12, vcc
	v_cmp_nlt_f32_e32 vcc, s51, v14
	v_cndmask_b32_e32 v14, v21, v12, vcc
	v_mul_f32_e32 v12, 0x3fb8aa3b, v15
	v_cndmask_b32_e64 v13, v19, v142, s[22:23]
	v_fma_f32 v142, v15, s49, -v12
	v_rndne_f32_e32 v143, v12
	v_fmac_f32_e32 v142, 0x32a5705f, v15
	v_sub_f32_e32 v12, v12, v143
	v_add_f32_e32 v12, v12, v142
	v_exp_f32_e32 v142, v12
	v_cvt_i32_f32_e32 v143, v143
	v_mov_b32_e32 v12, s47
	v_add_f32_e32 v19, v14, v13
	v_cndmask_b32_e64 v145, v12, v14, s[24:25]
	v_sub_f32_e32 v14, v78, v23
	v_cndmask_b32_e64 v12, v13, v19, s[24:25]
	v_mul_f32_e32 v19, 0x3fb8aa3b, v14
	v_ldexp_f32 v13, v142, v143
	v_fma_f32 v78, v14, s49, -v19
	v_rndne_f32_e32 v142, v19
	v_fmac_f32_e32 v78, 0x32a5705f, v14
	v_sub_f32_e32 v19, v19, v142
	v_add_f32_e32 v19, v19, v78
	v_exp_f32_e32 v19, v19
	v_cvt_i32_f32_e32 v78, v142
	v_cmp_ngt_f32_e32 vcc, s50, v15
	v_cndmask_b32_e32 v13, 0, v13, vcc
	v_cmp_nlt_f32_e32 vcc, s51, v15
	v_cndmask_b32_e32 v15, v21, v13, vcc
	v_ldexp_f32 v19, v19, v78
	v_cmp_ngt_f32_e32 vcc, s50, v14
	v_cndmask_b32_e32 v19, 0, v19, vcc
	v_cmp_nlt_f32_e32 vcc, s51, v14
	v_cndmask_b32_e32 v19, v21, v19, vcc
	v_cmp_le_f32_e32 vcc, s52, v14
	v_cndmask_b32_e32 v14, 0, v19, vcc
	v_add_f32_e32 v142, v15, v12
	v_cvt_f16_f32_e32 v143, v14
	v_cndmask_b32_e64 v78, v12, v142, s[26:27]
	v_cvt_f16_f32_e32 v12, v16
	v_cvt_f16_f32_e32 v16, v17
	v_mov_b32_e32 v13, s47
	v_cndmask_b32_e64 v147, v13, v15, s[26:27]
	v_fmac_f32_e32 v78, v136, v14
	v_cvt_f16_f32_e32 v13, v137
	v_cvt_f16_f32_e32 v14, v18
	v_pk_mul_f16 v15, v143, v76 op_sel_hi:[0,1]
	v_pk_mul_f16 v76, v143, v77 op_sel_hi:[0,1]
	;; [unrolled: 1-line block ×5, first 2 shown]
	v_cvt_f16_f32_e32 v70, v144
	v_pk_mul_f16 v137, v143, v72 op_sel_hi:[0,1]
	v_pk_mul_f16 v75, v143, v75 op_sel_hi:[0,1]
	v_pack_b32_f16 v12, v12, v13
	v_pack_b32_f16 v13, v14, v16
	v_cvt_f32_f16_e32 v14, v15
	v_cvt_f32_f16_sdwa v15, v15 dst_sel:DWORD dst_unused:UNUSED_PAD src0_sel:WORD_1
	v_cvt_f32_f16_e32 v16, v75
	v_pk_mul_f16 v69, v143, v69 op_sel_hi:[0,1]
	s_waitcnt vmcnt(0) lgkmcnt(0)
	ds_write_b128 v106, v[138:141]
	s_waitcnt lgkmcnt(0)
	s_barrier
	ds_read_u16 v17, v110 offset:208
	ds_read_u16 v18, v110 offset:416
	ds_read_u16 v19, v111
	ds_read_u16 v73, v111 offset:32
	ds_read_u16 v138, v111 offset:64
	;; [unrolled: 1-line block ×6, first 2 shown]
	s_waitcnt lgkmcnt(6)
	v_perm_b32 v19, v19, v18, s53
	ds_read_u16 v18, v109
	ds_read_u16 v149, v109 offset:32
	ds_read_u16 v150, v109 offset:64
	ds_read_u16 v151, v109 offset:96
	ds_read_u16 v152, v109 offset:128
	ds_read_u16 v72, v109 offset:6656
	ds_read_u16 v153, v109 offset:160
	v_cvt_f16_f32_e32 v141, v145
	s_waitcnt lgkmcnt(6)
	v_perm_b32 v18, v17, v18, s53
	v_cvt_f32_f16_sdwa v17, v75 dst_sel:DWORD dst_unused:UNUSED_PAD src0_sel:WORD_1
	v_cvt_f16_f32_e32 v75, v146
	v_cvt_f16_f32_e32 v145, v147
	v_mfma_f32_16x16x16f16 v[14:17], v[18:19], v[12:13], v[14:17]
	ds_read_u16 v18, v112 offset:208
	ds_read_u16 v19, v112 offset:416
	;; [unrolled: 1-line block ×8, first 2 shown]
	s_waitcnt lgkmcnt(6)
	v_perm_b32 v19, v71, v19, s53
	v_perm_b32 v18, v18, v72, s53
	v_pack_b32_f16 v140, v70, v75
	v_pack_b32_f16 v141, v141, v145
	v_cvt_f32_f16_e32 v70, v76
	v_cvt_f32_f16_sdwa v71, v76 dst_sel:DWORD dst_unused:UNUSED_PAD src0_sel:WORD_1
	v_cvt_f16_f32_e32 v14, v14
	v_cvt_f16_f32_e32 v15, v15
	;; [unrolled: 1-line block ×4, first 2 shown]
	v_cvt_f32_f16_e32 v14, v14
	v_cvt_f32_f16_e32 v15, v15
	;; [unrolled: 1-line block ×5, first 2 shown]
	v_pk_mul_f16 v74, v143, v74 op_sel_hi:[0,1]
	v_mfma_f32_16x16x16f16 v[14:17], v[18:19], v[140:141], v[14:17]
	s_waitcnt lgkmcnt(4)
	v_perm_b32 v19, v73, v147, s53
	v_perm_b32 v18, v146, v149, s53
	v_cvt_f32_f16_sdwa v73, v69 dst_sel:DWORD dst_unused:UNUSED_PAD src0_sel:WORD_1
	v_pk_mul_f16 v67, v143, v67 op_sel_hi:[0,1]
	v_pk_mul_f16 v66, v143, v66 op_sel_hi:[0,1]
	;; [unrolled: 1-line block ×3, first 2 shown]
	v_cmp_lt_i32_e32 vcc, s46, v90
	v_mfma_f32_16x16x16f16 v[70:73], v[18:19], v[12:13], v[70:73]
	s_nop 1
	v_cvt_f16_f32_e32 v69, v14
	v_cvt_f16_f32_e32 v75, v15
	;; [unrolled: 1-line block ×4, first 2 shown]
	s_and_b64 vcc, exec, vcc
	v_pack_b32_f16 v76, v69, v75
	s_nop 2
	v_cvt_f16_f32_e32 v18, v71
	v_cvt_f16_f32_e32 v19, v72
	;; [unrolled: 1-line block ×4, first 2 shown]
	v_cvt_f32_f16_e32 v71, v18
	v_cvt_f32_f16_e32 v72, v19
	s_waitcnt lgkmcnt(0)
	v_perm_b32 v19, v157, v156, s53
	v_perm_b32 v18, v155, v154, s53
	v_cvt_f32_f16_e32 v70, v14
	v_cvt_f32_f16_e32 v73, v73
	v_pack_b32_f16 v75, v143, v145
	s_nop 0
	v_mfma_f32_16x16x16f16 v[14:17], v[18:19], v[140:141], v[70:73]
	s_nop 6
	v_cvt_f32_f16_e32 v70, v77
	v_cvt_f32_f16_sdwa v71, v77 dst_sel:DWORD dst_unused:UNUSED_PAD src0_sel:WORD_1
	ds_read_u16 v18, v117 offset:208
	ds_read_u16 v19, v117 offset:416
	;; [unrolled: 1-line block ×8, first 2 shown]
	s_waitcnt lgkmcnt(6)
	v_perm_b32 v19, v138, v19, s53
	v_perm_b32 v18, v18, v150, s53
	v_cvt_f32_f16_e32 v72, v136
	v_cvt_f32_f16_sdwa v73, v136 dst_sel:DWORD dst_unused:UNUSED_PAD src0_sel:WORD_1
	v_cvt_f16_f32_e32 v69, v14
	v_cvt_f16_f32_e32 v136, v16
	v_mfma_f32_16x16x16f16 v[70:73], v[18:19], v[12:13], v[70:73]
	v_cvt_f16_f32_e32 v138, v17
	s_nop 7
	s_nop 1
	v_cvt_f16_f32_e32 v18, v71
	v_cvt_f16_f32_e32 v19, v72
	;; [unrolled: 1-line block ×4, first 2 shown]
	v_cvt_f32_f16_e32 v71, v18
	v_cvt_f32_f16_e32 v72, v19
	s_waitcnt lgkmcnt(2)
	v_perm_b32 v19, v149, v147, s53
	v_perm_b32 v18, v146, v77, s53
	v_cvt_f32_f16_e32 v70, v14
	v_cvt_f32_f16_e32 v73, v73
	v_cvt_f16_f32_e32 v77, v15
	v_pack_b32_f16 v77, v69, v77
	v_mfma_f32_16x16x16f16 v[14:17], v[18:19], v[140:141], v[70:73]
	s_waitcnt lgkmcnt(0)
	v_perm_b32 v19, v139, v155, s53
	v_perm_b32 v18, v154, v151, s53
	v_pack_b32_f16 v69, v136, v138
	v_cvt_f32_f16_e32 v138, v67
	s_nop 1
	v_cvt_f32_f16_e32 v70, v74
	v_cvt_f32_f16_sdwa v71, v74 dst_sel:DWORD dst_unused:UNUSED_PAD src0_sel:WORD_1
	v_cvt_f32_f16_e32 v72, v137
	v_cvt_f32_f16_sdwa v73, v137 dst_sel:DWORD dst_unused:UNUSED_PAD src0_sel:WORD_1
	v_cvt_f16_f32_e32 v74, v14
	v_cvt_f16_f32_e32 v147, v15
	v_mfma_f32_16x16x16f16 v[70:73], v[18:19], v[12:13], v[70:73]
	v_cvt_f16_f32_e32 v149, v16
	v_cvt_f16_f32_e32 v150, v17
	v_cvt_f32_f16_sdwa v137, v142 dst_sel:DWORD dst_unused:UNUSED_PAD src0_sel:WORD_1
	s_nop 7
	v_cvt_f16_f32_e32 v14, v70
	v_cvt_f16_f32_e32 v18, v71
	;; [unrolled: 1-line block ×4, first 2 shown]
	v_cvt_f32_f16_e32 v70, v14
	v_cvt_f32_f16_e32 v71, v18
	;; [unrolled: 1-line block ×3, first 2 shown]
	ds_read_u16 v14, v122 offset:6656
	ds_read_u16 v18, v123 offset:208
	;; [unrolled: 1-line block ×8, first 2 shown]
	s_waitcnt lgkmcnt(4)
	v_perm_b32 v19, v136, v19, s53
	v_perm_b32 v18, v18, v14, s53
	v_cvt_f32_f16_e32 v73, v73
	v_cvt_f32_f16_e32 v136, v142
	s_nop 0
	v_mfma_f32_16x16x16f16 v[14:17], v[18:19], v[140:141], v[70:73]
	s_waitcnt lgkmcnt(2)
	v_perm_b32 v19, v144, v143, s53
	v_perm_b32 v18, v139, v152, s53
	v_cvt_f32_f16_sdwa v139, v67 dst_sel:DWORD dst_unused:UNUSED_PAD src0_sel:WORD_1
	s_nop 2
	v_pack_b32_f16 v71, v74, v147
	v_mfma_f32_16x16x16f16 v[136:139], v[18:19], v[12:13], v[136:139]
	s_nop 1
	v_cvt_f16_f32_e32 v67, v14
	v_pack_b32_f16 v70, v149, v150
	s_nop 6
	v_cvt_f16_f32_e32 v14, v136
	v_cvt_f16_f32_e32 v18, v137
	v_cvt_f16_f32_e32 v19, v138
	v_cvt_f16_f32_e32 v72, v139
	v_cvt_f32_f16_e32 v136, v14
	v_cvt_f32_f16_e32 v137, v18
	ds_read_u16 v14, v127 offset:416
	ds_read_u16 v18, v128 offset:6656
	;; [unrolled: 1-line block ×8, first 2 shown]
	v_cvt_f32_f16_e32 v138, v19
	s_waitcnt lgkmcnt(6)
	v_perm_b32 v19, v18, v14, s53
	v_perm_b32 v18, v146, v145, s53
	v_cvt_f32_f16_e32 v139, v72
	v_cvt_f16_f32_e32 v72, v15
	v_cvt_f16_f32_e32 v145, v16
	;; [unrolled: 1-line block ×3, first 2 shown]
	v_mfma_f32_16x16x16f16 v[14:17], v[18:19], v[140:141], v[136:139]
	s_waitcnt lgkmcnt(4)
	v_perm_b32 v19, v148, v74, s53
	v_perm_b32 v18, v73, v153, s53
	v_pack_b32_f16 v74, v67, v72
	v_pack_b32_f16 v72, v145, v146
	s_waitcnt lgkmcnt(0)
	s_nop 0
	v_cvt_f32_f16_e32 v136, v66
	v_cvt_f32_f16_sdwa v137, v66 dst_sel:DWORD dst_unused:UNUSED_PAD src0_sel:WORD_1
	v_cvt_f32_f16_e32 v138, v64
	v_cvt_f32_f16_sdwa v139, v64 dst_sel:DWORD dst_unused:UNUSED_PAD src0_sel:WORD_1
	v_cvt_f16_f32_e32 v64, v14
	v_cvt_f16_f32_e32 v16, v16
	v_mfma_f32_16x16x16f16 v[136:139], v[18:19], v[12:13], v[136:139]
	v_cvt_f16_f32_e32 v17, v17
	s_barrier
	v_pack_b32_f16 v67, v16, v17
	s_nop 7
	v_cvt_f16_f32_e32 v12, v136
	v_cvt_f16_f32_e32 v13, v137
	;; [unrolled: 1-line block ×4, first 2 shown]
	v_cvt_f32_f16_e32 v136, v12
	v_cvt_f32_f16_e32 v137, v13
	v_perm_b32 v13, v147, v144, s53
	v_perm_b32 v12, v143, v142, s53
	v_cvt_f32_f16_e32 v138, v14
	v_cvt_f32_f16_e32 v139, v18
	v_cvt_f16_f32_e32 v18, v15
	v_pack_b32_f16 v73, v64, v18
	v_mfma_f32_16x16x16f16 v[12:15], v[12:13], v[140:141], v[136:139]
	s_nop 7
	s_nop 2
	v_cvt_f16_f32_e32 v12, v12
	v_cvt_f16_f32_e32 v13, v13
	;; [unrolled: 1-line block ×4, first 2 shown]
	v_pack_b32_f16 v66, v12, v13
	v_pack_b32_f16 v64, v14, v15
	s_cbranch_vccz .LBB14_298
; %bb.295:                              ;   in Loop: Header=BB14_286 Depth=1
	v_mov_b32_e32 v136, v78
	v_mov_b32_e32 v78, v23
	s_branch .LBB14_286
.LBB14_296:
                                        ; implicit-def: $sgpr10_sgpr11
                                        ; kill: killed $sgpr10_sgpr11
	s_load_dwordx2 s[92:93], s[4:5], 0x5c
	s_branch .LBB14_7
.LBB14_297:
	v_mov_b32_e32 v78, 0
	v_mov_b32_e32 v23, 0xfeffffff
	;; [unrolled: 1-line block ×13, first 2 shown]
.LBB14_298:
	s_lshl_b32 s12, s46, 6
	v_readlane_b32 s4, v231, 4
	s_sub_i32 s24, s4, s12
	s_cmp_lg_u64 s[42:43], 0
	s_cselect_b64 s[14:15], -1, 0
	s_ashr_i32 s13, s12, 31
	s_cmp_eq_u64 s[42:43], 0
	v_readlane_b32 s5, v231, 5
	s_cbranch_scc1 .LBB14_316
; %bb.299:
	s_lshl_b64 s[4:5], s[12:13], 1
	s_add_u32 s4, s42, s4
	s_addc_u32 s5, s43, s5
	v_mov_b32_e32 v13, s5
	v_add_co_u32_e64 v12, s[4:5], s4, v89
	v_cmp_gt_i32_e32 vcc, s24, v60
	v_mov_b32_e32 v14, 0
	v_addc_co_u32_e64 v13, s[4:5], 0, v13, s[4:5]
	v_mov_b32_e32 v16, 0
	s_and_saveexec_b64 s[6:7], vcc
	s_cbranch_execz .LBB14_301
; %bb.300:
	v_add_u32_e32 v15, s8, v85
	v_mul_hi_u32 v16, s92, v15
	v_add_u32_e32 v16, v15, v16
	v_lshrrev_b32_e32 v16, s93, v16
	v_mul_lo_u32 v16, v16, s76
	v_sub_u32_e32 v15, v15, v16
	v_mad_i64_i32 v[16:17], s[4:5], v15, s84, 0
	v_lshlrev_b64 v[16:17], 1, v[16:17]
	v_add_co_u32_e64 v16, s[4:5], v12, v16
	v_addc_co_u32_e64 v17, s[4:5], v13, v17, s[4:5]
	flat_load_ushort v16, v[16:17]
.LBB14_301:
	s_or_b64 exec, exec, s[6:7]
	s_movk_i32 s4, 0x90
	v_mad_u32_u24 v15, v85, s4, 0
	v_lshl_add_u32 v17, v60, 1, v15
	s_waitcnt vmcnt(0) lgkmcnt(0)
	ds_write_b16 v17, v16 offset:13312
	s_and_saveexec_b64 s[6:7], vcc
	s_cbranch_execz .LBB14_303
; %bb.302:
	v_add3_u32 v14, v85, s8, 4
	v_mul_hi_u32 v16, s92, v14
	v_add_u32_e32 v16, v14, v16
	v_lshrrev_b32_e32 v16, s93, v16
	v_mul_lo_u32 v16, v16, s76
	v_sub_u32_e32 v14, v14, v16
	v_mad_i64_i32 v[16:17], s[4:5], v14, s84, 0
	v_lshlrev_b64 v[16:17], 1, v[16:17]
	v_add_co_u32_e64 v16, s[4:5], v12, v16
	v_addc_co_u32_e64 v17, s[4:5], v13, v17, s[4:5]
	flat_load_ushort v14, v[16:17]
.LBB14_303:
	s_or_b64 exec, exec, s[6:7]
	v_add_u32_e32 v15, 0x240, v15
	v_lshl_add_u32 v16, v60, 1, v15
	s_waitcnt vmcnt(0) lgkmcnt(0)
	ds_write_b16 v16, v14 offset:13312
	v_mov_b32_e32 v14, 0
	v_mov_b32_e32 v16, 0
	s_and_saveexec_b64 s[6:7], vcc
	s_cbranch_execz .LBB14_305
; %bb.304:
	v_add3_u32 v16, v85, s8, 8
	v_mul_hi_u32 v17, s92, v16
	v_add_u32_e32 v17, v16, v17
	v_lshrrev_b32_e32 v17, s93, v17
	v_mul_lo_u32 v17, v17, s76
	v_sub_u32_e32 v16, v16, v17
	v_mad_i64_i32 v[16:17], s[4:5], v16, s84, 0
	v_lshlrev_b64 v[16:17], 1, v[16:17]
	v_add_co_u32_e64 v16, s[4:5], v12, v16
	v_addc_co_u32_e64 v17, s[4:5], v13, v17, s[4:5]
	flat_load_ushort v16, v[16:17]
.LBB14_305:
	s_or_b64 exec, exec, s[6:7]
	v_add_u32_e32 v15, 0x240, v15
	v_lshl_add_u32 v17, v60, 1, v15
	s_waitcnt vmcnt(0) lgkmcnt(0)
	ds_write_b16 v17, v16 offset:13312
	s_and_saveexec_b64 s[6:7], vcc
	s_cbranch_execz .LBB14_307
; %bb.306:
	v_add3_u32 v14, v85, s8, 12
	v_mul_hi_u32 v16, s92, v14
	v_add_u32_e32 v16, v14, v16
	v_lshrrev_b32_e32 v16, s93, v16
	v_mul_lo_u32 v16, v16, s76
	v_sub_u32_e32 v14, v14, v16
	v_mad_i64_i32 v[16:17], s[4:5], v14, s84, 0
	v_lshlrev_b64 v[16:17], 1, v[16:17]
	v_add_co_u32_e64 v16, s[4:5], v12, v16
	v_addc_co_u32_e64 v17, s[4:5], v13, v17, s[4:5]
	flat_load_ushort v14, v[16:17]
.LBB14_307:
	s_or_b64 exec, exec, s[6:7]
	v_add_u32_e32 v15, 0x240, v15
	v_lshl_add_u32 v16, v60, 1, v15
	s_waitcnt vmcnt(0) lgkmcnt(0)
	ds_write_b16 v16, v14 offset:13312
	v_mov_b32_e32 v14, 0
	v_mov_b32_e32 v16, 0
	s_and_saveexec_b64 s[6:7], vcc
	s_cbranch_execz .LBB14_309
; %bb.308:
	v_add3_u32 v16, v85, s8, 16
	v_mul_hi_u32 v17, s92, v16
	v_add_u32_e32 v17, v16, v17
	v_lshrrev_b32_e32 v17, s93, v17
	v_mul_lo_u32 v17, v17, s76
	v_sub_u32_e32 v16, v16, v17
	v_mad_i64_i32 v[16:17], s[4:5], v16, s84, 0
	v_lshlrev_b64 v[16:17], 1, v[16:17]
	v_add_co_u32_e64 v16, s[4:5], v12, v16
	v_addc_co_u32_e64 v17, s[4:5], v13, v17, s[4:5]
	flat_load_ushort v16, v[16:17]
.LBB14_309:
	s_or_b64 exec, exec, s[6:7]
	v_add_u32_e32 v15, 0x240, v15
	v_lshl_add_u32 v17, v60, 1, v15
	s_waitcnt vmcnt(0) lgkmcnt(0)
	ds_write_b16 v17, v16 offset:13312
	s_and_saveexec_b64 s[6:7], vcc
	s_cbranch_execz .LBB14_311
; %bb.310:
	v_add3_u32 v14, v85, s8, 20
	v_mul_hi_u32 v16, s92, v14
	v_add_u32_e32 v16, v14, v16
	v_lshrrev_b32_e32 v16, s93, v16
	v_mul_lo_u32 v16, v16, s76
	v_sub_u32_e32 v14, v14, v16
	v_mad_i64_i32 v[16:17], s[4:5], v14, s84, 0
	v_lshlrev_b64 v[16:17], 1, v[16:17]
	v_add_co_u32_e64 v16, s[4:5], v12, v16
	v_addc_co_u32_e64 v17, s[4:5], v13, v17, s[4:5]
	flat_load_ushort v14, v[16:17]
.LBB14_311:
	s_or_b64 exec, exec, s[6:7]
	v_add_u32_e32 v15, 0x240, v15
	v_lshl_add_u32 v16, v60, 1, v15
	s_waitcnt vmcnt(0) lgkmcnt(0)
	ds_write_b16 v16, v14 offset:13312
	v_mov_b32_e32 v14, 0
	v_mov_b32_e32 v16, 0
	s_and_saveexec_b64 s[6:7], vcc
	s_cbranch_execz .LBB14_313
; %bb.312:
	v_add3_u32 v16, v85, s8, 24
	v_mul_hi_u32 v17, s92, v16
	v_add_u32_e32 v17, v16, v17
	v_lshrrev_b32_e32 v17, s93, v17
	v_mul_lo_u32 v17, v17, s76
	v_sub_u32_e32 v16, v16, v17
	v_mad_i64_i32 v[16:17], s[4:5], v16, s84, 0
	v_lshlrev_b64 v[16:17], 1, v[16:17]
	v_add_co_u32_e64 v16, s[4:5], v12, v16
	v_addc_co_u32_e64 v17, s[4:5], v13, v17, s[4:5]
	flat_load_ushort v16, v[16:17]
.LBB14_313:
	s_or_b64 exec, exec, s[6:7]
	v_add_u32_e32 v15, 0x240, v15
	v_lshl_add_u32 v15, v60, 1, v15
	s_waitcnt vmcnt(0) lgkmcnt(0)
	ds_write_b16 v15, v16 offset:13312
	s_and_saveexec_b64 s[4:5], vcc
	s_cbranch_execz .LBB14_315
; %bb.314:
	v_add3_u32 v14, v85, s8, 28
	v_mul_hi_u32 v16, s92, v14
	v_add_u32_e32 v16, v14, v16
	v_lshrrev_b32_e32 v16, s93, v16
	v_mul_lo_u32 v16, v16, s76
	v_sub_u32_e32 v14, v14, v16
	v_mad_i64_i32 v[16:17], s[6:7], v14, s84, 0
	v_lshlrev_b64 v[16:17], 1, v[16:17]
	v_add_co_u32_e32 v12, vcc, v12, v16
	v_addc_co_u32_e32 v13, vcc, v13, v17, vcc
	flat_load_ushort v14, v[12:13]
.LBB14_315:
	s_or_b64 exec, exec, s[4:5]
	s_waitcnt vmcnt(0) lgkmcnt(0)
	ds_write_b16 v15, v14 offset:13888
.LBB14_316:
	s_mul_hi_i32 s5, s12, s90
	s_mul_i32 s4, s12, s90
	v_mov_b32_e32 v12, 0
	v_add_u32_e32 v28, v86, v65
	s_lshl_b64 s[4:5], s[4:5], 2
	buffer_store_dword v12, off, s[0:3], 0
	buffer_store_dword v12, off, s[0:3], 0 offset:4
	buffer_store_dword v12, off, s[0:3], 0 offset:8
	;; [unrolled: 1-line block ×3, first 2 shown]
	v_mul_lo_u32 v12, s90, v28
	s_add_u32 s8, s9, s4
	v_ashrrev_i32_e32 v13, 31, v12
	s_addc_u32 s9, s45, s5
	v_lshlrev_b64 v[12:13], 2, v[12:13]
	v_mov_b32_e32 v14, s9
	v_add_co_u32_e32 v12, vcc, s8, v12
	v_addc_co_u32_e32 v13, vcc, v14, v13, vcc
	v_and_b32_e32 v14, 12, v83
	v_lshlrev_b32_e32 v21, 2, v14
	s_mov_b64 s[4:5], src_private_base
	v_add_co_u32_e32 v12, vcc, v12, v21
	s_movk_i32 s4, 0x80
	v_addc_co_u32_e32 v13, vcc, 0, v13, vcc
	v_add_co_u32_e32 v12, vcc, s4, v12
	v_addc_co_u32_e32 v13, vcc, 0, v13, vcc
	v_mov_b32_e32 v17, s5
	v_cmp_gt_i32_e64 s[6:7], s24, v28
	v_mov_b32_e32 v29, 0
	v_cndmask_b32_e64 v13, v17, v13, s[6:7]
	v_cndmask_b32_e64 v12, v29, v12, s[6:7]
	flat_load_dwordx4 v[12:15], v[12:13]
	v_ashrrev_i32_e32 v25, 31, v24
	v_mul_u32_u24_e32 v18, 0xd0, v28
	v_lshlrev_b64 v[30:31], 2, v[24:25]
	v_and_b32_e32 v16, 28, v83
	v_add3_u32 v19, 0, v18, v21
	v_mov_b32_e32 v18, s9
	v_add_co_u32_e32 v25, vcc, s8, v30
	v_lshlrev_b32_e32 v16, 2, v16
	v_addc_co_u32_e32 v18, vcc, v18, v31, vcc
	v_add_co_u32_e32 v25, vcc, v25, v16
	v_addc_co_u32_e32 v18, vcc, 0, v18, vcc
	v_cmp_gt_i32_e64 s[10:11], s24, v82
	v_cndmask_b32_e64 v31, v17, v18, s[10:11]
	v_cndmask_b32_e64 v30, v29, v25, s[10:11]
	v_lshl_add_u32 v24, s90, 5, v24
	v_ashrrev_i32_e32 v25, 31, v24
	v_lshlrev_b64 v[24:25], 2, v[24:25]
	v_add_co_u32_e32 v24, vcc, s8, v24
	v_mul_u32_u24_e32 v18, 0xd0, v82
	v_add3_u32 v18, 0, v18, v16
	s_waitcnt vmcnt(0) lgkmcnt(0)
	ds_write_b128 v19, v[12:15] offset:128
	flat_load_dwordx4 v[12:15], v[30:31]
	v_mov_b32_e32 v31, s9
	v_addc_co_u32_e32 v25, vcc, v31, v25, vcc
	v_add_u32_e32 v30, 32, v82
	v_add_co_u32_e32 v24, vcc, v24, v16
	v_addc_co_u32_e32 v25, vcc, 0, v25, vcc
	v_cmp_gt_i32_e64 s[4:5], s24, v30
	v_cndmask_b32_e64 v25, v17, v25, s[4:5]
	v_cndmask_b32_e64 v24, v29, v24, s[4:5]
	v_add_u32_e32 v17, 0, v80
	s_and_b64 vcc, exec, s[14:15]
	s_waitcnt vmcnt(0) lgkmcnt(0)
	ds_write_b128 v18, v[12:15]
	flat_load_dwordx4 v[12:15], v[24:25]
	v_and_b32_e32 v24, 16, v86
	v_mul_u32_u24_e32 v25, 0xd0, v24
	v_add3_u32 v17, v17, v81, v25
	v_add_u32_e32 v25, 0x1800, v17
	s_waitcnt vmcnt(0) lgkmcnt(0)
	ds_write_b128 v18, v[12:15] offset:6656
	s_waitcnt lgkmcnt(0)
	s_barrier
	ds_read2_b64 v[12:15], v17 offset1:4
	ds_read2_b64 v[34:37], v25 offset0:64 offset1:68
	s_waitcnt lgkmcnt(1)
	v_mfma_f32_16x16x16f16 v[30:33], v[12:13], v[8:9], 0
	s_waitcnt lgkmcnt(0)
	v_mfma_f32_16x16x16f16 v[38:41], v[34:35], v[8:9], 0
	v_mfma_f32_16x16x16f16 v[12:15], v[14:15], v[10:11], v[30:33]
	;; [unrolled: 1-line block ×3, first 2 shown]
	s_nop 6
	ds_read2_b64 v[30:33], v17 offset0:8 offset1:12
	ds_read2_b64 v[34:37], v25 offset0:72 offset1:76
	s_waitcnt lgkmcnt(1)
	v_mfma_f32_16x16x16f16 v[12:15], v[30:31], v[4:5], v[12:15]
	s_waitcnt lgkmcnt(0)
	v_mfma_f32_16x16x16f16 v[8:11], v[34:35], v[4:5], v[8:11]
	v_mfma_f32_16x16x16f16 v[12:15], v[32:33], v[6:7], v[12:15]
	ds_read2_b64 v[30:33], v25 offset0:80 offset1:84
	v_mfma_f32_16x16x16f16 v[4:7], v[36:37], v[6:7], v[8:11]
	s_nop 7
	ds_read2_b64 v[8:11], v17 offset0:16 offset1:20
	s_waitcnt lgkmcnt(0)
	v_mfma_f32_16x16x16f16 v[12:15], v[8:9], v[0:1], v[12:15]
	v_and_b32_e32 v17, 0xfc, v65
	v_add_u32_e32 v24, v24, v17
	s_barrier
	v_mfma_f32_16x16x16f16 v[4:7], v[30:31], v[0:1], v[4:7]
	v_add_u32_e32 v30, 32, v24
	v_add_u32_e32 v31, 34, v24
	v_mfma_f32_16x16x16f16 v[8:11], v[10:11], v[2:3], v[12:15]
	v_mfma_f32_16x16x16f16 v[12:15], v[32:33], v[2:3], v[4:7]
	s_cbranch_vccz .LBB14_332
; %bb.317:
	s_movk_i32 s8, 0x90
	v_mad_u32_u24 v2, v79, s8, 0
	v_lshlrev_b32_e32 v0, 1, v24
	s_movk_i32 s8, 0x3400
	v_add_u32_e32 v29, 32, v24
	v_add3_u32 v0, v2, v0, s8
	v_lshl_add_u32 v3, v29, 1, v2
	v_add_u32_e32 v25, 34, v24
	ds_read2_b32 v[0:1], v0 offset1:1
	v_lshl_add_u32 v2, v25, 1, v2
	ds_read_b32 v4, v3 offset:13312
	ds_read_b32 v5, v2 offset:13312
	s_waitcnt lgkmcnt(2)
	v_cvt_f32_f16_e32 v2, v0
	v_cvt_f32_f16_sdwa v3, v0 dst_sel:DWORD dst_unused:UNUSED_PAD src0_sel:WORD_1
	v_cvt_f32_f16_e32 v0, v1
	v_cvt_f32_f16_sdwa v1, v1 dst_sel:DWORD dst_unused:UNUSED_PAD src0_sel:WORD_1
	s_waitcnt lgkmcnt(1)
	v_cvt_f32_f16_e32 v32, v4
	s_waitcnt lgkmcnt(0)
	v_cvt_f32_f16_e32 v34, v5
	v_cvt_f32_f16_sdwa v35, v5 dst_sel:DWORD dst_unused:UNUSED_PAD src0_sel:WORD_1
	v_cvt_f32_f16_sdwa v33, v4 dst_sel:DWORD dst_unused:UNUSED_PAD src0_sel:WORD_1
	v_pk_fma_f32 v[6:7], v[22:23], v[0:1], v[10:11] op_sel_hi:[0,1,1]
	v_pk_fma_f32 v[4:5], v[22:23], v[2:3], v[8:9] op_sel_hi:[0,1,1]
	;; [unrolled: 1-line block ×4, first 2 shown]
	v_add_u32_e32 v22, 0x80, v19
	v_add_u32_e32 v19, 0x1a00, v18
	s_cbranch_execnz .LBB14_319
.LBB14_318:
	s_nop 6
	v_pk_mov_b32 v[0:1], v[12:13], v[12:13] op_sel:[0,1]
	v_pk_mov_b32 v[4:5], v[8:9], v[8:9] op_sel:[0,1]
	v_mov_b32_e32 v25, v31
	v_mov_b32_e32 v29, v30
	v_pk_mov_b32 v[2:3], v[14:15], v[14:15] op_sel:[0,1]
	v_pk_mov_b32 v[6:7], v[10:11], v[10:11] op_sel:[0,1]
.LBB14_319:
	v_add_f32_e32 v8, 0x40051340, v4
	v_max_f32_e32 v9, v23, v23
	v_max_f32_e32 v8, v9, v8
	v_cmp_gt_u32_e64 s[20:21], s24, v24
	v_cndmask_b32_e64 v12, v23, v8, s[20:21]
	v_add_f32_e32 v8, 0x40051340, v5
	v_max_f32_e32 v9, v12, v12
	s_mul_hi_i32 s9, s12, s78
	s_mul_i32 s8, s12, s78
	v_max_f32_e32 v14, v9, v8
	s_lshl_b64 s[8:9], s[8:9], 2
	v_mul_lo_u32 v8, s78, v28
	s_add_u32 s8, s33, s8
	v_ashrrev_i32_e32 v9, 31, v8
	s_addc_u32 s9, s44, s9
	v_mov_b32_e32 v10, 0
	v_lshlrev_b64 v[8:9], 2, v[8:9]
	buffer_store_dword v10, off, s[0:3], 0
	buffer_store_dword v10, off, s[0:3], 0 offset:4
	buffer_store_dword v10, off, s[0:3], 0 offset:8
	buffer_store_dword v10, off, s[0:3], 0 offset:12
	v_mov_b32_e32 v10, s9
	v_add_co_u32_e32 v8, vcc, s8, v8
	v_addc_co_u32_e32 v9, vcc, v10, v9, vcc
	s_mov_b64 s[12:13], src_private_base
	v_add_co_u32_e32 v8, vcc, v8, v21
	v_addc_co_u32_e32 v9, vcc, 0, v9, vcc
	s_movk_i32 s12, 0x80
	v_add_co_u32_e32 v8, vcc, s12, v8
	v_addc_co_u32_e32 v9, vcc, 0, v9, vcc
	v_mov_b32_e32 v15, s13
	v_mov_b32_e32 v30, 0
	v_cndmask_b32_e64 v9, v15, v9, s[6:7]
	v_cndmask_b32_e64 v8, v30, v8, s[6:7]
	flat_load_dwordx4 v[8:11], v[8:9]
	v_or_b32_e32 v13, 1, v24
	v_cmp_gt_u32_e64 s[18:19], s24, v13
	v_cndmask_b32_e64 v12, v12, v14, s[18:19]
	v_or_b32_e32 v13, 2, v24
	v_add_f32_e32 v14, 0x40051340, v6
	v_max_f32_e32 v21, v12, v12
	v_max_f32_e32 v14, v21, v14
	v_cmp_gt_u32_e64 s[16:17], s24, v13
	v_cndmask_b32_e64 v12, v12, v14, s[16:17]
	v_or_b32_e32 v13, 3, v24
	v_add_f32_e32 v14, 0x40051340, v7
	v_max_f32_e32 v21, v12, v12
	v_max_f32_e32 v14, v21, v14
	v_cmp_gt_u32_e64 s[14:15], s24, v13
	v_cndmask_b32_e64 v12, v12, v14, s[14:15]
	v_add_f32_e32 v13, 0x40051340, v0
	v_max_f32_e32 v14, v12, v12
	v_max_f32_e32 v13, v14, v13
	v_cmp_gt_u32_e64 s[12:13], s24, v29
	v_cndmask_b32_e64 v12, v12, v13, s[12:13]
	v_add_u32_e32 v13, 33, v24
	v_add_f32_e32 v14, 0x40051340, v1
	v_max_f32_e32 v21, v12, v12
	v_max_f32_e32 v14, v21, v14
	v_cmp_gt_u32_e64 s[22:23], s24, v13
	v_cndmask_b32_e64 v12, v12, v14, s[22:23]
	v_add_f32_e32 v13, 0x40051340, v2
	v_max_f32_e32 v14, v12, v12
	v_max_f32_e32 v13, v14, v13
	v_cmp_gt_u32_e64 s[6:7], s24, v25
	v_cndmask_b32_e64 v12, v12, v13, s[6:7]
	v_add_u32_e32 v13, 35, v24
	v_add_f32_e32 v14, 0x40051340, v3
	v_max_f32_e32 v21, v12, v12
	v_max_f32_e32 v14, v21, v14
	v_cmp_gt_u32_e32 vcc, s24, v13
	v_mbcnt_hi_u32_b32 v13, -1, v68
	v_cndmask_b32_e32 v12, v12, v14, vcc
	v_and_b32_e32 v14, 64, v13
	v_add_u32_e32 v14, 64, v14
	v_xor_b32_e32 v21, 32, v13
	v_cmp_lt_i32_e64 s[24:25], v21, v14
	v_cndmask_b32_e64 v21, v13, v21, s[24:25]
	v_lshlrev_b32_e32 v24, 2, v21
	ds_bpermute_b32 v21, v24, v12
	v_max_f32_e32 v12, v12, v12
	s_mov_b32 s26, 0x3fb8aa3b
	s_mov_b32 s28, 0xc2ce8ed0
	;; [unrolled: 1-line block ×3, first 2 shown]
	s_waitcnt lgkmcnt(0)
	v_max_f32_e32 v21, v21, v21
	v_max_f32_e32 v12, v12, v21
	v_xor_b32_e32 v21, 16, v13
	v_cmp_lt_i32_e64 s[24:25], v21, v14
	v_cndmask_b32_e64 v13, v13, v21, s[24:25]
	v_lshlrev_b32_e32 v29, 2, v13
	ds_bpermute_b32 v13, v29, v12
	v_ashrrev_i32_e32 v21, 31, v20
	v_cndmask_b32_e64 v7, v7, v7, s[18:19]
	v_cndmask_b32_e64 v1, v1, v1, s[12:13]
	v_cndmask_b32_e64 v2, v2, v2, s[12:13]
	s_waitcnt lgkmcnt(0)
	v_max_f32_e32 v13, v13, v13
	v_max_f32_e32 v28, v12, v13
	v_sub_f32_e32 v4, v4, v28
	v_mul_f32_e32 v12, 0x3fb8aa3b, v4
	v_fma_f32 v13, v4, s26, -v12
	v_rndne_f32_e32 v14, v12
	v_fmac_f32_e32 v13, 0x32a5705f, v4
	v_sub_f32_e32 v12, v12, v14
	v_add_f32_e32 v12, v12, v13
	v_exp_f32_e32 v12, v12
	v_cvt_i32_f32_e32 v13, v14
	v_cmp_ngt_f32_e64 s[24:25], s28, v4
	v_sub_f32_e32 v5, v5, v28
	v_mul_f32_e32 v14, 0x3fb8aa3b, v5
	v_ldexp_f32 v12, v12, v13
	v_cndmask_b32_e64 v12, 0, v12, s[24:25]
	v_mov_b32_e32 v13, 0x7f800000
	v_sub_f32_e32 v7, v7, v28
	v_sub_f32_e32 v0, v0, v28
	s_waitcnt vmcnt(0)
	ds_write_b128 v22, v[8:11]
	v_lshlrev_b64 v[8:9], 2, v[20:21]
	v_mov_b32_e32 v10, s9
	v_add_co_u32_e64 v8, s[24:25], s8, v8
	v_addc_co_u32_e64 v9, s[24:25], v10, v9, s[24:25]
	v_add_co_u32_e64 v8, s[24:25], v8, v16
	v_addc_co_u32_e64 v9, s[24:25], 0, v9, s[24:25]
	v_cndmask_b32_e64 v9, v15, v9, s[10:11]
	v_cndmask_b32_e64 v8, v30, v8, s[10:11]
	flat_load_dwordx4 v[8:11], v[8:9]
	v_fma_f32 v21, v5, s26, -v14
	v_rndne_f32_e32 v22, v14
	v_fmac_f32_e32 v21, 0x32a5705f, v5
	v_sub_f32_e32 v14, v14, v22
	v_add_f32_e32 v14, v14, v21
	v_exp_f32_e32 v14, v14
	v_cvt_i32_f32_e32 v21, v22
	s_mov_b32 s24, 0x42b17218
	v_cmp_nlt_f32_e64 s[10:11], s24, v4
	v_cndmask_b32_e64 v4, v13, v12, s[10:11]
	v_ldexp_f32 v12, v14, v21
	v_cmp_ngt_f32_e64 s[10:11], s28, v5
	v_cndmask_b32_e64 v12, 0, v12, s[10:11]
	v_cmp_nlt_f32_e64 s[10:11], s24, v5
	v_cndmask_b32_e64 v5, v6, v6, s[18:19]
	v_sub_f32_e32 v6, v5, v28
	v_mul_f32_e32 v5, 0x3fb8aa3b, v6
	v_cndmask_b32_e64 v21, v13, v12, s[10:11]
	v_fma_f32 v12, v6, s26, -v5
	v_rndne_f32_e32 v14, v5
	v_fmac_f32_e32 v12, 0x32a5705f, v6
	v_sub_f32_e32 v5, v5, v14
	v_add_f32_e32 v5, v5, v12
	v_exp_f32_e32 v12, v5
	v_cvt_i32_f32_e32 v14, v14
	v_mov_b32_e32 v5, s27
	v_cndmask_b32_e64 v22, v5, v21, s[18:19]
	v_cmp_ngt_f32_e64 s[10:11], s28, v6
	v_ldexp_f32 v5, v12, v14
	v_mul_f32_e32 v12, 0x3fb8aa3b, v7
	v_fma_f32 v14, v7, s26, -v12
	v_rndne_f32_e32 v25, v12
	v_fmac_f32_e32 v14, 0x32a5705f, v7
	v_sub_f32_e32 v12, v12, v25
	v_add_f32_e32 v12, v12, v14
	v_exp_f32_e32 v12, v12
	v_cvt_i32_f32_e32 v14, v25
	v_cndmask_b32_e64 v5, 0, v5, s[10:11]
	v_cmp_nlt_f32_e64 s[10:11], s24, v6
	v_cndmask_b32_e64 v25, v13, v5, s[10:11]
	v_mov_b32_e32 v6, s27
	v_cndmask_b32_e64 v31, v6, v25, s[16:17]
	v_mul_f32_e32 v6, 0x3fb8aa3b, v0
	v_ldexp_f32 v5, v12, v14
	v_fma_f32 v12, v0, s26, -v6
	v_rndne_f32_e32 v14, v6
	v_fmac_f32_e32 v12, 0x32a5705f, v0
	v_sub_f32_e32 v6, v6, v14
	v_add_f32_e32 v6, v6, v12
	v_exp_f32_e32 v6, v6
	v_cvt_i32_f32_e32 v12, v14
	v_cmp_ngt_f32_e64 s[10:11], s28, v7
	v_cndmask_b32_e64 v5, 0, v5, s[10:11]
	v_cmp_nlt_f32_e64 s[10:11], s24, v7
	v_cndmask_b32_e64 v32, v13, v5, s[10:11]
	v_ldexp_f32 v6, v6, v12
	v_cmp_ngt_f32_e64 s[10:11], s28, v0
	v_cndmask_b32_e64 v6, 0, v6, s[10:11]
	v_cmp_nlt_f32_e64 s[10:11], s24, v0
	v_sub_f32_e32 v1, v1, v28
	v_cndmask_b32_e64 v33, v13, v6, s[10:11]
	v_mul_f32_e32 v6, 0x3fb8aa3b, v1
	v_rndne_f32_e32 v14, v6
	v_fma_f32 v12, v1, s26, -v6
	v_sub_f32_e32 v34, v6, v14
	v_lshl_add_u32 v6, s78, 5, v20
	v_ashrrev_i32_e32 v7, 31, v6
	v_lshlrev_b64 v[6:7], 2, v[6:7]
	v_add_co_u32_e64 v6, s[10:11], s8, v6
	v_fmac_f32_e32 v12, 0x32a5705f, v1
	v_sub_f32_e32 v2, v2, v28
	v_cndmask_b32_e64 v3, v3, v3, s[12:13]
	v_cndmask_b32_e64 v4, 0, v4, s[20:21]
	v_mov_b32_e32 v5, s27
	v_cndmask_b32_e64 v5, v5, v32, s[14:15]
	v_cvt_f16_f32_e32 v5, v5
	v_mov_b32_e32 v0, s27
	v_cndmask_b32_e64 v0, v0, v33, s[12:13]
	s_waitcnt vmcnt(0) lgkmcnt(0)
	ds_write_b128 v18, v[8:11]
	v_mov_b32_e32 v8, s9
	v_addc_co_u32_e64 v7, s[10:11], v8, v7, s[10:11]
	v_add_co_u32_e64 v6, s[10:11], v6, v16
	v_addc_co_u32_e64 v7, s[10:11], 0, v7, s[10:11]
	v_cndmask_b32_e64 v7, v15, v7, s[4:5]
	v_cndmask_b32_e64 v6, v30, v6, s[4:5]
	flat_load_dwordx4 v[6:9], v[6:7]
	v_add_f32_e32 v10, v34, v12
	v_exp_f32_e32 v10, v10
	v_cvt_i32_f32_e32 v11, v14
	v_cmp_ngt_f32_e64 s[4:5], s28, v1
	v_mul_u32_u24_e32 v52, 0x1a0, v63
	s_add_i32 s8, 0, 0x60
	v_ldexp_f32 v10, v10, v11
	v_mul_f32_e32 v11, 0x3fb8aa3b, v2
	v_fma_f32 v12, v2, s26, -v11
	v_rndne_f32_e32 v14, v11
	v_fmac_f32_e32 v12, 0x32a5705f, v2
	v_sub_f32_e32 v11, v11, v14
	v_add_f32_e32 v11, v11, v12
	v_exp_f32_e32 v11, v11
	v_cvt_i32_f32_e32 v12, v14
	v_cndmask_b32_e64 v10, 0, v10, s[4:5]
	v_cmp_nlt_f32_e64 s[4:5], s24, v1
	v_cndmask_b32_e64 v30, v13, v10, s[4:5]
	v_ldexp_f32 v10, v11, v12
	v_cmp_ngt_f32_e64 s[4:5], s28, v2
	v_cndmask_b32_e64 v10, 0, v10, s[4:5]
	v_cmp_nlt_f32_e64 s[4:5], s24, v2
	v_cndmask_b32_e64 v36, v13, v10, s[4:5]
	v_mov_b32_e32 v2, s27
	v_cndmask_b32_e64 v10, v2, v36, s[6:7]
	v_sub_f32_e32 v2, v3, v28
	v_mul_f32_e32 v3, 0x3fb8aa3b, v2
	v_fma_f32 v11, v2, s26, -v3
	v_rndne_f32_e32 v12, v3
	v_fmac_f32_e32 v11, 0x32a5705f, v2
	v_sub_f32_e32 v3, v3, v12
	v_add_f32_e32 v3, v3, v11
	v_cvt_i32_f32_e32 v11, v12
	v_sub_f32_e32 v12, v23, v28
	v_mul_f32_e32 v14, 0x3fb8aa3b, v12
	v_fma_f32 v15, v12, s26, -v14
	v_rndne_f32_e32 v16, v14
	v_fmac_f32_e32 v15, 0x32a5705f, v12
	v_sub_f32_e32 v14, v14, v16
	v_exp_f32_e32 v3, v3
	v_add_f32_e32 v14, v14, v15
	v_exp_f32_e32 v14, v14
	v_cvt_i32_f32_e32 v15, v16
	v_ldexp_f32 v3, v3, v11
	v_cmp_ngt_f32_e64 s[4:5], s28, v2
	v_cndmask_b32_e64 v3, 0, v3, s[4:5]
	v_ldexp_f32 v11, v14, v15
	v_cmp_ngt_f32_e64 s[4:5], s28, v12
	v_cndmask_b32_e64 v11, 0, v11, s[4:5]
	v_cmp_nlt_f32_e64 s[4:5], s24, v12
	v_cndmask_b32_e64 v11, v13, v11, s[4:5]
	s_mov_b32 s4, 0xc1a00000
	v_cmp_le_f32_e64 s[4:5], s4, v12
	v_cndmask_b32_e64 v37, 0, v11, s[4:5]
	v_cmp_nlt_f32_e64 s[4:5], s24, v2
	v_cndmask_b32_e64 v39, v13, v3, s[4:5]
	v_mov_b32_e32 v3, s27
	v_cndmask_b32_e32 v11, v3, v39, vcc
	v_cvt_f16_f32_e32 v3, v4
	v_cvt_f16_f32_e32 v12, v22
	;; [unrolled: 1-line block ×3, first 2 shown]
	v_mov_b32_e32 v1, s27
	v_cndmask_b32_e64 v1, v1, v30, s[22:23]
	v_pack_b32_f16 v22, v3, v12
	v_cvt_f16_f32_e32 v12, v1
	v_or_b32_e32 v1, 3, v65
	s_movk_i32 s5, 0x1a0
	v_cvt_f16_f32_e32 v38, v37
	v_pack_b32_f16 v23, v13, v5
	v_cvt_f16_f32_e32 v5, v0
	v_mul_u32_u24_e32 v0, 0x68, v17
	v_mul_u32_u24_e32 v31, 0xd0, v17
	;; [unrolled: 1-line block ×3, first 2 shown]
	v_mad_u32_u24 v1, v63, s5, 0
	v_or_b32_e32 v0, v0, v27
	v_add3_u32 v13, v1, v31, v62
	v_lshlrev_b32_e32 v41, 1, v0
	v_add3_u32 v16, v1, v40, v62
	s_mov_b32 s4, 0x5040100
	s_waitcnt vmcnt(0) lgkmcnt(0)
	ds_write_b128 v19, v[6:9]
	s_waitcnt lgkmcnt(0)
	s_barrier
	ds_read_u16 v8, v13 offset:6864
	ds_read_u16 v17, v16 offset:32
	;; [unrolled: 1-line block ×3, first 2 shown]
	ds_read_u16 v6, v16
	ds_read_u16 v9, v13 offset:7072
	ds_read_u16 v7, v13 offset:416
	;; [unrolled: 1-line block ×9, first 2 shown]
	v_add_u32_e32 v3, v1, v41
	s_waitcnt lgkmcnt(7)
	v_perm_b32 v7, v6, v7, s4
	ds_read_u16 v6, v13 offset:208
	ds_read_u16 v34, v3
	ds_read_u16 v47, v3 offset:32
	ds_read_u16 v48, v3 offset:64
	;; [unrolled: 1-line block ×6, first 2 shown]
	v_pk_mul_f16 v2, v38, v76 op_sel_hi:[0,1]
	v_pk_mul_f16 v14, v38, v75 op_sel_hi:[0,1]
	s_waitcnt lgkmcnt(6)
	v_perm_b32 v6, v6, v34, s4
	v_cvt_f32_f16_e32 v0, v2
	v_cvt_f32_f16_sdwa v1, v2 dst_sel:DWORD dst_unused:UNUSED_PAD src0_sel:WORD_1
	v_cvt_f32_f16_e32 v2, v14
	v_cvt_f32_f16_sdwa v3, v14 dst_sel:DWORD dst_unused:UNUSED_PAD src0_sel:WORD_1
	v_cvt_f16_f32_e32 v10, v10
	v_cvt_f16_f32_e32 v11, v11
	v_mfma_f32_16x16x16f16 v[0:3], v[6:7], v[22:23], v[0:3]
	v_add3_u32 v6, 0, 32, v52
	v_add_u32_e32 v7, v6, v41
	v_add3_u32 v14, v6, v31, v62
	v_add3_u32 v6, v6, v40, v62
	ds_read_u16 v34, v16 offset:6656
	ds_read_u16 v53, v7 offset:6656
	;; [unrolled: 1-line block ×6, first 2 shown]
	s_waitcnt lgkmcnt(5)
	v_perm_b32 v7, v34, v9, s4
	v_perm_b32 v6, v8, v35, s4
	v_cvt_f16_f32_e32 v0, v0
	v_cvt_f16_f32_e32 v1, v1
	;; [unrolled: 1-line block ×4, first 2 shown]
	v_cvt_f32_f16_e32 v0, v0
	v_cvt_f32_f16_e32 v1, v1
	;; [unrolled: 1-line block ×4, first 2 shown]
	v_pk_mul_f16 v15, v38, v77 op_sel_hi:[0,1]
	v_pk_mul_f16 v9, v38, v69 op_sel_hi:[0,1]
	v_pack_b32_f16 v34, v5, v12
	v_pack_b32_f16 v35, v10, v11
	v_perm_b32 v11, v17, v19, s4
	v_perm_b32 v10, v42, v47, s4
	v_mfma_f32_16x16x16f16 v[0:3], v[6:7], v[34:35], v[0:3]
	v_cvt_f32_f16_e32 v6, v15
	v_cvt_f32_f16_sdwa v7, v15 dst_sel:DWORD dst_unused:UNUSED_PAD src0_sel:WORD_1
	v_cvt_f32_f16_e32 v8, v9
	v_cvt_f32_f16_sdwa v9, v9 dst_sel:DWORD dst_unused:UNUSED_PAD src0_sel:WORD_1
	ds_read_u16 v57, v13 offset:576
	ds_read_u16 v17, v13 offset:512
	;; [unrolled: 1-line block ×5, first 2 shown]
	v_pk_mul_f16 v13, v38, v70 op_sel_hi:[0,1]
	v_mfma_f32_16x16x16f16 v[6:9], v[10:11], v[22:23], v[6:9]
	s_waitcnt lgkmcnt(6)
	v_perm_b32 v11, v55, v14, s4
	v_perm_b32 v10, v54, v53, s4
	;; [unrolled: 1-line block ×4, first 2 shown]
	v_cvt_f32_f16_e32 v12, v13
	v_cvt_f32_f16_sdwa v13, v13 dst_sel:DWORD dst_unused:UNUSED_PAD src0_sel:WORD_1
	s_nop 3
	v_cvt_f16_f32_e32 v5, v6
	v_cvt_f16_f32_e32 v7, v7
	;; [unrolled: 1-line block ×4, first 2 shown]
	v_cvt_f32_f16_e32 v6, v5
	v_cvt_f32_f16_e32 v7, v7
	;; [unrolled: 1-line block ×4, first 2 shown]
	v_pk_mul_f16 v5, v38, v71 op_sel_hi:[0,1]
	s_nop 0
	v_mfma_f32_16x16x16f16 v[6:9], v[10:11], v[34:35], v[6:9]
	v_cvt_f32_f16_e32 v10, v5
	v_cvt_f32_f16_sdwa v11, v5 dst_sel:DWORD dst_unused:UNUSED_PAD src0_sel:WORD_1
	v_add_f32_e32 v5, v21, v4
	v_cndmask_b32_e64 v16, v4, v5, s[18:19]
	v_add_f32_e32 v18, v16, v25
	v_cndmask_b32_e64 v18, v16, v18, s[16:17]
	v_mfma_f32_16x16x16f16 v[10:13], v[14:15], v[22:23], v[10:13]
	s_nop 7
	s_nop 2
	v_cvt_f16_f32_e32 v4, v10
	v_cvt_f16_f32_e32 v5, v11
	v_add3_u32 v10, 0, 64, v52
	v_add_u32_e32 v14, v10, v41
	v_add3_u32 v15, v10, v31, v62
	v_add3_u32 v20, v10, v40, v62
	v_cvt_f32_f16_e32 v10, v4
	v_mov_b32_e32 v4, s8
	v_cvt_f16_f32_e32 v12, v12
	v_cvt_f16_f32_e32 v13, v13
	v_mad_u32_u24 v4, v63, s5, v4
	v_add3_u32 v21, v4, v31, v62
	v_cvt_f32_f16_e32 v11, v5
	v_add_u32_e32 v5, v4, v41
	v_add3_u32 v4, v4, v40, v62
	ds_read_u16 v14, v14 offset:6656
	ds_read_u16 v25, v15 offset:6864
	;; [unrolled: 1-line block ×8, first 2 shown]
	s_waitcnt lgkmcnt(4)
	v_perm_b32 v5, v20, v15, s4
	v_perm_b32 v4, v25, v14, s4
	v_cvt_f32_f16_e32 v12, v12
	v_cvt_f32_f16_e32 v13, v13
	v_pk_mul_f16 v15, v38, v74 op_sel_hi:[0,1]
	v_pk_mul_f16 v20, v38, v72 op_sel_hi:[0,1]
	v_mfma_f32_16x16x16f16 v[10:13], v[4:5], v[34:35], v[10:13]
	v_perm_b32 v5, v19, v17, s4
	v_perm_b32 v4, v44, v49, s4
	v_cvt_f32_f16_e32 v14, v15
	v_cvt_f32_f16_sdwa v15, v15 dst_sel:DWORD dst_unused:UNUSED_PAD src0_sel:WORD_1
	v_cvt_f32_f16_e32 v16, v20
	v_cvt_f32_f16_sdwa v17, v20 dst_sel:DWORD dst_unused:UNUSED_PAD src0_sel:WORD_1
	v_add_f32_e32 v19, v18, v32
	v_cndmask_b32_e64 v18, v18, v19, s[14:15]
	v_mfma_f32_16x16x16f16 v[14:17], v[4:5], v[22:23], v[14:17]
	v_add_f32_e32 v19, v33, v18
	v_cndmask_b32_e64 v25, v18, v19, s[12:13]
	v_pk_mul_f16 v19, v38, v73 op_sel_hi:[0,1]
	v_cvt_f32_f16_e32 v18, v19
	v_cvt_f32_f16_sdwa v19, v19 dst_sel:DWORD dst_unused:UNUSED_PAD src0_sel:WORD_1
	s_add_i32 s8, 0, 0x80
	v_add_f32_e32 v30, v30, v25
	s_nop 3
	v_cvt_f16_f32_e32 v4, v14
	v_cvt_f16_f32_e32 v5, v15
	;; [unrolled: 1-line block ×4, first 2 shown]
	v_cvt_f32_f16_e32 v14, v4
	v_cvt_f32_f16_e32 v15, v5
	s_waitcnt lgkmcnt(0)
	v_perm_b32 v5, v52, v21, s4
	v_perm_b32 v4, v48, v43, s4
	v_cvt_f32_f16_e32 v16, v16
	v_cvt_f32_f16_e32 v17, v17
	v_pk_mul_f16 v21, v38, v67 op_sel_hi:[0,1]
	v_cvt_f32_f16_e32 v20, v21
	v_mfma_f32_16x16x16f16 v[14:17], v[4:5], v[34:35], v[14:17]
	v_perm_b32 v5, v47, v42, s4
	v_perm_b32 v4, v45, v50, s4
	v_cvt_f32_f16_sdwa v21, v21 dst_sel:DWORD dst_unused:UNUSED_PAD src0_sel:WORD_1
	v_cndmask_b32_e64 v25, v25, v30, s[22:23]
	v_add_f32_e32 v30, v36, v25
	v_cndmask_b32_e64 v25, v25, v30, s[6:7]
	v_mfma_f32_16x16x16f16 v[18:21], v[4:5], v[22:23], v[18:21]
	s_nop 7
	s_nop 2
	v_cvt_f16_f32_e32 v4, v18
	v_cvt_f16_f32_e32 v5, v19
	v_mov_b32_e32 v18, s8
	v_mad_u32_u24 v18, v63, s5, v18
	s_add_i32 s8, 0, 0xa0
	v_cvt_f16_f32_e32 v20, v20
	v_cvt_f16_f32_e32 v21, v21
	v_add_u32_e32 v32, v18, v41
	v_add3_u32 v33, v18, v31, v62
	v_add3_u32 v36, v18, v40, v62
	v_cvt_f32_f16_e32 v18, v4
	v_mov_b32_e32 v4, s8
	v_mad_u32_u24 v4, v63, s5, v4
	v_cvt_f32_f16_e32 v19, v5
	v_add_u32_e32 v5, v4, v41
	v_add3_u32 v31, v4, v31, v62
	v_add3_u32 v4, v4, v40, v62
	ds_read_u16 v32, v32 offset:6656
	ds_read_u16 v40, v33 offset:6864
	;; [unrolled: 1-line block ×8, first 2 shown]
	s_waitcnt lgkmcnt(4)
	v_perm_b32 v5, v36, v33, s4
	v_perm_b32 v4, v40, v32, s4
	v_cvt_f32_f16_e32 v20, v20
	v_cvt_f32_f16_e32 v21, v21
	v_pk_mul_f16 v31, v38, v66 op_sel_hi:[0,1]
	v_pk_mul_f16 v33, v38, v64 op_sel_hi:[0,1]
	v_mfma_f32_16x16x16f16 v[18:21], v[4:5], v[34:35], v[18:21]
	v_perm_b32 v5, v56, v57, s4
	v_perm_b32 v4, v46, v51, s4
	v_cvt_f32_f16_e32 v30, v31
	v_cvt_f32_f16_sdwa v31, v31 dst_sel:DWORD dst_unused:UNUSED_PAD src0_sel:WORD_1
	v_cvt_f32_f16_e32 v32, v33
	v_cvt_f32_f16_sdwa v33, v33 dst_sel:DWORD dst_unused:UNUSED_PAD src0_sel:WORD_1
	v_add_f32_e32 v36, v39, v25
	v_cndmask_b32_e32 v36, v25, v36, vcc
	v_mfma_f32_16x16x16f16 v[30:33], v[4:5], v[22:23], v[30:33]
	s_waitcnt lgkmcnt(0)
	v_perm_b32 v23, v44, v43, s4
	v_fmac_f32_e32 v36, v78, v37
	s_movk_i32 s8, 0xd0
	s_barrier
	s_nop 5
	v_cvt_f16_f32_e32 v22, v32
	v_cvt_f16_f32_e32 v4, v30
	;; [unrolled: 1-line block ×4, first 2 shown]
	v_cvt_f32_f16_e32 v32, v22
	v_perm_b32 v22, v42, v41, s4
	v_cvt_f32_f16_e32 v30, v4
	v_cvt_f32_f16_e32 v31, v5
	;; [unrolled: 1-line block ×3, first 2 shown]
	ds_bpermute_b32 v5, v24, v36
	v_cmp_gt_u32_e64 s[4:5], 16, v60
	v_mfma_f32_16x16x16f16 v[22:25], v[22:23], v[34:35], v[30:33]
	s_waitcnt lgkmcnt(0)
	v_add_f32_e32 v4, v36, v5
	ds_bpermute_b32 v5, v29, v4
	s_and_saveexec_b64 s[6:7], s[4:5]
	s_cbranch_execz .LBB14_321
; %bb.320:
	s_waitcnt lgkmcnt(0)
	v_add_f32_e32 v4, v4, v5
	v_or_b32_e32 v5, v86, v60
	v_mad_u32_u24 v5, v5, s8, 0
	ds_write2_b32 v5, v28, v4 offset0:48 offset1:49
.LBB14_321:
	s_or_b64 exec, exec, s[6:7]
	v_cmp_eq_u32_e32 vcc, 0, v88
	v_cmp_eq_u32_e64 s[6:7], 1, v88
	s_waitcnt lgkmcnt(0)
	s_barrier
	s_and_saveexec_b64 s[8:9], s[6:7]
	s_xor_b64 s[6:7], exec, s[8:9]
	s_cbranch_execz .LBB14_323
; %bb.322:
	s_barrier
	s_waitcnt lgkmcnt(0)
                                        ; implicit-def: $vgpr87
                                        ; implicit-def: $vgpr60
                                        ; implicit-def: $vgpr29
.LBB14_323:
	s_andn2_saveexec_b64 s[8:9], s[6:7]
	s_cbranch_execz .LBB14_329
; %bb.324:
	v_or_b32_e32 v5, v86, v26
	s_movk_i32 s6, 0xd0
	v_mad_u32_u24 v4, v5, s6, 0
	ds_read_b64 v[30:31], v4 offset:192
	s_mov_b32 s6, 0x3fb8aa3b
	s_mov_b32 s10, 0x42b17218
	s_waitcnt lgkmcnt(0)
	s_barrier
	ds_bpermute_b32 v4, v29, v30
	v_max_f32_e32 v28, v30, v30
	s_waitcnt lgkmcnt(0)
	v_max_f32_e32 v4, v4, v4
	v_max_f32_e32 v4, v28, v4
	v_sub_f32_e32 v28, v30, v4
	v_mul_f32_e32 v30, 0x3fb8aa3b, v28
	v_fma_f32 v32, v28, s6, -v30
	v_rndne_f32_e32 v33, v30
	v_fmac_f32_e32 v32, 0x32a5705f, v28
	v_sub_f32_e32 v30, v30, v33
	v_add_f32_e32 v30, v30, v32
	v_cvt_i32_f32_e32 v33, v33
	v_exp_f32_e32 v30, v30
	s_mov_b32 s6, 0xc2ce8ed0
	v_cmp_ngt_f32_e64 s[6:7], s6, v28
	v_mov_b32_e32 v32, 0x7f800000
	v_ldexp_f32 v30, v30, v33
	v_cndmask_b32_e64 v30, 0, v30, s[6:7]
	v_cmp_nlt_f32_e64 s[6:7], s10, v28
	v_cndmask_b32_e64 v28, v32, v30, s[6:7]
	v_mul_f32_e32 v30, v31, v28
	ds_bpermute_b32 v29, v29, v30
	v_cmp_gt_u32_e64 s[6:7], 32, v60
	s_waitcnt lgkmcnt(0)
	v_fmac_f32_e32 v29, v31, v28
	s_and_saveexec_b64 s[10:11], s[6:7]
	s_cbranch_execz .LBB14_326
; %bb.325:
	v_mul_u32_u24_e32 v5, 0xd0, v5
	v_add_u32_e32 v5, 0, v5
	ds_write_b64 v5, v[28:29] offset:192
.LBB14_326:
	s_or_b64 exec, exec, s[10:11]
	s_and_saveexec_b64 s[6:7], s[4:5]
	s_cbranch_execz .LBB14_328
; %bb.327:
	s_add_i32 s4, s59, s58
	s_lshl_b32 s4, s4, 5
	s_mov_b32 s5, 0
	s_lshl_b64 s[4:5], s[4:5], 3
	s_add_u32 s4, s74, s4
	v_or_b32_e32 v5, v87, v60
	s_addc_u32 s5, s75, s5
	v_lshlrev_b32_e32 v28, 3, v5
	v_mov_b32_e32 v5, v29
	global_store_dwordx2 v28, v[4:5], s[4:5]
.LBB14_328:
	s_or_b64 exec, exec, s[6:7]
.LBB14_329:
	s_or_b64 exec, exec, s[8:9]
	v_cvt_f16_f32_e32 v0, v0
	v_cvt_f16_f32_e32 v1, v1
	;; [unrolled: 1-line block ×8, first 2 shown]
	v_pack_b32_f16 v2, v2, v3
	v_pack_b32_f16 v0, v0, v1
	;; [unrolled: 1-line block ×4, first 2 shown]
	v_cvt_f16_f32_e32 v4, v10
	v_cvt_f16_f32_e32 v5, v11
	;; [unrolled: 1-line block ×8, first 2 shown]
	v_pack_b32_f16 v6, v6, v7
	v_pack_b32_f16 v4, v4, v5
	v_pack_b32_f16 v5, v9, v10
	v_pack_b32_f16 v7, v8, v11
	v_cvt_f16_f32_e32 v10, v20
	v_cvt_f16_f32_e32 v11, v21
	v_cvt_f16_f32_e32 v12, v22
	v_cvt_f16_f32_e32 v15, v23
	v_cvt_f16_f32_e32 v8, v18
	v_cvt_f16_f32_e32 v9, v19
	v_cvt_f16_f32_e32 v13, v24
	v_cvt_f16_f32_e32 v14, v25
	v_pack_b32_f16 v10, v10, v11
	v_pack_b32_f16 v11, v12, v15
	v_or_b32_e32 v12, v86, v27
	v_mad_u32_u24 v12, v12, 52, v61
	s_mov_b32 s7, 0
	v_lshl_add_u32 v12, v12, 2, 0
	v_pack_b32_f16 v8, v8, v9
	v_pack_b32_f16 v9, v13, v14
	ds_write2_b32 v12, v0, v2 offset1:1
	ds_write2_b32 v12, v3, v1 offset0:8 offset1:9
	ds_write2_b32 v12, v4, v6 offset0:16 offset1:17
	;; [unrolled: 1-line block ×5, first 2 shown]
	s_waitcnt lgkmcnt(0)
	s_barrier
	s_and_saveexec_b64 s[4:5], vcc
	s_cbranch_execz .LBB14_331
; %bb.330:
	s_mul_i32 s6, s58, 0x600
	v_add_u32_e32 v12, v59, v85
	s_lshl_b64 s[8:9], s[6:7], 3
	v_lshlrev_b32_e32 v13, 1, v12
	v_and_b32_e32 v14, 15, v12
	s_movk_i32 s6, 0xfe0
	s_add_u32 s10, s74, s8
	v_and_or_b32 v0, v13, s6, v14
	s_movk_i32 s8, 0xd0
	v_mad_u32_u24 v2, v0, s8, 0
	v_lshlrev_b32_e32 v15, 2, v26
	v_add_u32_e32 v0, v2, v15
	ds_read2st64_b32 v[0:1], v0 offset1:13
	v_add_u32_e32 v2, 0xc0, v2
	ds_read2st64_b32 v[2:3], v2 offset1:13
	s_addc_u32 s9, s75, s9
	s_lshl_b32 s6, s59, 6
	s_waitcnt lgkmcnt(1)
	v_cvt_f32_f16_e32 v4, v0
	v_cvt_f32_f16_sdwa v5, v0 dst_sel:DWORD dst_unused:UNUSED_PAD src0_sel:WORD_1
	s_lshl_b64 s[6:7], s[6:7], 3
	s_add_u32 s6, s10, s6
	s_addc_u32 s7, s9, s7
	s_waitcnt lgkmcnt(0)
	v_pk_fma_f32 v[4:5], v[2:3], v[4:5], 0 op_sel_hi:[0,1,0]
	v_add_u32_e32 v2, 4, v12
	v_lshlrev_b32_e32 v6, 1, v2
	v_and_b32_e32 v2, 15, v2
	s_movk_i32 s9, 0x1fe0
	v_and_or_b32 v2, v6, s9, v2
	v_mad_u32_u24 v8, v2, s8, 0
	v_add_u32_e32 v2, v8, v15
	ds_read2st64_b32 v[6:7], v2 offset1:13
	v_cvt_f32_f16_e32 v0, v1
	v_cvt_f32_f16_sdwa v1, v1 dst_sel:DWORD dst_unused:UNUSED_PAD src0_sel:WORD_1
	v_mov_b32_e32 v2, v3
	v_add_u32_e32 v3, 0xc0, v8
	ds_read2st64_b32 v[8:9], v3 offset1:13
	s_waitcnt lgkmcnt(1)
	v_cvt_f32_f16_e32 v10, v6
	v_cvt_f32_f16_sdwa v11, v6 dst_sel:DWORD dst_unused:UNUSED_PAD src0_sel:WORD_1
	v_pk_fma_f32 v[0:1], v[2:3], v[0:1], v[4:5] op_sel_hi:[0,1,1]
	v_add_u32_e32 v3, 8, v12
	v_mul_u32_u24_e32 v16, 48, v12
	v_lshlrev_b32_e32 v4, 1, v3
	v_and_b32_e32 v3, 15, v3
	v_add_lshl_u32 v16, v16, v26, 3
	v_and_or_b32 v3, v4, s9, v3
	global_store_dwordx2 v16, v[0:1], s[6:7]
	s_waitcnt lgkmcnt(0)
	v_pk_fma_f32 v[0:1], v[8:9], v[10:11], 0 op_sel_hi:[0,1,0]
	v_mad_u32_u24 v8, v3, s8, 0
	v_add_u32_e32 v3, v8, v15
	ds_read2st64_b32 v[4:5], v3 offset1:13
	v_cvt_f32_f16_e32 v2, v7
	v_cvt_f32_f16_sdwa v3, v7 dst_sel:DWORD dst_unused:UNUSED_PAD src0_sel:WORD_1
	v_add_u32_e32 v7, 0xc0, v8
	v_mov_b32_e32 v6, v9
	ds_read2st64_b32 v[8:9], v7 offset1:13
	s_waitcnt lgkmcnt(1)
	v_cvt_f32_f16_e32 v10, v4
	v_cvt_f32_f16_sdwa v11, v4 dst_sel:DWORD dst_unused:UNUSED_PAD src0_sel:WORD_1
	v_pk_fma_f32 v[0:1], v[6:7], v[2:3], v[0:1] op_sel_hi:[0,1,1]
	v_add_u32_e32 v3, 12, v12
	v_lshlrev_b32_e32 v4, 1, v3
	v_and_b32_e32 v3, 15, v3
	v_and_or_b32 v3, v4, s9, v3
	global_store_dwordx2 v16, v[0:1], s[6:7] offset:1536
	s_waitcnt lgkmcnt(0)
	v_pk_fma_f32 v[0:1], v[8:9], v[10:11], 0 op_sel_hi:[0,1,0]
	v_mad_u32_u24 v8, v3, s8, 0
	v_add_u32_e32 v3, v8, v15
	ds_read2st64_b32 v[6:7], v3 offset1:13
	v_cvt_f32_f16_e32 v2, v5
	v_cvt_f32_f16_sdwa v3, v5 dst_sel:DWORD dst_unused:UNUSED_PAD src0_sel:WORD_1
	v_add_u32_e32 v5, 0xc0, v8
	v_mov_b32_e32 v4, v9
	ds_read2st64_b32 v[8:9], v5 offset1:13
	s_waitcnt lgkmcnt(1)
	v_cvt_f32_f16_e32 v10, v6
	v_cvt_f32_f16_sdwa v11, v6 dst_sel:DWORD dst_unused:UNUSED_PAD src0_sel:WORD_1
	v_pk_fma_f32 v[0:1], v[4:5], v[2:3], v[0:1] op_sel_hi:[0,1,1]
	v_add_u32_e32 v3, 32, v13
	v_add_u32_e32 v17, 0xc00, v16
	v_and_or_b32 v3, v3, s9, v14
	global_store_dwordx2 v17, v[0:1], s[6:7]
	s_waitcnt lgkmcnt(0)
	v_pk_fma_f32 v[0:1], v[8:9], v[10:11], 0 op_sel_hi:[0,1,0]
	v_mad_u32_u24 v8, v3, s8, 0
	v_add_u32_e32 v3, v8, v15
	ds_read2st64_b32 v[4:5], v3 offset1:13
	v_cvt_f32_f16_e32 v2, v7
	v_cvt_f32_f16_sdwa v3, v7 dst_sel:DWORD dst_unused:UNUSED_PAD src0_sel:WORD_1
	v_add_u32_e32 v7, 0xc0, v8
	v_mov_b32_e32 v6, v9
	ds_read2st64_b32 v[8:9], v7 offset1:13
	s_waitcnt lgkmcnt(1)
	v_cvt_f32_f16_e32 v10, v4
	v_cvt_f32_f16_sdwa v11, v4 dst_sel:DWORD dst_unused:UNUSED_PAD src0_sel:WORD_1
	v_pk_fma_f32 v[0:1], v[6:7], v[2:3], v[0:1] op_sel_hi:[0,1,1]
	v_add_u32_e32 v3, 20, v12
	v_lshlrev_b32_e32 v4, 1, v3
	v_and_b32_e32 v3, 15, v3
	v_add_u32_e32 v17, 0x1200, v16
	v_and_or_b32 v3, v4, s9, v3
	global_store_dwordx2 v17, v[0:1], s[6:7]
	s_waitcnt lgkmcnt(0)
	v_pk_fma_f32 v[0:1], v[8:9], v[10:11], 0 op_sel_hi:[0,1,0]
	v_mad_u32_u24 v8, v3, s8, 0
	v_add_u32_e32 v3, v8, v15
	ds_read2st64_b32 v[6:7], v3 offset1:13
	v_cvt_f32_f16_e32 v2, v5
	v_cvt_f32_f16_sdwa v3, v5 dst_sel:DWORD dst_unused:UNUSED_PAD src0_sel:WORD_1
	v_add_u32_e32 v5, 0xc0, v8
	v_mov_b32_e32 v4, v9
	ds_read2st64_b32 v[8:9], v5 offset1:13
	s_waitcnt lgkmcnt(1)
	v_cvt_f32_f16_e32 v10, v6
	v_cvt_f32_f16_sdwa v11, v6 dst_sel:DWORD dst_unused:UNUSED_PAD src0_sel:WORD_1
	v_pk_fma_f32 v[0:1], v[4:5], v[2:3], v[0:1] op_sel_hi:[0,1,1]
	v_add_u32_e32 v3, 24, v12
	v_lshlrev_b32_e32 v4, 1, v3
	v_and_b32_e32 v3, 15, v3
	;; [unrolled: 20-line block ×3, first 2 shown]
	v_add_u32_e32 v13, 0x1e00, v16
	v_and_or_b32 v3, v4, s9, v3
	global_store_dwordx2 v13, v[0:1], s[6:7]
	s_waitcnt lgkmcnt(0)
	v_pk_fma_f32 v[0:1], v[8:9], v[10:11], 0 op_sel_hi:[0,1,0]
	v_mad_u32_u24 v8, v3, s8, 0
	v_add_u32_e32 v3, v8, v15
	ds_read2st64_b32 v[6:7], v3 offset1:13
	v_cvt_f32_f16_e32 v2, v5
	v_cvt_f32_f16_sdwa v3, v5 dst_sel:DWORD dst_unused:UNUSED_PAD src0_sel:WORD_1
	v_add_u32_e32 v5, 0xc0, v8
	v_mov_b32_e32 v4, v9
	ds_read2st64_b32 v[8:9], v5 offset1:13
	s_waitcnt lgkmcnt(1)
	v_cvt_f32_f16_e32 v10, v6
	v_cvt_f32_f16_sdwa v11, v6 dst_sel:DWORD dst_unused:UNUSED_PAD src0_sel:WORD_1
	v_add_u32_e32 v13, 0x2400, v16
	v_pk_fma_f32 v[0:1], v[4:5], v[2:3], v[0:1] op_sel_hi:[0,1,1]
	v_add_u32_e32 v12, v58, v84
	global_store_dwordx2 v13, v[0:1], s[6:7]
	v_lshlrev_b32_e32 v13, 1, v12
	v_and_b32_e32 v14, 15, v12
	v_and_or_b32 v6, v13, s9, v14
	s_waitcnt lgkmcnt(0)
	v_pk_fma_f32 v[0:1], v[8:9], v[10:11], 0 op_sel_hi:[0,1,0]
	v_mad_u32_u24 v8, v6, s8, 0
	v_lshlrev_b32_e32 v15, 2, v27
	v_cvt_f32_f16_e32 v2, v7
	v_cvt_f32_f16_sdwa v3, v7 dst_sel:DWORD dst_unused:UNUSED_PAD src0_sel:WORD_1
	v_add_u32_e32 v6, v8, v15
	v_add_u32_e32 v6, 0x80, v6
	ds_read2st64_b32 v[6:7], v6 offset1:13
	v_add_u32_e32 v5, 0x2a00, v16
	v_mov_b32_e32 v4, v9
	v_pk_fma_f32 v[0:1], v[4:5], v[2:3], v[0:1] op_sel_hi:[0,1,1]
	global_store_dwordx2 v5, v[0:1], s[6:7]
	v_add_u32_e32 v0, 0xc0, v8
	ds_read2st64_b32 v[0:1], v0 offset1:13
	s_waitcnt lgkmcnt(1)
	v_cvt_f32_f16_e32 v2, v6
	v_cvt_f32_f16_sdwa v3, v6 dst_sel:DWORD dst_unused:UNUSED_PAD src0_sel:WORD_1
	s_movk_i32 s9, 0x3fe0
	v_mul_u32_u24_e32 v4, 48, v12
	v_or_b32_e32 v4, v4, v27
	s_waitcnt lgkmcnt(0)
	v_pk_fma_f32 v[2:3], v[0:1], v[2:3], 0 op_sel_hi:[0,1,0]
	v_add_u32_e32 v0, 8, v12
	v_lshlrev_b32_e32 v5, 1, v0
	v_and_b32_e32 v0, 15, v0
	v_and_or_b32 v0, v5, s9, v0
	v_mad_u32_u24 v6, v0, s8, 0
	v_add_u32_e32 v0, v6, v15
	v_lshlrev_b32_e32 v16, 3, v4
	v_cvt_f32_f16_e32 v4, v7
	v_add_u32_e32 v0, 0x80, v0
	v_cvt_f32_f16_sdwa v5, v7 dst_sel:DWORD dst_unused:UNUSED_PAD src0_sel:WORD_1
	ds_read2st64_b32 v[8:9], v0 offset1:13
	v_mov_b32_e32 v0, v1
	v_add_u32_e32 v1, 0xc0, v6
	ds_read2st64_b32 v[6:7], v1 offset1:13
	v_pk_fma_f32 v[0:1], v[0:1], v[4:5], v[2:3] op_sel_hi:[0,1,1]
	v_add_u32_e32 v3, 32, v13
	v_and_or_b32 v3, v3, s9, v14
	s_waitcnt lgkmcnt(1)
	v_cvt_f32_f16_e32 v10, v8
	v_cvt_f32_f16_sdwa v11, v8 dst_sel:DWORD dst_unused:UNUSED_PAD src0_sel:WORD_1
	v_mad_u32_u24 v8, v3, s8, 0
	v_add_u32_e32 v3, v8, v15
	v_add_u32_e32 v3, 0x80, v3
	ds_read2st64_b32 v[4:5], v3 offset1:13
	v_cvt_f32_f16_e32 v2, v9
	v_cvt_f32_f16_sdwa v3, v9 dst_sel:DWORD dst_unused:UNUSED_PAD src0_sel:WORD_1
	global_store_dwordx2 v16, v[0:1], s[6:7] offset:256
	s_waitcnt lgkmcnt(1)
	v_pk_fma_f32 v[0:1], v[6:7], v[10:11], 0 op_sel_hi:[0,1,0]
	v_mov_b32_e32 v6, v7
	v_add_u32_e32 v7, 0xc0, v8
	v_pk_fma_f32 v[0:1], v[6:7], v[2:3], v[0:1] op_sel_hi:[0,1,1]
	s_waitcnt lgkmcnt(0)
	v_cvt_f32_f16_e32 v2, v5
	v_cvt_f32_f16_sdwa v3, v5 dst_sel:DWORD dst_unused:UNUSED_PAD src0_sel:WORD_1
	v_add_u32_e32 v5, 24, v12
	v_lshlrev_b32_e32 v6, 1, v5
	v_and_b32_e32 v5, 15, v5
	ds_read2st64_b32 v[8:9], v7 offset1:13
	v_and_or_b32 v5, v6, s9, v5
	v_cvt_f32_f16_e32 v10, v4
	v_cvt_f32_f16_sdwa v11, v4 dst_sel:DWORD dst_unused:UNUSED_PAD src0_sel:WORD_1
	v_mad_u32_u24 v5, v5, s8, 0
	v_add_u32_e32 v6, v5, v15
	v_add_u32_e32 v6, 0x80, v6
	;; [unrolled: 1-line block ×3, first 2 shown]
	ds_read2st64_b32 v[6:7], v6 offset1:13
	global_store_dwordx2 v17, v[0:1], s[6:7] offset:256
	s_waitcnt lgkmcnt(1)
	v_pk_fma_f32 v[0:1], v[8:9], v[10:11], 0 op_sel_hi:[0,1,0]
	v_mov_b32_e32 v4, v9
	v_add_u32_e32 v13, 0x1800, v16
	v_pk_fma_f32 v[0:1], v[4:5], v[2:3], v[0:1] op_sel_hi:[0,1,1]
	global_store_dwordx2 v13, v[0:1], s[6:7] offset:256
	v_add_u32_e32 v0, 0xc0, v5
	ds_read2st64_b32 v[0:1], v0 offset1:13
	s_waitcnt lgkmcnt(1)
	v_cvt_f32_f16_e32 v2, v6
	v_cvt_f32_f16_sdwa v3, v6 dst_sel:DWORD dst_unused:UNUSED_PAD src0_sel:WORD_1
	v_cvt_f32_f16_e32 v4, v7
	v_cvt_f32_f16_sdwa v5, v7 dst_sel:DWORD dst_unused:UNUSED_PAD src0_sel:WORD_1
	v_add_u32_e32 v6, 0x2400, v16
	s_waitcnt lgkmcnt(0)
	v_pk_fma_f32 v[2:3], v[0:1], v[2:3], 0 op_sel_hi:[0,1,0]
	v_mov_b32_e32 v0, v1
	v_pk_fma_f32 v[0:1], v[0:1], v[4:5], v[2:3] op_sel_hi:[0,1,1]
	global_store_dwordx2 v6, v[0:1], s[6:7] offset:256
.LBB14_331:
	s_or_b64 exec, exec, s[4:5]
	s_barrier
	s_endpgm
.LBB14_332:
                                        ; implicit-def: $vgpr4_vgpr5_vgpr6_vgpr7
                                        ; implicit-def: $vgpr0_vgpr1_vgpr2_vgpr3
                                        ; implicit-def: $vgpr29
                                        ; implicit-def: $vgpr25
	v_add_u32_e32 v22, 0x80, v19
	v_add_u32_e32 v19, 0x1a00, v18
	s_branch .LBB14_318
	.section	.rodata,"a",@progbits
	.p2align	6, 0x0
	.amdhsa_kernel _ZL18flash_attn_ext_f16ILi96ELi96ELi32ELi1ELb0ELb0EEvPKcS1_S1_S1_S1_PKiPfP15HIP_vector_typeIfLj2EEffffjfiS5_IjLj3EEiiiiiiiiiiiliiliiiiil
		.amdhsa_group_segment_fixed_size 0
		.amdhsa_private_segment_fixed_size 32
		.amdhsa_kernarg_size 464
		.amdhsa_user_sgpr_count 8
		.amdhsa_user_sgpr_private_segment_buffer 1
		.amdhsa_user_sgpr_dispatch_ptr 0
		.amdhsa_user_sgpr_queue_ptr 0
		.amdhsa_user_sgpr_kernarg_segment_ptr 1
		.amdhsa_user_sgpr_dispatch_id 0
		.amdhsa_user_sgpr_flat_scratch_init 1
		.amdhsa_user_sgpr_kernarg_preload_length 0
		.amdhsa_user_sgpr_kernarg_preload_offset 0
		.amdhsa_user_sgpr_private_segment_size 0
		.amdhsa_uses_dynamic_stack 0
		.amdhsa_system_sgpr_private_segment_wavefront_offset 1
		.amdhsa_system_sgpr_workgroup_id_x 1
		.amdhsa_system_sgpr_workgroup_id_y 0
		.amdhsa_system_sgpr_workgroup_id_z 0
		.amdhsa_system_sgpr_workgroup_info 0
		.amdhsa_system_vgpr_workitem_id 1
		.amdhsa_next_free_vgpr 232
		.amdhsa_next_free_sgpr 100
		.amdhsa_accum_offset 232
		.amdhsa_reserve_vcc 1
		.amdhsa_reserve_flat_scratch 1
		.amdhsa_float_round_mode_32 0
		.amdhsa_float_round_mode_16_64 0
		.amdhsa_float_denorm_mode_32 3
		.amdhsa_float_denorm_mode_16_64 3
		.amdhsa_dx10_clamp 1
		.amdhsa_ieee_mode 1
		.amdhsa_fp16_overflow 0
		.amdhsa_tg_split 0
		.amdhsa_exception_fp_ieee_invalid_op 0
		.amdhsa_exception_fp_denorm_src 0
		.amdhsa_exception_fp_ieee_div_zero 0
		.amdhsa_exception_fp_ieee_overflow 0
		.amdhsa_exception_fp_ieee_underflow 0
		.amdhsa_exception_fp_ieee_inexact 0
		.amdhsa_exception_int_div_zero 0
	.end_amdhsa_kernel
	.section	.text._ZL18flash_attn_ext_f16ILi96ELi96ELi32ELi1ELb0ELb0EEvPKcS1_S1_S1_S1_PKiPfP15HIP_vector_typeIfLj2EEffffjfiS5_IjLj3EEiiiiiiiiiiiliiliiiiil,"axG",@progbits,_ZL18flash_attn_ext_f16ILi96ELi96ELi32ELi1ELb0ELb0EEvPKcS1_S1_S1_S1_PKiPfP15HIP_vector_typeIfLj2EEffffjfiS5_IjLj3EEiiiiiiiiiiiliiliiiiil,comdat
.Lfunc_end14:
	.size	_ZL18flash_attn_ext_f16ILi96ELi96ELi32ELi1ELb0ELb0EEvPKcS1_S1_S1_S1_PKiPfP15HIP_vector_typeIfLj2EEffffjfiS5_IjLj3EEiiiiiiiiiiiliiliiiiil, .Lfunc_end14-_ZL18flash_attn_ext_f16ILi96ELi96ELi32ELi1ELb0ELb0EEvPKcS1_S1_S1_S1_PKiPfP15HIP_vector_typeIfLj2EEffffjfiS5_IjLj3EEiiiiiiiiiiiliiliiiiil
                                        ; -- End function
	.section	.AMDGPU.csdata,"",@progbits
; Kernel info:
; codeLenInByte = 50208
; NumSgprs: 106
; NumVgprs: 232
; NumAgprs: 0
; TotalNumVgprs: 232
; ScratchSize: 32
; MemoryBound: 0
; FloatMode: 240
; IeeeMode: 1
; LDSByteSize: 0 bytes/workgroup (compile time only)
; SGPRBlocks: 13
; VGPRBlocks: 28
; NumSGPRsForWavesPerEU: 106
; NumVGPRsForWavesPerEU: 232
; AccumOffset: 232
; Occupancy: 2
; WaveLimiterHint : 1
; COMPUTE_PGM_RSRC2:SCRATCH_EN: 1
; COMPUTE_PGM_RSRC2:USER_SGPR: 8
; COMPUTE_PGM_RSRC2:TRAP_HANDLER: 0
; COMPUTE_PGM_RSRC2:TGID_X_EN: 1
; COMPUTE_PGM_RSRC2:TGID_Y_EN: 0
; COMPUTE_PGM_RSRC2:TGID_Z_EN: 0
; COMPUTE_PGM_RSRC2:TIDIG_COMP_CNT: 1
; COMPUTE_PGM_RSRC3_GFX90A:ACCUM_OFFSET: 57
; COMPUTE_PGM_RSRC3_GFX90A:TG_SPLIT: 0
	.section	.text._ZL18flash_attn_ext_f16ILi96ELi96ELi32ELi1ELb1ELb0EEvPKcS1_S1_S1_S1_PKiPfP15HIP_vector_typeIfLj2EEffffjfiS5_IjLj3EEiiiiiiiiiiiliiliiiiil,"axG",@progbits,_ZL18flash_attn_ext_f16ILi96ELi96ELi32ELi1ELb1ELb0EEvPKcS1_S1_S1_S1_PKiPfP15HIP_vector_typeIfLj2EEffffjfiS5_IjLj3EEiiiiiiiiiiiliiliiiiil,comdat
	.globl	_ZL18flash_attn_ext_f16ILi96ELi96ELi32ELi1ELb1ELb0EEvPKcS1_S1_S1_S1_PKiPfP15HIP_vector_typeIfLj2EEffffjfiS5_IjLj3EEiiiiiiiiiiiliiliiiiil ; -- Begin function _ZL18flash_attn_ext_f16ILi96ELi96ELi32ELi1ELb1ELb0EEvPKcS1_S1_S1_S1_PKiPfP15HIP_vector_typeIfLj2EEffffjfiS5_IjLj3EEiiiiiiiiiiiliiliiiiil
	.p2align	8
	.type	_ZL18flash_attn_ext_f16ILi96ELi96ELi32ELi1ELb1ELb0EEvPKcS1_S1_S1_S1_PKiPfP15HIP_vector_typeIfLj2EEffffjfiS5_IjLj3EEiiiiiiiiiiiliiliiiiil,@function
_ZL18flash_attn_ext_f16ILi96ELi96ELi32ELi1ELb1ELb0EEvPKcS1_S1_S1_S1_PKiPfP15HIP_vector_typeIfLj2EEffffjfiS5_IjLj3EEiiiiiiiiiiiliiliiiiil: ; @_ZL18flash_attn_ext_f16ILi96ELi96ELi32ELi1ELb1ELb0EEvPKcS1_S1_S1_S1_PKiPfP15HIP_vector_typeIfLj2EEffffjfiS5_IjLj3EEiiiiiiiiiiiliiliiiiil
; %bb.0:
	s_add_u32 flat_scratch_lo, s6, s9
	s_addc_u32 flat_scratch_hi, s7, 0
	s_add_u32 s0, s0, s9
	s_addc_u32 s1, s1, 0
	s_add_u32 s8, s4, 0xd0
	s_addc_u32 s9, s5, 0
	s_mov_b32 s32, 0
	s_getpc_b64 s[4:5]
	s_add_u32 s4, s4, _ZL14no_device_codePKciS0_iS0_@rel32@lo+4
	s_addc_u32 s5, s5, _ZL14no_device_codePKciS0_iS0_@rel32@hi+12
	s_swappc_b64 s[30:31], s[4:5]
	.section	.rodata,"a",@progbits
	.p2align	6, 0x0
	.amdhsa_kernel _ZL18flash_attn_ext_f16ILi96ELi96ELi32ELi1ELb1ELb0EEvPKcS1_S1_S1_S1_PKiPfP15HIP_vector_typeIfLj2EEffffjfiS5_IjLj3EEiiiiiiiiiiiliiliiiiil
		.amdhsa_group_segment_fixed_size 0
		.amdhsa_private_segment_fixed_size 16
		.amdhsa_kernarg_size 464
		.amdhsa_user_sgpr_count 8
		.amdhsa_user_sgpr_private_segment_buffer 1
		.amdhsa_user_sgpr_dispatch_ptr 0
		.amdhsa_user_sgpr_queue_ptr 0
		.amdhsa_user_sgpr_kernarg_segment_ptr 1
		.amdhsa_user_sgpr_dispatch_id 0
		.amdhsa_user_sgpr_flat_scratch_init 1
		.amdhsa_user_sgpr_kernarg_preload_length 0
		.amdhsa_user_sgpr_kernarg_preload_offset 0
		.amdhsa_user_sgpr_private_segment_size 0
		.amdhsa_uses_dynamic_stack 0
		.amdhsa_system_sgpr_private_segment_wavefront_offset 1
		.amdhsa_system_sgpr_workgroup_id_x 1
		.amdhsa_system_sgpr_workgroup_id_y 0
		.amdhsa_system_sgpr_workgroup_id_z 0
		.amdhsa_system_sgpr_workgroup_info 0
		.amdhsa_system_vgpr_workitem_id 0
		.amdhsa_next_free_vgpr 39
		.amdhsa_next_free_sgpr 34
		.amdhsa_accum_offset 40
		.amdhsa_reserve_vcc 1
		.amdhsa_reserve_flat_scratch 1
		.amdhsa_float_round_mode_32 0
		.amdhsa_float_round_mode_16_64 0
		.amdhsa_float_denorm_mode_32 3
		.amdhsa_float_denorm_mode_16_64 3
		.amdhsa_dx10_clamp 1
		.amdhsa_ieee_mode 1
		.amdhsa_fp16_overflow 0
		.amdhsa_tg_split 0
		.amdhsa_exception_fp_ieee_invalid_op 0
		.amdhsa_exception_fp_denorm_src 0
		.amdhsa_exception_fp_ieee_div_zero 0
		.amdhsa_exception_fp_ieee_overflow 0
		.amdhsa_exception_fp_ieee_underflow 0
		.amdhsa_exception_fp_ieee_inexact 0
		.amdhsa_exception_int_div_zero 0
	.end_amdhsa_kernel
	.section	.text._ZL18flash_attn_ext_f16ILi96ELi96ELi32ELi1ELb1ELb0EEvPKcS1_S1_S1_S1_PKiPfP15HIP_vector_typeIfLj2EEffffjfiS5_IjLj3EEiiiiiiiiiiiliiliiiiil,"axG",@progbits,_ZL18flash_attn_ext_f16ILi96ELi96ELi32ELi1ELb1ELb0EEvPKcS1_S1_S1_S1_PKiPfP15HIP_vector_typeIfLj2EEffffjfiS5_IjLj3EEiiiiiiiiiiiliiliiiiil,comdat
.Lfunc_end15:
	.size	_ZL18flash_attn_ext_f16ILi96ELi96ELi32ELi1ELb1ELb0EEvPKcS1_S1_S1_S1_PKiPfP15HIP_vector_typeIfLj2EEffffjfiS5_IjLj3EEiiiiiiiiiiiliiliiiiil, .Lfunc_end15-_ZL18flash_attn_ext_f16ILi96ELi96ELi32ELi1ELb1ELb0EEvPKcS1_S1_S1_S1_PKiPfP15HIP_vector_typeIfLj2EEffffjfiS5_IjLj3EEiiiiiiiiiiiliiliiiiil
                                        ; -- End function
	.section	.AMDGPU.csdata,"",@progbits
; Kernel info:
; codeLenInByte = 56
; NumSgprs: 40
; NumVgprs: 39
; NumAgprs: 0
; TotalNumVgprs: 39
; ScratchSize: 16
; MemoryBound: 0
; FloatMode: 240
; IeeeMode: 1
; LDSByteSize: 0 bytes/workgroup (compile time only)
; SGPRBlocks: 4
; VGPRBlocks: 4
; NumSGPRsForWavesPerEU: 40
; NumVGPRsForWavesPerEU: 39
; AccumOffset: 40
; Occupancy: 8
; WaveLimiterHint : 1
; COMPUTE_PGM_RSRC2:SCRATCH_EN: 1
; COMPUTE_PGM_RSRC2:USER_SGPR: 8
; COMPUTE_PGM_RSRC2:TRAP_HANDLER: 0
; COMPUTE_PGM_RSRC2:TGID_X_EN: 1
; COMPUTE_PGM_RSRC2:TGID_Y_EN: 0
; COMPUTE_PGM_RSRC2:TGID_Z_EN: 0
; COMPUTE_PGM_RSRC2:TIDIG_COMP_CNT: 0
; COMPUTE_PGM_RSRC3_GFX90A:ACCUM_OFFSET: 9
; COMPUTE_PGM_RSRC3_GFX90A:TG_SPLIT: 0
	.section	.text._ZL33flash_attn_stream_k_fixup_uniformILi96ELi32ELi1EEvPfPK15HIP_vector_typeIfLj2EEiiiiiiS1_IjLj3EES5_S5_,"axG",@progbits,_ZL33flash_attn_stream_k_fixup_uniformILi96ELi32ELi1EEvPfPK15HIP_vector_typeIfLj2EEiiiiiiS1_IjLj3EES5_S5_,comdat
	.globl	_ZL33flash_attn_stream_k_fixup_uniformILi96ELi32ELi1EEvPfPK15HIP_vector_typeIfLj2EEiiiiiiS1_IjLj3EES5_S5_ ; -- Begin function _ZL33flash_attn_stream_k_fixup_uniformILi96ELi32ELi1EEvPfPK15HIP_vector_typeIfLj2EEiiiiiiS1_IjLj3EES5_S5_
	.p2align	8
	.type	_ZL33flash_attn_stream_k_fixup_uniformILi96ELi32ELi1EEvPfPK15HIP_vector_typeIfLj2EEiiiiiiS1_IjLj3EES5_S5_,@function
_ZL33flash_attn_stream_k_fixup_uniformILi96ELi32ELi1EEvPfPK15HIP_vector_typeIfLj2EEiiiiiiS1_IjLj3EES5_S5_: ; @_ZL33flash_attn_stream_k_fixup_uniformILi96ELi32ELi1EEvPfPK15HIP_vector_typeIfLj2EEiiiiiiS1_IjLj3EES5_S5_
; %bb.0:
	s_load_dwordx8 s[12:19], s[4:5], 0x1c
	s_load_dwordx2 s[10:11], s[4:5], 0x10
	s_load_dwordx4 s[0:3], s[4:5], 0x3c
	s_waitcnt lgkmcnt(0)
	s_mul_hi_u32 s9, s15, s6
	s_add_i32 s9, s6, s9
	s_lshr_b32 s9, s9, s16
	s_mul_i32 s15, s9, s17
	s_sub_i32 s16, s6, s15
	s_mul_hi_u32 s15, s16, s18
	s_add_i32 s15, s16, s15
	s_lshr_b32 s15, s15, s19
	s_mul_i32 s0, s15, s0
	s_sub_i32 s0, s16, s0
	;; [unrolled: 5-line block ×3, first 2 shown]
	s_lshl_b32 s0, s16, 5
	s_add_i32 s0, s0, s7
	s_cmp_lt_i32 s0, s10
	s_cselect_b64 s[0:1], -1, 0
	s_add_i32 s17, s17, s8
	s_cmp_lt_i32 s17, s13
	s_cselect_b64 s[2:3], -1, 0
	s_and_b64 s[0:1], s[0:1], s[2:3]
	s_andn2_b64 vcc, exec, s[0:1]
	s_cbranch_vccnz .LBB16_6
; %bb.1:
	s_load_dwordx4 s[0:3], s[4:5], 0x0
	s_mul_i32 s4, s9, s10
	s_mul_i32 s15, s15, s13
	s_add_i32 s4, s4, s7
	s_mul_i32 s5, s11, s16
	s_mul_i32 s4, s4, s11
	s_add_i32 s9, s17, s15
	s_mulk_i32 s5, 0xc00
	s_add_i32 s4, s9, s4
	s_mulk_i32 s4, 0x60
	v_or_b32_e32 v1, s5, v0
	v_add_u32_e32 v2, s4, v1
	v_ashrrev_i32_e32 v3, 31, v2
	v_lshlrev_b64 v[2:3], 2, v[2:3]
	s_waitcnt lgkmcnt(0)
	v_mov_b32_e32 v1, s1
	v_add_co_u32_e32 v2, vcc, s0, v2
	v_addc_co_u32_e32 v3, vcc, v1, v3, vcc
	global_load_dword v8, v[2:3], off
	s_add_i32 s4, s7, s8
	s_mul_i32 s7, s6, s14
	s_add_i32 s5, s7, s14
	s_lshl_b32 s0, s5, 5
	s_add_i32 s0, s4, s0
	s_sub_i32 s0, s0, 32
	s_ashr_i32 s1, s0, 31
	s_lshl_b64 s[0:1], s[0:1], 3
	s_add_u32 s0, s2, s0
	s_addc_u32 s1, s3, s1
	s_load_dword s10, s[0:1], 0x4
	s_add_i32 s8, s5, -2
	s_cmp_lt_i32 s8, s7
	s_cbranch_scc1 .LBB16_4
; %bb.2:
	s_lshl_b32 s8, s12, 7
	s_ashr_i32 s9, s8, 31
	s_lshl_b64 s[8:9], s[8:9], 2
	s_add_u32 s8, s2, s8
	s_addc_u32 s11, s3, s9
	s_load_dword s0, s[0:1], 0x0
	s_add_i32 s6, s6, 1
	s_add_i32 s9, s5, -1
	s_mul_i32 s5, s14, s6
	s_mul_i32 s1, s4, 0x60
	s_lshl_b32 s6, s5, 5
	s_mulk_i32 s5, 0xc00
	s_add_i32 s4, s4, s6
	s_lshl_b32 s6, s12, 5
	s_add_i32 s1, s1, s5
	s_add_i32 s4, s4, s6
	v_add_u32_e32 v0, s1, v0
	s_sub_i32 s4, s4, 64
	v_add_u32_e32 v0, 0xffffe800, v0
	s_waitcnt lgkmcnt(0)
	v_mov_b32_e32 v7, s10
	v_mov_b32_e32 v6, s0
	;; [unrolled: 1-line block ×3, first 2 shown]
	s_mov_b32 s6, 0x3fb8aa3b
	s_mov_b32 s10, 0xc2ce8ed0
	;; [unrolled: 1-line block ×3, first 2 shown]
	v_mov_b32_e32 v5, 0x7f800000
	s_mov_b32 s12, 0xc1a00000
.LBB16_3:                               ; =>This Inner Loop Header: Depth=1
	v_ashrrev_i32_e32 v1, 31, v0
	v_lshlrev_b64 v[10:11], 2, v[0:1]
	v_add_co_u32_e32 v10, vcc, s8, v10
	v_addc_co_u32_e32 v11, vcc, v4, v11, vcc
	global_load_dword v1, v[10:11], off
	s_ashr_i32 s5, s4, 31
	s_lshl_b64 s[0:1], s[4:5], 3
	s_add_u32 s0, s2, s0
	s_addc_u32 s1, s3, s1
	s_load_dwordx2 s[14:15], s[0:1], 0x0
	s_waitcnt vmcnt(1)
	v_mov_b32_e32 v9, v8
	v_max_f32_e32 v8, v6, v6
	v_mov_b32_e32 v10, v7
	s_add_i32 s9, s9, -1
	s_waitcnt lgkmcnt(0)
	v_max_f32_e64 v7, s14, s14
	v_max_f32_e32 v7, v8, v7
	v_sub_f32_e32 v11, s14, v7
	v_sub_f32_e32 v8, v6, v7
	v_mul_f32_e32 v12, 0x3fb8aa3b, v11
	v_mov_b32_e32 v6, v7
	v_mul_f32_e32 v7, 0x3fb8aa3b, v8
	v_fma_f32 v15, v11, s6, -v12
	v_rndne_f32_e32 v16, v12
	v_fma_f32 v13, v8, s6, -v7
	v_rndne_f32_e32 v14, v7
	v_fmac_f32_e32 v15, 0x32a5705f, v11
	v_sub_f32_e32 v12, v12, v16
	v_fmac_f32_e32 v13, 0x32a5705f, v8
	v_sub_f32_e32 v7, v7, v14
	v_add_f32_e32 v12, v12, v15
	v_cvt_i32_f32_e32 v16, v16
	v_add_f32_e32 v7, v7, v13
	v_exp_f32_e32 v12, v12
	v_cvt_i32_f32_e32 v14, v14
	v_exp_f32_e32 v7, v7
	v_cmp_ngt_f32_e32 vcc, s10, v11
	v_ldexp_f32 v12, v12, v16
	v_cmp_ngt_f32_e64 s[0:1], s10, v8
	v_ldexp_f32 v7, v7, v14
	v_cndmask_b32_e32 v12, 0, v12, vcc
	v_cmp_nlt_f32_e32 vcc, s11, v11
	v_cndmask_b32_e64 v7, 0, v7, s[0:1]
	v_cmp_nlt_f32_e64 s[0:1], s11, v8
	v_cndmask_b32_e32 v12, v5, v12, vcc
	v_cmp_le_f32_e32 vcc, s12, v11
	v_cndmask_b32_e64 v7, v5, v7, s[0:1]
	v_cmp_le_f32_e64 s[0:1], s12, v8
	v_cndmask_b32_e32 v8, 0, v12, vcc
	s_sub_i32 s4, s4, 32
	v_cndmask_b32_e64 v11, 0, v7, s[0:1]
	v_mul_f32_e32 v7, s15, v8
	v_add_u32_e32 v0, 0xfffff400, v0
	s_cmp_le_i32 s9, s7
	v_fmac_f32_e32 v7, v10, v11
	s_waitcnt vmcnt(0)
	v_mul_f32_e32 v8, v1, v8
	v_fmac_f32_e32 v8, v9, v11
	s_cbranch_scc0 .LBB16_3
	s_branch .LBB16_5
.LBB16_4:
	s_waitcnt lgkmcnt(0)
	v_mov_b32_e32 v7, s10
.LBB16_5:
	s_waitcnt vmcnt(0)
	v_div_scale_f32 v0, s[0:1], v7, v7, v8
	v_rcp_f32_e32 v1, v0
	v_div_scale_f32 v4, vcc, v8, v7, v8
	v_fma_f32 v5, -v0, v1, 1.0
	v_fmac_f32_e32 v1, v5, v1
	v_mul_f32_e32 v5, v4, v1
	v_fma_f32 v6, -v0, v5, v4
	v_fmac_f32_e32 v5, v6, v1
	v_fma_f32 v0, -v0, v5, v4
	v_div_fmas_f32 v0, v0, v1, v5
	v_div_fixup_f32 v0, v0, v7, v8
	global_store_dword v[2:3], v0, off
.LBB16_6:
	s_endpgm
	.section	.rodata,"a",@progbits
	.p2align	6, 0x0
	.amdhsa_kernel _ZL33flash_attn_stream_k_fixup_uniformILi96ELi32ELi1EEvPfPK15HIP_vector_typeIfLj2EEiiiiiiS1_IjLj3EES5_S5_
		.amdhsa_group_segment_fixed_size 0
		.amdhsa_private_segment_fixed_size 0
		.amdhsa_kernarg_size 76
		.amdhsa_user_sgpr_count 6
		.amdhsa_user_sgpr_private_segment_buffer 1
		.amdhsa_user_sgpr_dispatch_ptr 0
		.amdhsa_user_sgpr_queue_ptr 0
		.amdhsa_user_sgpr_kernarg_segment_ptr 1
		.amdhsa_user_sgpr_dispatch_id 0
		.amdhsa_user_sgpr_flat_scratch_init 0
		.amdhsa_user_sgpr_kernarg_preload_length 0
		.amdhsa_user_sgpr_kernarg_preload_offset 0
		.amdhsa_user_sgpr_private_segment_size 0
		.amdhsa_uses_dynamic_stack 0
		.amdhsa_system_sgpr_private_segment_wavefront_offset 0
		.amdhsa_system_sgpr_workgroup_id_x 1
		.amdhsa_system_sgpr_workgroup_id_y 1
		.amdhsa_system_sgpr_workgroup_id_z 1
		.amdhsa_system_sgpr_workgroup_info 0
		.amdhsa_system_vgpr_workitem_id 0
		.amdhsa_next_free_vgpr 17
		.amdhsa_next_free_sgpr 20
		.amdhsa_accum_offset 20
		.amdhsa_reserve_vcc 1
		.amdhsa_reserve_flat_scratch 0
		.amdhsa_float_round_mode_32 0
		.amdhsa_float_round_mode_16_64 0
		.amdhsa_float_denorm_mode_32 3
		.amdhsa_float_denorm_mode_16_64 3
		.amdhsa_dx10_clamp 1
		.amdhsa_ieee_mode 1
		.amdhsa_fp16_overflow 0
		.amdhsa_tg_split 0
		.amdhsa_exception_fp_ieee_invalid_op 0
		.amdhsa_exception_fp_denorm_src 0
		.amdhsa_exception_fp_ieee_div_zero 0
		.amdhsa_exception_fp_ieee_overflow 0
		.amdhsa_exception_fp_ieee_underflow 0
		.amdhsa_exception_fp_ieee_inexact 0
		.amdhsa_exception_int_div_zero 0
	.end_amdhsa_kernel
	.section	.text._ZL33flash_attn_stream_k_fixup_uniformILi96ELi32ELi1EEvPfPK15HIP_vector_typeIfLj2EEiiiiiiS1_IjLj3EES5_S5_,"axG",@progbits,_ZL33flash_attn_stream_k_fixup_uniformILi96ELi32ELi1EEvPfPK15HIP_vector_typeIfLj2EEiiiiiiS1_IjLj3EES5_S5_,comdat
.Lfunc_end16:
	.size	_ZL33flash_attn_stream_k_fixup_uniformILi96ELi32ELi1EEvPfPK15HIP_vector_typeIfLj2EEiiiiiiS1_IjLj3EES5_S5_, .Lfunc_end16-_ZL33flash_attn_stream_k_fixup_uniformILi96ELi32ELi1EEvPfPK15HIP_vector_typeIfLj2EEiiiiiiS1_IjLj3EES5_S5_
                                        ; -- End function
	.section	.AMDGPU.csdata,"",@progbits
; Kernel info:
; codeLenInByte = 836
; NumSgprs: 24
; NumVgprs: 17
; NumAgprs: 0
; TotalNumVgprs: 17
; ScratchSize: 0
; MemoryBound: 0
; FloatMode: 240
; IeeeMode: 1
; LDSByteSize: 0 bytes/workgroup (compile time only)
; SGPRBlocks: 2
; VGPRBlocks: 2
; NumSGPRsForWavesPerEU: 24
; NumVGPRsForWavesPerEU: 17
; AccumOffset: 20
; Occupancy: 8
; WaveLimiterHint : 0
; COMPUTE_PGM_RSRC2:SCRATCH_EN: 0
; COMPUTE_PGM_RSRC2:USER_SGPR: 6
; COMPUTE_PGM_RSRC2:TRAP_HANDLER: 0
; COMPUTE_PGM_RSRC2:TGID_X_EN: 1
; COMPUTE_PGM_RSRC2:TGID_Y_EN: 1
; COMPUTE_PGM_RSRC2:TGID_Z_EN: 1
; COMPUTE_PGM_RSRC2:TIDIG_COMP_CNT: 0
; COMPUTE_PGM_RSRC3_GFX90A:ACCUM_OFFSET: 4
; COMPUTE_PGM_RSRC3_GFX90A:TG_SPLIT: 0
	.section	.text._ZL33flash_attn_stream_k_fixup_generalILi96ELi32ELi1EEvPfPK15HIP_vector_typeIfLj2EEiiiiS1_IjLj3EES5_S5_S5_,"axG",@progbits,_ZL33flash_attn_stream_k_fixup_generalILi96ELi32ELi1EEvPfPK15HIP_vector_typeIfLj2EEiiiiS1_IjLj3EES5_S5_S5_,comdat
	.globl	_ZL33flash_attn_stream_k_fixup_generalILi96ELi32ELi1EEvPfPK15HIP_vector_typeIfLj2EEiiiiS1_IjLj3EES5_S5_S5_ ; -- Begin function _ZL33flash_attn_stream_k_fixup_generalILi96ELi32ELi1EEvPfPK15HIP_vector_typeIfLj2EEiiiiS1_IjLj3EES5_S5_S5_
	.p2align	8
	.type	_ZL33flash_attn_stream_k_fixup_generalILi96ELi32ELi1EEvPfPK15HIP_vector_typeIfLj2EEiiiiS1_IjLj3EES5_S5_S5_,@function
_ZL33flash_attn_stream_k_fixup_generalILi96ELi32ELi1EEvPfPK15HIP_vector_typeIfLj2EEiiiiS1_IjLj3EES5_S5_S5_: ; @_ZL33flash_attn_stream_k_fixup_generalILi96ELi32ELi1EEvPfPK15HIP_vector_typeIfLj2EEiiiiS1_IjLj3EES5_S5_S5_
; %bb.0:
	s_load_dwordx4 s[12:15], s[4:5], 0x10
	s_load_dword s9, s[4:5], 0x50
	s_mov_b32 s2, 0
	s_waitcnt lgkmcnt(0)
	s_mul_hi_i32 s3, s15, s6
	s_cmp_lg_u64 s[2:3], 0
	s_mul_i32 s2, s15, s6
	s_cbranch_scc0 .LBB17_21
; %bb.1:
	v_cvt_f32_u32_e32 v1, s9
	v_cvt_f32_ubyte0_e32 v2, 0
	s_sub_u32 s10, 0, s9
	s_subb_u32 s11, 0, 0
	v_madmk_f32 v1, v2, 0x4f800000, v1
	v_rcp_f32_e32 v1, v1
	v_mul_f32_e32 v1, 0x5f7ffffc, v1
	v_mul_f32_e32 v2, 0x2f800000, v1
	v_trunc_f32_e32 v2, v2
	v_madmk_f32 v1, v2, 0xcf800000, v1
	v_cvt_u32_f32_e32 v2, v2
	v_cvt_u32_f32_e32 v1, v1
	v_readfirstlane_b32 s16, v2
	v_readfirstlane_b32 s17, v1
	s_mul_i32 s18, s10, s16
	s_mul_hi_u32 s20, s10, s17
	s_mul_i32 s19, s11, s17
	s_add_i32 s18, s20, s18
	s_add_i32 s18, s18, s19
	s_mul_i32 s21, s10, s17
	s_mul_hi_u32 s19, s17, s18
	s_mul_i32 s20, s17, s18
	s_mul_hi_u32 s17, s17, s21
	s_add_u32 s17, s17, s20
	s_addc_u32 s19, 0, s19
	s_mul_hi_u32 s22, s16, s21
	s_mul_i32 s21, s16, s21
	s_add_u32 s17, s17, s21
	s_mul_hi_u32 s20, s16, s18
	s_addc_u32 s17, s19, s22
	s_addc_u32 s19, s20, 0
	s_mul_i32 s18, s16, s18
	s_add_u32 s17, s17, s18
	s_addc_u32 s18, 0, s19
	v_add_co_u32_e32 v1, vcc, s17, v1
	s_cmp_lg_u64 vcc, 0
	s_addc_u32 s16, s16, s18
	v_readfirstlane_b32 s18, v1
	s_mul_i32 s17, s10, s16
	s_mul_hi_u32 s19, s10, s18
	s_add_i32 s17, s19, s17
	s_mul_i32 s11, s11, s18
	s_add_i32 s17, s17, s11
	s_mul_i32 s10, s10, s18
	s_mul_hi_u32 s19, s16, s10
	s_mul_i32 s20, s16, s10
	s_mul_i32 s22, s18, s17
	s_mul_hi_u32 s10, s18, s10
	s_mul_hi_u32 s21, s18, s17
	s_add_u32 s10, s10, s22
	s_addc_u32 s18, 0, s21
	s_add_u32 s10, s10, s20
	s_mul_hi_u32 s11, s16, s17
	s_addc_u32 s10, s18, s19
	s_addc_u32 s11, s11, 0
	s_mul_i32 s17, s16, s17
	s_add_u32 s10, s10, s17
	s_addc_u32 s11, 0, s11
	v_add_co_u32_e32 v1, vcc, s10, v1
	s_cmp_lg_u64 vcc, 0
	s_addc_u32 s18, s16, s11
	s_ashr_i32 s10, s3, 31
	s_add_u32 s16, s2, s10
	s_mov_b32 s11, s10
	s_addc_u32 s17, s3, s10
	s_xor_b64 s[16:17], s[16:17], s[10:11]
	v_readfirstlane_b32 s20, v1
	s_mul_i32 s19, s16, s18
	s_mul_hi_u32 s21, s16, s20
	s_mul_hi_u32 s3, s16, s18
	s_add_u32 s19, s21, s19
	s_addc_u32 s3, 0, s3
	s_mul_hi_u32 s22, s17, s20
	s_mul_i32 s20, s17, s20
	s_add_u32 s19, s19, s20
	s_mul_hi_u32 s21, s17, s18
	s_addc_u32 s3, s3, s22
	s_addc_u32 s19, s21, 0
	s_mul_i32 s18, s17, s18
	s_add_u32 s3, s3, s18
	s_addc_u32 s18, 0, s19
	s_add_u32 s19, s3, 1
	s_addc_u32 s20, s18, 0
	s_add_u32 s21, s3, 2
	s_mul_i32 s23, s9, s18
	s_mul_hi_u32 s24, s9, s3
	s_addc_u32 s22, s18, 0
	s_add_i32 s24, s24, s23
	s_mul_i32 s23, s9, s3
	v_mov_b32_e32 v1, s23
	v_sub_co_u32_e32 v1, vcc, s16, v1
	s_cmp_lg_u64 vcc, 0
	s_subb_u32 s16, s17, s24
	v_subrev_co_u32_e32 v2, vcc, s9, v1
	s_cmp_lg_u64 vcc, 0
	s_subb_u32 s17, s16, 0
	v_readfirstlane_b32 s23, v2
	s_cmp_ge_u32 s23, s9
	s_cselect_b32 s23, -1, 0
	s_cmp_eq_u32 s17, 0
	s_cselect_b32 s17, s23, -1
	s_cmp_lg_u32 s17, 0
	s_cselect_b32 s17, s22, s20
	v_readfirstlane_b32 s20, v1
	s_cselect_b32 s19, s21, s19
	s_cmp_ge_u32 s20, s9
	s_cselect_b32 s20, -1, 0
	s_cmp_eq_u32 s16, 0
	s_cselect_b32 s16, s20, -1
	s_cmp_lg_u32 s16, 0
	s_cselect_b32 s17, s17, s18
	s_cselect_b32 s16, s19, s3
	s_xor_b64 s[16:17], s[16:17], s[10:11]
	s_sub_u32 s20, s16, s10
	s_load_dwordx4 s[16:19], s[4:5], 0x44
	s_cbranch_execnz .LBB17_3
.LBB17_2:
	v_cvt_f32_u32_e32 v1, s9
	s_sub_i32 s0, 0, s9
	v_rcp_iflag_f32_e32 v1, v1
	v_mul_f32_e32 v1, 0x4f7ffffe, v1
	v_cvt_u32_f32_e32 v1, v1
	v_readfirstlane_b32 s1, v1
	s_mul_i32 s0, s0, s1
	s_mul_hi_u32 s0, s1, s0
	s_add_i32 s1, s1, s0
	s_mul_hi_u32 s0, s2, s1
	s_mul_i32 s3, s0, s9
	s_sub_i32 s2, s2, s3
	s_add_i32 s1, s0, 1
	s_sub_i32 s3, s2, s9
	s_cmp_ge_u32 s2, s9
	s_cselect_b32 s0, s1, s0
	s_cselect_b32 s2, s3, s2
	s_add_i32 s1, s0, 1
	s_cmp_ge_u32 s2, s9
	s_cselect_b32 s20, s1, s0
.LBB17_3:
	s_add_i32 s0, s6, 1
	s_mul_hi_i32 s3, s15, s0
	s_mov_b32 s2, 0
	s_cmp_lg_u64 s[2:3], 0
	s_mul_i32 s2, s15, s0
	s_cbranch_scc0 .LBB17_22
; %bb.4:
	v_cvt_f32_u32_e32 v1, s9
	v_cvt_f32_ubyte0_e32 v2, 0
	s_sub_u32 s10, 0, s9
	s_subb_u32 s11, 0, 0
	v_madmk_f32 v1, v2, 0x4f800000, v1
	v_rcp_f32_e32 v1, v1
	v_mul_f32_e32 v1, 0x5f7ffffc, v1
	v_mul_f32_e32 v2, 0x2f800000, v1
	v_trunc_f32_e32 v2, v2
	v_madmk_f32 v1, v2, 0xcf800000, v1
	v_cvt_u32_f32_e32 v2, v2
	v_cvt_u32_f32_e32 v1, v1
	s_waitcnt lgkmcnt(0)
	v_readfirstlane_b32 s19, v2
	v_readfirstlane_b32 s21, v1
	s_mul_i32 s22, s10, s19
	s_mul_hi_u32 s24, s10, s21
	s_mul_i32 s23, s11, s21
	s_add_i32 s22, s24, s22
	s_add_i32 s22, s22, s23
	s_mul_i32 s25, s10, s21
	s_mul_hi_u32 s23, s21, s22
	s_mul_i32 s24, s21, s22
	s_mul_hi_u32 s21, s21, s25
	s_add_u32 s21, s21, s24
	s_addc_u32 s23, 0, s23
	s_mul_hi_u32 s26, s19, s25
	s_mul_i32 s25, s19, s25
	s_add_u32 s21, s21, s25
	s_mul_hi_u32 s24, s19, s22
	s_addc_u32 s21, s23, s26
	s_addc_u32 s23, s24, 0
	s_mul_i32 s22, s19, s22
	s_add_u32 s21, s21, s22
	s_addc_u32 s22, 0, s23
	v_add_co_u32_e32 v1, vcc, s21, v1
	s_cmp_lg_u64 vcc, 0
	s_addc_u32 s19, s19, s22
	v_readfirstlane_b32 s22, v1
	s_mul_i32 s21, s10, s19
	s_mul_hi_u32 s23, s10, s22
	s_add_i32 s21, s23, s21
	s_mul_i32 s11, s11, s22
	s_add_i32 s21, s21, s11
	s_mul_i32 s10, s10, s22
	s_mul_hi_u32 s23, s19, s10
	s_mul_i32 s24, s19, s10
	s_mul_i32 s26, s22, s21
	s_mul_hi_u32 s10, s22, s10
	s_mul_hi_u32 s25, s22, s21
	s_add_u32 s10, s10, s26
	s_addc_u32 s22, 0, s25
	s_add_u32 s10, s10, s24
	s_mul_hi_u32 s11, s19, s21
	s_addc_u32 s10, s22, s23
	s_addc_u32 s11, s11, 0
	s_mul_i32 s21, s19, s21
	s_add_u32 s10, s10, s21
	s_addc_u32 s11, 0, s11
	v_add_co_u32_e32 v1, vcc, s10, v1
	s_cmp_lg_u64 vcc, 0
	s_addc_u32 s19, s19, s11
	s_ashr_i32 s10, s3, 31
	s_add_u32 s22, s2, s10
	s_mov_b32 s11, s10
	s_addc_u32 s23, s3, s10
	s_xor_b64 s[22:23], s[22:23], s[10:11]
	v_readfirstlane_b32 s21, v1
	s_mul_i32 s11, s22, s19
	s_mul_hi_u32 s24, s22, s21
	s_mul_hi_u32 s3, s22, s19
	s_add_u32 s11, s24, s11
	s_addc_u32 s3, 0, s3
	s_mul_hi_u32 s25, s23, s21
	s_mul_i32 s21, s23, s21
	s_add_u32 s11, s11, s21
	s_mul_hi_u32 s24, s23, s19
	s_addc_u32 s3, s3, s25
	s_addc_u32 s11, s24, 0
	s_mul_i32 s19, s23, s19
	s_add_u32 s3, s3, s19
	s_addc_u32 s11, 0, s11
	s_mul_i32 s11, s9, s11
	s_mul_hi_u32 s24, s9, s3
	s_add_i32 s24, s24, s11
	s_mul_i32 s11, s9, s3
	v_mov_b32_e32 v1, s11
	s_add_u32 s19, s3, 1
	s_add_u32 s21, s3, 2
	v_sub_co_u32_e32 v1, vcc, s22, v1
	s_cmp_lg_u64 vcc, 0
	s_subb_u32 s11, s23, s24
	v_subrev_co_u32_e32 v2, vcc, s9, v1
	s_cmp_lg_u64 vcc, 0
	s_subb_u32 s22, s11, 0
	v_cmp_le_u32_e32 vcc, s9, v2
	s_cmp_eq_u32 s22, 0
	v_cndmask_b32_e64 v2, 0, -1, vcc
	s_cselect_b64 vcc, -1, 0
	v_cndmask_b32_e32 v2, -1, v2, vcc
	v_mov_b32_e32 v3, s19
	v_mov_b32_e32 v4, s21
	v_cmp_ne_u32_e32 vcc, 0, v2
	v_cndmask_b32_e32 v2, v3, v4, vcc
	v_cmp_le_u32_e32 vcc, s9, v1
	s_cmp_eq_u32 s11, 0
	v_cndmask_b32_e64 v1, 0, -1, vcc
	s_cselect_b64 vcc, -1, 0
	v_cndmask_b32_e32 v1, -1, v1, vcc
	v_mov_b32_e32 v3, s3
	v_cmp_ne_u32_e32 vcc, 0, v1
	v_cndmask_b32_e32 v1, v3, v2, vcc
	v_xor_b32_e32 v1, s10, v1
	v_subrev_co_u32_e32 v2, vcc, s10, v1
	s_cbranch_execnz .LBB17_6
.LBB17_5:
	v_cvt_f32_u32_e32 v1, s9
	s_sub_i32 s0, 0, s9
	s_mov_b32 s1, 0
	v_rcp_iflag_f32_e32 v1, v1
	v_mul_f32_e32 v1, 0x4f7ffffe, v1
	v_cvt_u32_f32_e32 v1, v1
	v_readfirstlane_b32 s3, v1
	s_mul_i32 s0, s0, s3
	s_mul_hi_u32 s0, s3, s0
	s_add_i32 s3, s3, s0
	s_mul_hi_u32 s0, s2, s3
	s_mul_i32 s10, s0, s9
	s_sub_i32 s2, s2, s10
	s_add_i32 s3, s0, 1
	s_sub_i32 s10, s2, s9
	s_cmp_ge_u32 s2, s9
	s_cselect_b32 s0, s3, s0
	s_cselect_b32 s2, s10, s2
	s_add_i32 s3, s0, 1
	s_cmp_ge_u32 s2, s9
	s_cselect_b32 s0, s3, s0
	v_pk_mov_b32 v[2:3], s[0:1], s[0:1] op_sel:[0,1]
.LBB17_6:
	s_waitcnt lgkmcnt(0)
	s_mul_hi_u32 s0, s20, s16
	s_add_i32 s0, s0, s20
	v_mul_hi_u32 v1, v2, s16
	s_lshr_b32 s19, s0, s17
	v_add_u32_e32 v1, v1, v2
	s_mul_i32 s0, s19, s18
	v_lshrrev_b32_e32 v1, s17, v1
	s_cmp_eq_u32 s0, s20
	v_cmp_eq_u32_e64 s[0:1], s19, v1
	v_mul_lo_u32 v1, v1, s18
	v_cmp_eq_u32_e32 vcc, s20, v2
	s_cselect_b64 s[10:11], -1, 0
	v_cmp_ne_u32_e64 s[2:3], v1, v2
	s_and_b64 s[0:1], s[0:1], s[2:3]
	s_or_b64 s[2:3], vcc, s[10:11]
	s_or_b64 s[0:1], s[2:3], s[0:1]
	s_and_b64 vcc, exec, s[0:1]
	s_cbranch_vccnz .LBB17_24
; %bb.7:
	s_load_dwordx8 s[24:31], s[4:5], 0x20
	s_load_dword s0, s[4:5], 0x40
	s_mov_b32 s10, 0
	s_waitcnt lgkmcnt(0)
	s_mul_hi_u32 s1, s20, s24
	s_add_i32 s1, s1, s20
	s_lshr_b32 s11, s1, s25
	s_mul_i32 s1, s11, s26
	s_sub_i32 s1, s20, s1
	s_mul_hi_u32 s2, s1, s27
	s_add_i32 s2, s1, s2
	s_lshr_b32 s23, s2, s28
	s_mul_i32 s2, s23, s29
	s_sub_i32 s1, s1, s2
	;; [unrolled: 5-line block ×3, first 2 shown]
	s_mul_hi_u32 s1, s0, s16
	s_add_i32 s0, s0, s1
	s_lshr_b32 s24, s0, s17
	s_lshl_b32 s0, s24, 5
	s_add_i32 s0, s0, s7
	s_cmp_lt_i32 s0, s12
	s_cselect_b64 s[0:1], -1, 0
	s_add_i32 s25, s25, s8
	s_cmp_lt_i32 s25, s14
	s_cselect_b64 s[2:3], -1, 0
	s_and_b64 s[0:1], s[0:1], s[2:3]
	s_andn2_b64 vcc, exec, s[0:1]
	s_cbranch_vccnz .LBB17_24
; %bb.8:
	s_load_dwordx4 s[0:3], s[4:5], 0x0
	s_lshl_b32 s4, s9, 7
	s_mov_b32 s5, s10
	s_add_i32 s8, s7, s8
	s_lshl_b64 s[4:5], s[4:5], 2
	s_waitcnt lgkmcnt(0)
	s_add_u32 s21, s2, s4
	s_mul_i32 s4, s11, s12
	s_addc_u32 s22, s3, s5
	s_mul_i32 s23, s23, s14
	s_add_i32 s4, s4, s7
	s_mul_i32 s4, s4, s13
	s_add_i32 s7, s25, s23
	;; [unrolled: 2-line block ×3, first 2 shown]
	s_mulk_i32 s5, 0xc00
	s_mulk_i32 s4, 0x60
	s_add_i32 s5, s5, s4
	v_add_u32_e32 v2, s5, v0
	v_ashrrev_i32_e32 v3, 31, v2
	v_lshlrev_b64 v[2:3], 2, v[2:3]
	v_mov_b32_e32 v1, s1
	v_add_co_u32_e32 v2, vcc, s0, v2
	v_addc_co_u32_e32 v3, vcc, v1, v3, vcc
	global_load_dword v5, v[2:3], off
	s_mul_i32 s4, s8, 0x60
	v_add_u32_e32 v4, s4, v0
	v_cvt_f32_u32_e32 v0, s9
	v_cvt_f32_ubyte0_e32 v1, 0
	s_lshl_b32 s0, s6, 5
	s_add_i32 s0, s0, s8
	v_mac_f32_e32 v0, 0x4f800000, v1
	v_rcp_f32_e32 v0, v0
	v_cvt_f32_u32_e32 v1, s9
	s_ashr_i32 s1, s0, 31
	s_lshl_b64 s[0:1], s[0:1], 3
	v_mul_f32_e32 v0, 0x5f7ffffc, v0
	v_rcp_iflag_f32_e32 v1, v1
	s_add_u32 s0, s2, s0
	v_mul_f32_e32 v9, 0x2f800000, v0
	s_addc_u32 s1, s3, s1
	v_trunc_f32_e32 v10, v9
	s_load_dwordx2 s[0:1], s[0:1], 0x0
	v_mac_f32_e32 v0, 0xcf800000, v10
	v_cvt_u32_f32_e32 v9, v0
	v_mul_f32_e32 v0, 0x4f7ffffe, v1
	v_cvt_u32_f32_e32 v10, v10
	v_cvt_u32_f32_e32 v11, v0
	s_add_i32 s12, s6, -1
	s_waitcnt lgkmcnt(0)
	v_mov_b32_e32 v6, s1
	v_mov_b32_e32 v7, s0
	;; [unrolled: 1-line block ×3, first 2 shown]
	s_mov_b32 s6, 0x3fb8aa3b
	s_mov_b32 s7, 0xc2ce8ed0
	;; [unrolled: 1-line block ×4, first 2 shown]
	v_mov_b32_e32 v12, 0x7f800000
	s_mul_hi_i32 s11, s12, s15
	s_cmp_lg_u64 s[10:11], 0
	s_mul_i32 s4, s12, s15
	s_cbranch_scc0 .LBB17_15
.LBB17_9:
	s_sub_u32 s0, 0, s9
	v_readfirstlane_b32 s5, v9
	v_readfirstlane_b32 s24, v10
	s_subb_u32 s1, 0, 0
	s_mul_hi_u32 s23, s0, s5
	s_mul_i32 s25, s0, s24
	s_mul_i32 s20, s1, s5
	s_add_i32 s23, s23, s25
	s_add_i32 s23, s23, s20
	s_mul_i32 s26, s0, s5
	s_mul_hi_u32 s20, s5, s23
	s_mul_i32 s25, s5, s23
	s_mul_hi_u32 s5, s5, s26
	s_add_u32 s5, s5, s25
	s_addc_u32 s20, 0, s20
	s_mul_hi_u32 s27, s24, s26
	s_mul_i32 s26, s24, s26
	s_add_u32 s5, s5, s26
	s_mul_hi_u32 s25, s24, s23
	s_addc_u32 s5, s20, s27
	s_addc_u32 s20, s25, 0
	s_mul_i32 s23, s24, s23
	s_add_u32 s5, s5, s23
	s_addc_u32 s20, 0, s20
	v_add_co_u32_e32 v0, vcc, s5, v9
	s_cmp_lg_u64 vcc, 0
	s_addc_u32 s5, s24, s20
	v_readfirstlane_b32 s23, v0
	s_mul_i32 s20, s0, s5
	s_mul_hi_u32 s24, s0, s23
	s_add_i32 s20, s24, s20
	s_mul_i32 s1, s1, s23
	s_add_i32 s20, s20, s1
	s_mul_i32 s0, s0, s23
	s_mul_hi_u32 s24, s5, s0
	s_mul_i32 s25, s5, s0
	s_mul_i32 s27, s23, s20
	s_mul_hi_u32 s0, s23, s0
	s_mul_hi_u32 s26, s23, s20
	s_add_u32 s0, s0, s27
	s_addc_u32 s23, 0, s26
	s_add_u32 s0, s0, s25
	s_mul_hi_u32 s1, s5, s20
	s_addc_u32 s0, s23, s24
	s_addc_u32 s1, s1, 0
	s_mul_i32 s20, s5, s20
	s_add_u32 s0, s0, s20
	s_addc_u32 s1, 0, s1
	v_add_co_u32_e32 v0, vcc, s0, v0
	s_cmp_lg_u64 vcc, 0
	s_addc_u32 s5, s5, s1
	s_ashr_i32 s0, s11, 31
	s_add_u32 s24, s4, s0
	s_mov_b32 s1, s0
	s_addc_u32 s25, s11, s0
	s_xor_b64 s[24:25], s[24:25], s[0:1]
	v_readfirstlane_b32 s20, v0
	s_mul_i32 s11, s24, s5
	s_mul_hi_u32 s23, s24, s20
	s_mul_hi_u32 s1, s24, s5
	s_add_u32 s11, s23, s11
	s_addc_u32 s1, 0, s1
	s_mul_hi_u32 s26, s25, s20
	s_mul_i32 s20, s25, s20
	s_add_u32 s11, s11, s20
	s_mul_hi_u32 s23, s25, s5
	s_addc_u32 s1, s1, s26
	s_addc_u32 s11, s23, 0
	s_mul_i32 s5, s25, s5
	s_add_u32 s1, s1, s5
	s_addc_u32 s5, 0, s11
	s_mul_i32 s5, s9, s5
	s_mul_hi_u32 s23, s9, s1
	s_add_i32 s23, s23, s5
	s_mul_i32 s5, s9, s1
	v_mov_b32_e32 v0, s5
	s_add_u32 s11, s1, 1
	s_add_u32 s20, s1, 2
	v_sub_co_u32_e32 v0, vcc, s24, v0
	s_cmp_lg_u64 vcc, 0
	s_subb_u32 s5, s25, s23
	v_subrev_co_u32_e32 v1, vcc, s9, v0
	s_cmp_lg_u64 vcc, 0
	s_subb_u32 s23, s5, 0
	v_cmp_le_u32_e32 vcc, s9, v1
	s_cmp_eq_u32 s23, 0
	v_cndmask_b32_e64 v1, 0, -1, vcc
	s_cselect_b64 vcc, -1, 0
	v_cndmask_b32_e32 v1, -1, v1, vcc
	v_mov_b32_e32 v13, s11
	v_mov_b32_e32 v14, s20
	v_cmp_ne_u32_e32 vcc, 0, v1
	v_cndmask_b32_e32 v1, v13, v14, vcc
	v_cmp_le_u32_e32 vcc, s9, v0
	s_cmp_eq_u32 s5, 0
	v_cndmask_b32_e64 v0, 0, -1, vcc
	s_cselect_b64 vcc, -1, 0
	v_cndmask_b32_e32 v0, -1, v0, vcc
	v_mov_b32_e32 v13, s1
	v_cmp_ne_u32_e32 vcc, 0, v0
	v_cndmask_b32_e32 v0, v13, v1, vcc
	v_xor_b32_e32 v0, s0, v0
	v_subrev_co_u32_e32 v0, vcc, s0, v0
	s_cbranch_execnz .LBB17_11
.LBB17_10:
	s_sub_i32 s0, 0, s9
	v_mul_lo_u32 v0, s0, v11
	v_mul_hi_u32 v0, v11, v0
	v_add_u32_e32 v0, v11, v0
	v_mul_hi_u32 v0, s4, v0
	v_mul_lo_u32 v13, v0, s9
	v_sub_u32_e32 v13, s4, v13
	v_add_u32_e32 v1, 1, v0
	v_subrev_u32_e32 v14, s9, v13
	v_cmp_le_u32_e32 vcc, s9, v13
	v_cndmask_b32_e32 v13, v13, v14, vcc
	v_cndmask_b32_e32 v0, v0, v1, vcc
	v_add_u32_e32 v1, 1, v0
	v_cmp_le_u32_e32 vcc, s9, v13
	v_cndmask_b32_e32 v0, v0, v1, vcc
.LBB17_11:
	v_cmp_ne_u32_e32 vcc, v8, v0
	s_cbranch_vccz .LBB17_14
; %bb.12:
	s_add_i32 s0, s12, s9
	s_lshl_b32 s0, s0, 5
	v_mul_hi_u32 v1, v0, s16
	s_add_i32 s0, s0, s8
	s_mov_b32 s1, s10
	v_add_u32_e32 v1, v1, v0
	s_lshl_b64 s[0:1], s[0:1], 3
	v_lshrrev_b32_e32 v1, s17, v1
	s_add_u32 s4, s2, s0
	v_mul_lo_u32 v13, v1, s18
	s_addc_u32 s5, s3, s1
	v_cmp_eq_u32_e32 vcc, v13, v0
	v_cmp_gt_u32_e64 s[0:1], s19, v1
	s_or_b64 s[0:1], s[0:1], vcc
	s_and_b64 vcc, exec, s[0:1]
	s_cbranch_vccnz .LBB17_16
; %bb.13:
	s_add_i32 s11, s12, -1
	s_mov_b64 s[0:1], 0
	s_branch .LBB17_17
.LBB17_14:
                                        ; implicit-def: $sgpr0_sgpr1
                                        ; implicit-def: $vgpr14
                                        ; implicit-def: $vgpr1
                                        ; implicit-def: $vgpr13
                                        ; implicit-def: $sgpr11
                                        ; implicit-def: $vgpr0
	s_branch .LBB17_18
.LBB17_15:
                                        ; implicit-def: $vgpr0_vgpr1
	s_branch .LBB17_10
.LBB17_16:
	s_mov_b64 s[0:1], -1
	s_mov_b32 s11, s12
	v_mov_b32_e32 v0, v8
.LBB17_17:
	s_mul_i32 s20, s12, 0xc00
	v_add_u32_e32 v14, s20, v4
	v_ashrrev_i32_e32 v15, 31, v14
	v_lshlrev_b64 v[14:15], 2, v[14:15]
	v_mov_b32_e32 v1, s22
	v_add_co_u32_e32 v14, vcc, s21, v14
	v_addc_co_u32_e32 v15, vcc, v1, v15, vcc
	global_load_dword v14, v[14:15], off
	s_load_dwordx2 s[4:5], s[4:5], 0x0
	v_max_f32_e32 v1, v7, v7
	s_waitcnt lgkmcnt(0)
	v_max_f32_e64 v13, s4, s4
	v_max_f32_e32 v1, v1, v13
	v_sub_f32_e32 v13, v7, v1
	v_sub_f32_e32 v15, s4, v1
	v_mul_f32_e32 v16, 0x3fb8aa3b, v13
	v_mul_f32_e32 v17, 0x3fb8aa3b, v15
	v_fma_f32 v18, v13, s6, -v16
	v_rndne_f32_e32 v19, v16
	v_fma_f32 v20, v15, s6, -v17
	v_rndne_f32_e32 v21, v17
	v_fmac_f32_e32 v18, 0x32a5705f, v13
	v_sub_f32_e32 v16, v16, v19
	v_fmac_f32_e32 v20, 0x32a5705f, v15
	v_sub_f32_e32 v17, v17, v21
	v_add_f32_e32 v16, v16, v18
	v_cvt_i32_f32_e32 v19, v19
	v_add_f32_e32 v17, v17, v20
	v_exp_f32_e32 v16, v16
	v_cvt_i32_f32_e32 v21, v21
	v_exp_f32_e32 v17, v17
	v_cmp_ngt_f32_e32 vcc, s7, v13
	v_ldexp_f32 v16, v16, v19
	v_cndmask_b32_e32 v16, 0, v16, vcc
	v_ldexp_f32 v17, v17, v21
	v_cmp_ngt_f32_e32 vcc, s7, v15
	v_cndmask_b32_e32 v17, 0, v17, vcc
	v_cmp_nlt_f32_e32 vcc, s13, v13
	v_cndmask_b32_e32 v16, v12, v16, vcc
	v_cmp_nlt_f32_e32 vcc, s13, v15
	v_cndmask_b32_e32 v17, v12, v17, vcc
	v_cmp_le_f32_e32 vcc, s14, v13
	v_cndmask_b32_e32 v16, 0, v16, vcc
	v_cmp_le_f32_e32 vcc, s14, v15
	v_cndmask_b32_e32 v15, 0, v17, vcc
	v_mul_f32_e32 v13, s5, v15
	v_fmac_f32_e32 v13, v6, v16
	s_waitcnt vmcnt(0)
	v_mul_f32_e32 v14, v14, v15
	v_fmac_f32_e32 v14, v5, v16
	s_cbranch_execnz .LBB17_19
.LBB17_18:
	s_add_i32 s11, s12, -1
	s_mov_b64 s[0:1], 0
	v_mov_b32_e32 v0, v8
	v_mov_b32_e32 v13, v6
	;; [unrolled: 1-line block ×3, first 2 shown]
	s_waitcnt vmcnt(0)
	v_mov_b32_e32 v14, v5
.LBB17_19:
	s_andn2_b64 vcc, exec, s[0:1]
	s_cbranch_vccz .LBB17_23
; %bb.20:
	v_mov_b32_e32 v8, v0
	s_mov_b32 s12, s11
	v_mov_b32_e32 v6, v13
	v_mov_b32_e32 v7, v1
	s_waitcnt vmcnt(0)
	v_mov_b32_e32 v5, v14
	s_mul_hi_i32 s11, s12, s15
	s_cmp_lg_u64 s[10:11], 0
	s_mul_i32 s4, s12, s15
	s_cbranch_scc1 .LBB17_9
	s_branch .LBB17_15
.LBB17_21:
                                        ; implicit-def: $sgpr20_sgpr21
	s_load_dwordx4 s[16:19], s[4:5], 0x44
	s_branch .LBB17_2
.LBB17_22:
                                        ; implicit-def: $vgpr2_vgpr3
	s_branch .LBB17_5
.LBB17_23:
	v_div_scale_f32 v0, s[0:1], v13, v13, v14
	v_rcp_f32_e32 v1, v0
	v_div_scale_f32 v4, vcc, v14, v13, v14
	s_waitcnt vmcnt(0)
	v_fma_f32 v5, -v0, v1, 1.0
	v_fmac_f32_e32 v1, v5, v1
	v_mul_f32_e32 v5, v4, v1
	v_fma_f32 v6, -v0, v5, v4
	v_fmac_f32_e32 v5, v6, v1
	v_fma_f32 v0, -v0, v5, v4
	v_div_fmas_f32 v0, v0, v1, v5
	v_div_fixup_f32 v0, v0, v13, v14
	global_store_dword v[2:3], v0, off
.LBB17_24:
	s_endpgm
	.section	.rodata,"a",@progbits
	.p2align	6, 0x0
	.amdhsa_kernel _ZL33flash_attn_stream_k_fixup_generalILi96ELi32ELi1EEvPfPK15HIP_vector_typeIfLj2EEiiiiS1_IjLj3EES5_S5_S5_
		.amdhsa_group_segment_fixed_size 0
		.amdhsa_private_segment_fixed_size 0
		.amdhsa_kernarg_size 336
		.amdhsa_user_sgpr_count 6
		.amdhsa_user_sgpr_private_segment_buffer 1
		.amdhsa_user_sgpr_dispatch_ptr 0
		.amdhsa_user_sgpr_queue_ptr 0
		.amdhsa_user_sgpr_kernarg_segment_ptr 1
		.amdhsa_user_sgpr_dispatch_id 0
		.amdhsa_user_sgpr_flat_scratch_init 0
		.amdhsa_user_sgpr_kernarg_preload_length 0
		.amdhsa_user_sgpr_kernarg_preload_offset 0
		.amdhsa_user_sgpr_private_segment_size 0
		.amdhsa_uses_dynamic_stack 0
		.amdhsa_system_sgpr_private_segment_wavefront_offset 0
		.amdhsa_system_sgpr_workgroup_id_x 1
		.amdhsa_system_sgpr_workgroup_id_y 1
		.amdhsa_system_sgpr_workgroup_id_z 1
		.amdhsa_system_sgpr_workgroup_info 0
		.amdhsa_system_vgpr_workitem_id 0
		.amdhsa_next_free_vgpr 22
		.amdhsa_next_free_sgpr 32
		.amdhsa_accum_offset 24
		.amdhsa_reserve_vcc 1
		.amdhsa_reserve_flat_scratch 0
		.amdhsa_float_round_mode_32 0
		.amdhsa_float_round_mode_16_64 0
		.amdhsa_float_denorm_mode_32 3
		.amdhsa_float_denorm_mode_16_64 3
		.amdhsa_dx10_clamp 1
		.amdhsa_ieee_mode 1
		.amdhsa_fp16_overflow 0
		.amdhsa_tg_split 0
		.amdhsa_exception_fp_ieee_invalid_op 0
		.amdhsa_exception_fp_denorm_src 0
		.amdhsa_exception_fp_ieee_div_zero 0
		.amdhsa_exception_fp_ieee_overflow 0
		.amdhsa_exception_fp_ieee_underflow 0
		.amdhsa_exception_fp_ieee_inexact 0
		.amdhsa_exception_int_div_zero 0
	.end_amdhsa_kernel
	.section	.text._ZL33flash_attn_stream_k_fixup_generalILi96ELi32ELi1EEvPfPK15HIP_vector_typeIfLj2EEiiiiS1_IjLj3EES5_S5_S5_,"axG",@progbits,_ZL33flash_attn_stream_k_fixup_generalILi96ELi32ELi1EEvPfPK15HIP_vector_typeIfLj2EEiiiiS1_IjLj3EES5_S5_S5_,comdat
.Lfunc_end17:
	.size	_ZL33flash_attn_stream_k_fixup_generalILi96ELi32ELi1EEvPfPK15HIP_vector_typeIfLj2EEiiiiS1_IjLj3EES5_S5_S5_, .Lfunc_end17-_ZL33flash_attn_stream_k_fixup_generalILi96ELi32ELi1EEvPfPK15HIP_vector_typeIfLj2EEiiiiS1_IjLj3EES5_S5_S5_
                                        ; -- End function
	.section	.AMDGPU.csdata,"",@progbits
; Kernel info:
; codeLenInByte = 2820
; NumSgprs: 36
; NumVgprs: 22
; NumAgprs: 0
; TotalNumVgprs: 22
; ScratchSize: 0
; MemoryBound: 0
; FloatMode: 240
; IeeeMode: 1
; LDSByteSize: 0 bytes/workgroup (compile time only)
; SGPRBlocks: 4
; VGPRBlocks: 2
; NumSGPRsForWavesPerEU: 36
; NumVGPRsForWavesPerEU: 22
; AccumOffset: 24
; Occupancy: 8
; WaveLimiterHint : 0
; COMPUTE_PGM_RSRC2:SCRATCH_EN: 0
; COMPUTE_PGM_RSRC2:USER_SGPR: 6
; COMPUTE_PGM_RSRC2:TRAP_HANDLER: 0
; COMPUTE_PGM_RSRC2:TGID_X_EN: 1
; COMPUTE_PGM_RSRC2:TGID_Y_EN: 1
; COMPUTE_PGM_RSRC2:TGID_Z_EN: 1
; COMPUTE_PGM_RSRC2:TIDIG_COMP_CNT: 0
; COMPUTE_PGM_RSRC3_GFX90A:ACCUM_OFFSET: 5
; COMPUTE_PGM_RSRC3_GFX90A:TG_SPLIT: 0
	.section	.text._ZL26flash_attn_combine_resultsILi96EEvPKfPK15HIP_vector_typeIfLj2EEPfi,"axG",@progbits,_ZL26flash_attn_combine_resultsILi96EEvPKfPK15HIP_vector_typeIfLj2EEPfi,comdat
	.globl	_ZL26flash_attn_combine_resultsILi96EEvPKfPK15HIP_vector_typeIfLj2EEPfi ; -- Begin function _ZL26flash_attn_combine_resultsILi96EEvPKfPK15HIP_vector_typeIfLj2EEPfi
	.p2align	8
	.type	_ZL26flash_attn_combine_resultsILi96EEvPKfPK15HIP_vector_typeIfLj2EEPfi,@function
_ZL26flash_attn_combine_resultsILi96EEvPKfPK15HIP_vector_typeIfLj2EEPfi: ; @_ZL26flash_attn_combine_resultsILi96EEvPKfPK15HIP_vector_typeIfLj2EEPfi
; %bb.0:
	s_load_dwordx2 s[0:1], s[4:5], 0x20
	s_load_dword s21, s[4:5], 0x18
	s_load_dwordx4 s[16:19], s[4:5], 0x0
	s_load_dwordx2 s[14:15], s[4:5], 0x10
	s_waitcnt lgkmcnt(0)
	s_mul_i32 s0, s0, s8
	s_add_i32 s0, s0, s6
	s_mul_i32 s20, s0, s1
	s_add_i32 s20, s20, s7
	s_lshl_b32 s10, s21, 1
	s_mul_i32 s0, s20, s21
	v_cmp_gt_i32_e32 vcc, s10, v0
	s_and_saveexec_b64 s[2:3], vcc
	s_cbranch_execz .LBB18_13
; %bb.1:
	v_xad_u32 v1, v0, -1, s10
	s_movk_i32 s4, 0x5f
	s_ashr_i32 s1, s0, 31
	v_cmp_lt_u32_e32 vcc, s4, v1
	s_mov_b64 s[6:7], -1
	v_mov_b32_e32 v2, v0
	s_and_saveexec_b64 s[4:5], vcc
	s_cbranch_execz .LBB18_10
; %bb.2:
	s_mov_b32 s6, 0xaaaaaaab
	v_mul_hi_u32 v1, v1, s6
	v_lshrrev_b32_e32 v6, 6, v1
	s_lshl_b64 s[6:7], s[0:1], 3
	v_add_u32_e32 v2, -1, v6
	s_add_u32 s11, s18, s6
	v_add_u32_e32 v1, 0x60, v0
	v_lshrrev_b32_e32 v3, 1, v2
	s_addc_u32 s12, s19, s7
	v_add_u32_e32 v7, 1, v3
	v_cmp_lt_u32_e32 vcc, 13, v2
	v_mov_b32_e32 v4, 0
	v_pk_mov_b32 v[2:3], v[0:1], v[0:1] op_sel:[0,1]
	s_and_saveexec_b64 s[6:7], vcc
	s_cbranch_execz .LBB18_6
; %bb.3:
	v_and_b32_e32 v8, -8, v7
	s_mov_b32 s13, 0
	v_lshl_add_u32 v9, v0, 2, 0
	s_mov_b64 s[8:9], 0
	v_mov_b32_e32 v10, s12
	v_mov_b32_e32 v5, 0
	v_pk_mov_b32 v[2:3], v[0:1], v[0:1] op_sel:[0,1]
.LBB18_4:                               ; =>This Inner Loop Header: Depth=1
	v_mov_b32_e32 v4, v2
	v_lshlrev_b64 v[26:27], 2, v[4:5]
	v_add_u32_e32 v12, 0xc0, v3
	v_mov_b32_e32 v13, v5
	v_add_co_u32_e32 v26, vcc, s11, v26
	v_lshlrev_b64 v[12:13], 2, v[12:13]
	v_addc_co_u32_e32 v27, vcc, v10, v27, vcc
	v_add_u32_e32 v14, 0x180, v3
	v_mov_b32_e32 v15, v5
	v_add_co_u32_e32 v12, vcc, s11, v12
	v_lshlrev_b64 v[14:15], 2, v[14:15]
	v_addc_co_u32_e32 v13, vcc, v10, v13, vcc
	;; [unrolled: 5-line block ×7, first 2 shown]
	v_mov_b32_e32 v4, v3
	v_add_co_u32_e32 v24, vcc, s11, v24
	v_lshlrev_b64 v[28:29], 2, v[4:5]
	v_addc_co_u32_e32 v25, vcc, v10, v25, vcc
	v_add_u32_e32 v4, 0xc0, v2
	v_add_co_u32_e32 v28, vcc, s11, v28
	v_addc_co_u32_e32 v29, vcc, v10, v29, vcc
	global_load_dword v1, v[26:27], off
	v_lshlrev_b64 v[26:27], 2, v[4:5]
	v_add_u32_e32 v4, 0x180, v2
	v_add_co_u32_e32 v26, vcc, s11, v26
	v_addc_co_u32_e32 v27, vcc, v10, v27, vcc
	v_lshlrev_b64 v[30:31], 2, v[4:5]
	v_add_u32_e32 v4, 0x240, v2
	global_load_dword v11, v[28:29], off
	global_load_dword v32, v[26:27], off
	;; [unrolled: 1-line block ×3, first 2 shown]
	v_add_co_u32_e32 v12, vcc, s11, v30
	v_addc_co_u32_e32 v13, vcc, v10, v31, vcc
	v_lshlrev_b64 v[26:27], 2, v[4:5]
	v_add_u32_e32 v4, 0x300, v2
	v_add_co_u32_e32 v26, vcc, s11, v26
	v_addc_co_u32_e32 v27, vcc, v10, v27, vcc
	v_lshlrev_b64 v[28:29], 2, v[4:5]
	v_add_u32_e32 v4, 0x3c0, v2
	global_load_dword v30, v[12:13], off
	global_load_dword v31, v[14:15], off
	;; [unrolled: 1-line block ×4, first 2 shown]
	v_add_co_u32_e32 v12, vcc, s11, v28
	v_addc_co_u32_e32 v13, vcc, v10, v29, vcc
	v_lshlrev_b64 v[14:15], 2, v[4:5]
	v_add_u32_e32 v4, 0x480, v2
	v_add_co_u32_e32 v14, vcc, s11, v14
	v_addc_co_u32_e32 v15, vcc, v10, v15, vcc
	v_lshlrev_b64 v[16:17], 2, v[4:5]
	v_add_u32_e32 v4, 0x540, v2
	global_load_dword v26, v[12:13], off
	global_load_dword v27, v[18:19], off
	;; [unrolled: 1-line block ×4, first 2 shown]
	v_add_co_u32_e32 v12, vcc, s11, v16
	v_addc_co_u32_e32 v13, vcc, v10, v17, vcc
	v_lshlrev_b64 v[14:15], 2, v[4:5]
	v_add_co_u32_e32 v14, vcc, s11, v14
	v_addc_co_u32_e32 v15, vcc, v10, v15, vcc
	global_load_dword v16, v[12:13], off
	global_load_dword v17, v[22:23], off
	;; [unrolled: 1-line block ×4, first 2 shown]
	v_add_u32_e32 v8, -8, v8
	s_add_i32 s13, s13, 16
	v_cmp_eq_u32_e32 vcc, 0, v8
	v_add_u32_e32 v12, 0x200, v9
	v_add_u32_e32 v13, 0x400, v9
	v_add_u32_e32 v14, 0x800, v9
	v_add_u32_e32 v15, 0xc00, v9
	v_add_u32_e32 v20, 0xe00, v9
	v_add_u32_e32 v21, 0x1000, v9
	v_add_u32_e32 v22, 0x1400, v9
	v_add_u32_e32 v3, 0x600, v3
	v_mov_b32_e32 v4, s13
	s_or_b64 s[8:9], vcc, s[8:9]
	v_add_u32_e32 v2, 0x600, v2
	s_waitcnt vmcnt(14)
	ds_write2_b32 v9, v1, v11 offset1:96
	v_add_u32_e32 v9, 0x1800, v9
	s_waitcnt vmcnt(12)
	ds_write2_b32 v12, v32, v33 offset0:64 offset1:160
	s_waitcnt vmcnt(10)
	ds_write2_b32 v13, v30, v31 offset0:128 offset1:224
	;; [unrolled: 2-line block ×3, first 2 shown]
	s_waitcnt vmcnt(6)
	ds_write2_b32 v15, v26, v27 offset1:96
	s_waitcnt vmcnt(4)
	ds_write2_b32 v20, v28, v29 offset0:64 offset1:160
	s_waitcnt vmcnt(2)
	ds_write2_b32 v21, v16, v17 offset0:128 offset1:224
	;; [unrolled: 2-line block ×3, first 2 shown]
	s_andn2_b64 exec, exec, s[8:9]
	s_cbranch_execnz .LBB18_4
; %bb.5:
	s_or_b64 exec, exec, s[8:9]
.LBB18_6:
	s_or_b64 exec, exec, s[6:7]
	v_and_b32_e32 v1, 7, v7
	v_cmp_ne_u32_e32 vcc, 0, v1
	s_and_saveexec_b64 s[6:7], vcc
	s_cbranch_execz .LBB18_9
; %bb.7:
	s_movk_i32 s8, 0x180
	v_mul_lo_u32 v4, v4, s8
	v_lshlrev_b32_e32 v5, 2, v0
	v_add3_u32 v7, v4, v5, 0
	s_mov_b64 s[8:9], 0
	v_mov_b32_e32 v8, s12
	v_mov_b32_e32 v5, 0
.LBB18_8:                               ; =>This Inner Loop Header: Depth=1
	v_mov_b32_e32 v4, v2
	v_lshlrev_b64 v[10:11], 2, v[4:5]
	v_mov_b32_e32 v4, v3
	v_add_co_u32_e32 v10, vcc, s11, v10
	v_addc_co_u32_e32 v11, vcc, v8, v11, vcc
	v_lshlrev_b64 v[12:13], 2, v[4:5]
	v_add_co_u32_e32 v12, vcc, s11, v12
	v_addc_co_u32_e32 v13, vcc, v8, v13, vcc
	global_load_dword v4, v[10:11], off
	global_load_dword v9, v[12:13], off
	v_add_u32_e32 v1, -1, v1
	v_cmp_eq_u32_e32 vcc, 0, v1
	v_add_u32_e32 v2, 0xc0, v2
	v_add_u32_e32 v3, 0xc0, v3
	s_or_b64 s[8:9], vcc, s[8:9]
	s_waitcnt vmcnt(0)
	ds_write2_b32 v7, v4, v9 offset1:96
	v_add_u32_e32 v7, 0x300, v7
	s_andn2_b64 exec, exec, s[8:9]
	s_cbranch_execnz .LBB18_8
.LBB18_9:
	s_or_b64 exec, exec, s[6:7]
	v_add_u32_e32 v1, 1, v6
	v_and_b32_e32 v4, 0x7fffffe, v1
	s_movk_i32 s6, 0x60
	v_mad_u64_u32 v[2:3], s[6:7], v4, s6, v[0:1]
	v_cmp_ne_u32_e32 vcc, v1, v4
	s_orn2_b64 s[6:7], vcc, exec
.LBB18_10:
	s_or_b64 exec, exec, s[4:5]
	s_and_b64 exec, exec, s[6:7]
	s_cbranch_execz .LBB18_13
; %bb.11:
	s_lshl_b64 s[4:5], s[0:1], 3
	v_mov_b32_e32 v3, 0
	s_add_u32 s1, s18, s4
	v_lshlrev_b64 v[4:5], 2, v[2:3]
	s_addc_u32 s4, s19, s5
	v_mov_b32_e32 v1, s4
	v_add_co_u32_e32 v4, vcc, s1, v4
	v_addc_co_u32_e32 v5, vcc, v1, v5, vcc
	v_lshl_add_u32 v1, v2, 2, 0
	s_mov_b64 s[4:5], 0
.LBB18_12:                              ; =>This Inner Loop Header: Depth=1
	global_load_dword v3, v[4:5], off
	v_add_co_u32_e32 v4, vcc, 0x180, v4
	v_add_u32_e32 v2, 0x60, v2
	v_addc_co_u32_e32 v5, vcc, 0, v5, vcc
	v_cmp_le_i32_e32 vcc, s10, v2
	s_or_b64 s[4:5], vcc, s[4:5]
	s_waitcnt vmcnt(0)
	ds_write_b32 v1, v3
	v_add_u32_e32 v1, 0x180, v1
	s_andn2_b64 exec, exec, s[4:5]
	s_cbranch_execnz .LBB18_12
.LBB18_13:
	s_or_b64 exec, exec, s[2:3]
	v_mov_b32_e32 v1, 0
	s_waitcnt lgkmcnt(0)
	s_barrier
	ds_read_b32 v1, v1
	s_cmp_lt_i32 s21, 2
	s_cbranch_scc1 .LBB18_21
; %bb.14:
	s_add_i32 s1, s21, -1
	s_add_i32 s2, s21, -2
	s_cmp_lt_u32 s2, 7
	s_cbranch_scc1 .LBB18_18
; %bb.15:
	s_mov_b32 s4, 0
	s_add_i32 s2, 0, 8
	s_and_b32 s3, s1, -8
.LBB18_16:                              ; =>This Inner Loop Header: Depth=1
	v_mov_b32_e32 v8, s2
	ds_read2_b32 v[2:3], v8 offset1:2
	ds_read2_b32 v[4:5], v8 offset0:4 offset1:6
	ds_read2_b32 v[6:7], v8 offset0:8 offset1:10
	;; [unrolled: 1-line block ×3, first 2 shown]
	s_mov_b32 s5, s4
	s_waitcnt lgkmcnt(3)
	v_max3_f32 v1, v1, v2, v3
	s_waitcnt lgkmcnt(2)
	v_max3_f32 v1, v1, v4, v5
	s_add_i32 s2, s2, 64
	s_add_i32 s4, s4, 8
	s_waitcnt lgkmcnt(1)
	v_max3_f32 v1, v1, v6, v7
	s_cmp_eq_u32 s3, s4
	s_waitcnt lgkmcnt(0)
	v_max3_f32 v1, v1, v8, v9
	s_cbranch_scc0 .LBB18_16
; %bb.17:
	s_add_i32 s2, s5, 9
	s_and_b32 s1, s1, 7
	s_cmp_eq_u32 s1, 0
	s_cbranch_scc0 .LBB18_19
	s_branch .LBB18_21
.LBB18_18:
	s_mov_b32 s2, 1
	s_and_b32 s1, s1, 7
	s_cmp_eq_u32 s1, 0
	s_cbranch_scc1 .LBB18_21
.LBB18_19:
	s_lshl_b32 s2, s2, 3
	s_add_i32 s2, s2, 0
.LBB18_20:                              ; =>This Inner Loop Header: Depth=1
	v_mov_b32_e32 v2, s2
	ds_read_b32 v2, v2
	s_waitcnt lgkmcnt(1)
	v_max_f32_e32 v1, v1, v1
	s_add_i32 s2, s2, 8
	s_add_i32 s1, s1, -1
	s_cmp_lg_u32 s1, 0
	s_waitcnt lgkmcnt(0)
	v_max_f32_e32 v2, v2, v2
	v_max_f32_e32 v1, v1, v2
	s_cbranch_scc1 .LBB18_20
.LBB18_21:
	s_cmp_lt_i32 s21, 1
	s_cbranch_scc1 .LBB18_26
; %bb.22:
	s_mul_i32 s18, s0, 0x60
	s_ashr_i32 s19, s18, 31
	s_cmp_lt_u32 s21, 8
	v_mov_b32_e32 v8, 0
	s_cbranch_scc1 .LBB18_27
; %bb.23:
	s_lshl_b64 s[0:1], s[18:19], 2
	s_add_u32 s23, s16, s0
	s_addc_u32 s0, s17, s1
	v_lshlrev_b32_e32 v2, 2, v0
	v_mov_b32_e32 v10, s0
	v_add_co_u32_e32 v2, vcc, s23, v2
	v_addc_co_u32_e32 v3, vcc, 0, v10, vcc
	v_add_co_u32_e32 v2, vcc, 0x180, v2
	s_and_b32 s22, s21, 0x7ffffff8
	v_addc_co_u32_e32 v3, vcc, 0, v3, vcc
	v_or_b32_e32 v4, 0x180, v0
	s_mov_b32 s24, 0
	v_mov_b32_e32 v7, 0
	s_mov_b32 s25, 0x3fb8aa3b
	s_mov_b32 s26, 0xc2ce8ed0
	s_mov_b32 s27, 0x42b17218
	v_mov_b32_e32 v11, 0x7f800000
	s_mov_b32 s28, 0
	v_mov_b32_e32 v9, 0
	v_mov_b32_e32 v8, 0
.LBB18_24:                              ; =>This Inner Loop Header: Depth=1
	v_add_u32_e32 v6, 0xfffffe80, v4
	global_load_dword v36, v[2:3], off
	v_add_co_u32_e32 v2, vcc, 0xc00, v2
	v_lshlrev_b64 v[28:29], 2, v[6:7]
	v_addc_co_u32_e32 v3, vcc, 0, v3, vcc
	v_mov_b32_e32 v5, v7
	v_add_co_u32_e32 v28, vcc, s23, v28
	v_lshlrev_b64 v[30:31], 2, v[4:5]
	v_addc_co_u32_e32 v29, vcc, v10, v29, vcc
	v_add_u32_e32 v6, 0xffffff40, v4
	v_add_co_u32_e32 v30, vcc, s23, v30
	v_lshlrev_b64 v[32:33], 2, v[6:7]
	v_addc_co_u32_e32 v31, vcc, v10, v31, vcc
	v_add_u32_e32 v6, 0xffffffa0, v4
	v_add_co_u32_e32 v32, vcc, s23, v32
	v_mov_b32_e32 v24, s24
	v_addc_co_u32_e32 v33, vcc, v10, v33, vcc
	v_lshlrev_b64 v[34:35], 2, v[6:7]
	ds_read2_b64 v[12:15], v24 offset1:1
	ds_read2_b64 v[16:19], v24 offset0:2 offset1:3
	ds_read2_b64 v[20:23], v24 offset0:4 offset1:5
	;; [unrolled: 1-line block ×3, first 2 shown]
	v_add_u32_e32 v6, 0x60, v4
	global_load_dword v5, v[28:29], off
	global_load_dword v37, v[32:33], off
	v_add_co_u32_e32 v28, vcc, s23, v34
	v_addc_co_u32_e32 v29, vcc, v10, v35, vcc
	v_lshlrev_b64 v[32:33], 2, v[6:7]
	v_add_u32_e32 v6, 0xc0, v4
	v_add_co_u32_e32 v32, vcc, s23, v32
	v_addc_co_u32_e32 v33, vcc, v10, v33, vcc
	v_lshlrev_b64 v[34:35], 2, v[6:7]
	v_add_u32_e32 v6, 0x120, v4
	global_load_dword v38, v[28:29], off
	global_load_dword v39, v[30:31], off
	v_add_co_u32_e32 v28, vcc, s23, v34
	v_addc_co_u32_e32 v29, vcc, v10, v35, vcc
	v_lshlrev_b64 v[30:31], 2, v[6:7]
	global_load_dword v32, v[32:33], off
	v_add_co_u32_e32 v30, vcc, s23, v30
	v_addc_co_u32_e32 v31, vcc, v10, v31, vcc
	global_load_dword v30, v[30:31], off
	s_waitcnt lgkmcnt(3)
	v_sub_f32_e32 v12, v12, v1
	global_load_dword v28, v[28:29], off
	v_sub_f32_e32 v14, v14, v1
	v_mul_f32_e32 v6, 0x3fb8aa3b, v12
	s_waitcnt lgkmcnt(2)
	v_sub_f32_e32 v16, v16, v1
	v_mul_f32_e32 v33, 0x3fb8aa3b, v14
	v_fma_f32 v29, v12, s25, -v6
	v_rndne_f32_e32 v44, v6
	v_sub_f32_e32 v18, v18, v1
	s_waitcnt lgkmcnt(1)
	v_sub_f32_e32 v20, v20, v1
	v_mul_f32_e32 v34, 0x3fb8aa3b, v16
	v_fma_f32 v45, v14, s25, -v33
	v_rndne_f32_e32 v46, v33
	v_fmac_f32_e32 v29, 0x32a5705f, v12
	v_sub_f32_e32 v6, v6, v44
	v_mul_f32_e32 v35, 0x3fb8aa3b, v18
	v_mul_f32_e32 v40, 0x3fb8aa3b, v20
	v_fma_f32 v47, v16, s25, -v34
	v_rndne_f32_e32 v48, v34
	v_add_f32_e32 v6, v6, v29
	v_fmac_f32_e32 v45, 0x32a5705f, v14
	v_sub_f32_e32 v33, v33, v46
	v_sub_f32_e32 v22, v22, v1
	s_waitcnt lgkmcnt(0)
	v_sub_f32_e32 v24, v24, v1
	v_fma_f32 v49, v18, s25, -v35
	v_rndne_f32_e32 v50, v35
	v_fma_f32 v31, v20, s25, -v40
	v_rndne_f32_e32 v29, v40
	v_add_f32_e32 v33, v33, v45
	v_fmac_f32_e32 v47, 0x32a5705f, v16
	v_sub_f32_e32 v34, v34, v48
	v_cvt_i32_f32_e32 v44, v44
	v_exp_f32_e32 v6, v6
	v_mul_f32_e32 v41, 0x3fb8aa3b, v22
	v_mul_f32_e32 v42, 0x3fb8aa3b, v24
	v_add_f32_e32 v34, v34, v47
	v_fmac_f32_e32 v49, 0x32a5705f, v18
	v_sub_f32_e32 v35, v35, v50
	v_fmac_f32_e32 v31, 0x32a5705f, v20
	v_sub_f32_e32 v40, v40, v29
	v_cvt_i32_f32_e32 v46, v46
	v_exp_f32_e32 v33, v33
	v_sub_f32_e32 v26, v26, v1
	v_fma_f32 v45, v22, s25, -v41
	v_rndne_f32_e32 v47, v41
	v_add_f32_e32 v35, v35, v49
	v_fma_f32 v49, v24, s25, -v42
	v_add_f32_e32 v31, v40, v31
	v_rndne_f32_e32 v40, v42
	v_cvt_i32_f32_e32 v48, v48
	v_exp_f32_e32 v34, v34
	v_mul_f32_e32 v43, 0x3fb8aa3b, v26
	v_fmac_f32_e32 v45, 0x32a5705f, v22
	v_sub_f32_e32 v41, v41, v47
	v_fmac_f32_e32 v49, 0x32a5705f, v24
	v_sub_f32_e32 v42, v42, v40
	v_cvt_i32_f32_e32 v50, v50
	v_exp_f32_e32 v35, v35
	v_add_f32_e32 v41, v41, v45
	v_fma_f32 v45, v26, s25, -v43
	v_add_f32_e32 v42, v42, v49
	v_rndne_f32_e32 v49, v43
	v_cvt_i32_f32_e32 v29, v29
	v_exp_f32_e32 v31, v31
	v_ldexp_f32 v6, v6, v44
	v_cmp_ngt_f32_e64 s[12:13], s26, v12
	v_cvt_i32_f32_e32 v47, v47
	v_fmac_f32_e32 v45, 0x32a5705f, v26
	v_sub_f32_e32 v43, v43, v49
	v_exp_f32_e32 v41, v41
	v_ldexp_f32 v33, v33, v46
	v_cmp_ngt_f32_e32 vcc, s26, v14
	v_cndmask_b32_e64 v6, 0, v6, s[12:13]
	v_cmp_nlt_f32_e64 s[12:13], s27, v12
	v_cvt_i32_f32_e32 v40, v40
	v_add_f32_e32 v43, v43, v45
	v_exp_f32_e32 v42, v42
	v_ldexp_f32 v34, v34, v48
	v_cmp_ngt_f32_e64 s[0:1], s26, v16
	v_cndmask_b32_e32 v33, 0, v33, vcc
	v_cmp_nlt_f32_e32 vcc, s27, v14
	v_cndmask_b32_e64 v6, v11, v6, s[12:13]
	v_cvt_i32_f32_e32 v49, v49
	v_exp_f32_e32 v43, v43
	v_ldexp_f32 v35, v35, v50
	v_cmp_ngt_f32_e64 s[2:3], s26, v18
	v_cndmask_b32_e64 v14, 0, v34, s[0:1]
	v_cmp_nlt_f32_e64 s[0:1], s27, v16
	v_cndmask_b32_e32 v12, v11, v33, vcc
	v_fmac_f32_e32 v9, v6, v13
	s_waitcnt vmcnt(6)
	v_fmac_f32_e32 v8, v5, v6
	v_ldexp_f32 v29, v31, v29
	v_cmp_ngt_f32_e64 s[4:5], s26, v20
	v_cndmask_b32_e64 v16, 0, v35, s[2:3]
	v_cmp_nlt_f32_e64 s[2:3], s27, v18
	v_cndmask_b32_e64 v14, v11, v14, s[0:1]
	v_fmac_f32_e32 v9, v12, v15
	v_fmac_f32_e32 v8, v36, v12
	v_ldexp_f32 v31, v41, v47
	v_cmp_ngt_f32_e64 s[6:7], s26, v22
	v_cndmask_b32_e64 v18, 0, v29, s[4:5]
	v_cmp_nlt_f32_e64 s[4:5], s27, v20
	v_cndmask_b32_e64 v16, v11, v16, s[2:3]
	v_fmac_f32_e32 v9, v14, v17
	s_waitcnt vmcnt(5)
	v_fmac_f32_e32 v8, v37, v14
	v_ldexp_f32 v40, v42, v40
	v_cmp_ngt_f32_e64 s[8:9], s26, v24
	v_cndmask_b32_e64 v20, 0, v31, s[6:7]
	v_cmp_nlt_f32_e64 s[6:7], s27, v22
	v_cndmask_b32_e64 v18, v11, v18, s[4:5]
	v_fmac_f32_e32 v9, v16, v19
	s_waitcnt vmcnt(4)
	;; [unrolled: 8-line block ×3, first 2 shown]
	v_fmac_f32_e32 v8, v39, v18
	v_cndmask_b32_e64 v24, 0, v41, s[10:11]
	v_cmp_nlt_f32_e64 s[10:11], s27, v26
	v_cndmask_b32_e64 v22, v11, v22, s[8:9]
	v_fmac_f32_e32 v9, v20, v23
	s_waitcnt vmcnt(2)
	v_fmac_f32_e32 v8, v32, v20
	s_add_i32 s28, s28, 8
	s_add_i32 s24, s24, 64
	v_cndmask_b32_e64 v24, v11, v24, s[10:11]
	v_fmac_f32_e32 v9, v22, v25
	s_waitcnt vmcnt(0)
	v_fmac_f32_e32 v8, v28, v22
	s_cmp_eq_u32 s22, s28
	v_add_u32_e32 v4, 0x300, v4
	v_fmac_f32_e32 v9, v24, v27
	v_fmac_f32_e32 v8, v30, v24
	s_cbranch_scc0 .LBB18_24
; %bb.25:
	s_and_b32 s0, s21, 7
	s_cmp_eq_u32 s0, 0
	s_cbranch_scc0 .LBB18_28
	s_branch .LBB18_30
.LBB18_26:
	s_waitcnt lgkmcnt(0)
	v_mov_b32_e32 v1, 0x7fc00000
	s_branch .LBB18_31
.LBB18_27:
	s_mov_b32 s22, 0
	v_mov_b32_e32 v9, 0
	s_and_b32 s0, s21, 7
	s_cmp_eq_u32 s0, 0
	s_cbranch_scc1 .LBB18_30
.LBB18_28:
	s_lshl_b64 s[2:3], s[18:19], 2
	s_mul_i32 s1, s22, 0x60
	v_add_u32_e32 v2, s1, v0
	v_mov_b32_e32 v3, 0
	s_add_u32 s1, s16, s2
	v_lshlrev_b64 v[2:3], 2, v[2:3]
	s_addc_u32 s2, s17, s3
	v_mov_b32_e32 v4, s2
	v_add_co_u32_e32 v2, vcc, s1, v2
	s_lshl_b32 s1, s22, 3
	v_addc_co_u32_e32 v3, vcc, v4, v3, vcc
	s_add_i32 s1, s1, 0
	s_mov_b32 s2, 0x3fb8aa3b
	s_mov_b32 s3, 0xc2ce8ed0
	;; [unrolled: 1-line block ×3, first 2 shown]
	v_mov_b32_e32 v4, 0x7f800000
.LBB18_29:                              ; =>This Inner Loop Header: Depth=1
	global_load_dword v5, v[2:3], off
	v_mov_b32_e32 v6, s1
	ds_read_b64 v[6:7], v6
	v_add_co_u32_e32 v2, vcc, 0x180, v2
	v_addc_co_u32_e32 v3, vcc, 0, v3, vcc
	s_waitcnt lgkmcnt(0)
	v_sub_f32_e32 v6, v6, v1
	v_mul_f32_e32 v10, 0x3fb8aa3b, v6
	v_fma_f32 v11, v6, s2, -v10
	v_rndne_f32_e32 v12, v10
	v_fmac_f32_e32 v11, 0x32a5705f, v6
	v_sub_f32_e32 v10, v10, v12
	v_add_f32_e32 v10, v10, v11
	v_cvt_i32_f32_e32 v12, v12
	v_exp_f32_e32 v10, v10
	v_cmp_ngt_f32_e32 vcc, s3, v6
	s_add_i32 s1, s1, 8
	s_add_i32 s0, s0, -1
	v_ldexp_f32 v10, v10, v12
	v_cndmask_b32_e32 v10, 0, v10, vcc
	v_cmp_nlt_f32_e32 vcc, s4, v6
	v_cndmask_b32_e32 v6, v4, v10, vcc
	s_cmp_lg_u32 s0, 0
	v_fmac_f32_e32 v9, v6, v7
	s_waitcnt vmcnt(0)
	v_fmac_f32_e32 v8, v5, v6
	s_cbranch_scc1 .LBB18_29
.LBB18_30:
	s_waitcnt lgkmcnt(0)
	v_div_scale_f32 v1, s[0:1], v9, v9, v8
	v_rcp_f32_e32 v2, v1
	v_div_scale_f32 v3, vcc, v8, v9, v8
	v_fma_f32 v4, -v1, v2, 1.0
	v_fmac_f32_e32 v2, v4, v2
	v_mul_f32_e32 v4, v3, v2
	v_fma_f32 v5, -v1, v4, v3
	v_fmac_f32_e32 v4, v5, v2
	v_fma_f32 v1, -v1, v4, v3
	v_div_fmas_f32 v1, v1, v2, v4
	v_div_fixup_f32 v1, v1, v9, v8
.LBB18_31:
	s_mul_i32 s0, s20, 0x60
	s_ashr_i32 s1, s0, 31
	s_lshl_b64 s[0:1], s[0:1], 2
	s_add_u32 s0, s14, s0
	s_addc_u32 s1, s15, s1
	v_lshlrev_b32_e32 v0, 2, v0
	global_store_dword v0, v1, s[0:1]
	s_endpgm
	.section	.rodata,"a",@progbits
	.p2align	6, 0x0
	.amdhsa_kernel _ZL26flash_attn_combine_resultsILi96EEvPKfPK15HIP_vector_typeIfLj2EEPfi
		.amdhsa_group_segment_fixed_size 0
		.amdhsa_private_segment_fixed_size 0
		.amdhsa_kernarg_size 288
		.amdhsa_user_sgpr_count 6
		.amdhsa_user_sgpr_private_segment_buffer 1
		.amdhsa_user_sgpr_dispatch_ptr 0
		.amdhsa_user_sgpr_queue_ptr 0
		.amdhsa_user_sgpr_kernarg_segment_ptr 1
		.amdhsa_user_sgpr_dispatch_id 0
		.amdhsa_user_sgpr_flat_scratch_init 0
		.amdhsa_user_sgpr_kernarg_preload_length 0
		.amdhsa_user_sgpr_kernarg_preload_offset 0
		.amdhsa_user_sgpr_private_segment_size 0
		.amdhsa_uses_dynamic_stack 0
		.amdhsa_system_sgpr_private_segment_wavefront_offset 0
		.amdhsa_system_sgpr_workgroup_id_x 1
		.amdhsa_system_sgpr_workgroup_id_y 1
		.amdhsa_system_sgpr_workgroup_id_z 1
		.amdhsa_system_sgpr_workgroup_info 0
		.amdhsa_system_vgpr_workitem_id 0
		.amdhsa_next_free_vgpr 51
		.amdhsa_next_free_sgpr 29
		.amdhsa_accum_offset 52
		.amdhsa_reserve_vcc 1
		.amdhsa_reserve_flat_scratch 0
		.amdhsa_float_round_mode_32 0
		.amdhsa_float_round_mode_16_64 0
		.amdhsa_float_denorm_mode_32 3
		.amdhsa_float_denorm_mode_16_64 3
		.amdhsa_dx10_clamp 1
		.amdhsa_ieee_mode 1
		.amdhsa_fp16_overflow 0
		.amdhsa_tg_split 0
		.amdhsa_exception_fp_ieee_invalid_op 0
		.amdhsa_exception_fp_denorm_src 0
		.amdhsa_exception_fp_ieee_div_zero 0
		.amdhsa_exception_fp_ieee_overflow 0
		.amdhsa_exception_fp_ieee_underflow 0
		.amdhsa_exception_fp_ieee_inexact 0
		.amdhsa_exception_int_div_zero 0
	.end_amdhsa_kernel
	.section	.text._ZL26flash_attn_combine_resultsILi96EEvPKfPK15HIP_vector_typeIfLj2EEPfi,"axG",@progbits,_ZL26flash_attn_combine_resultsILi96EEvPKfPK15HIP_vector_typeIfLj2EEPfi,comdat
.Lfunc_end18:
	.size	_ZL26flash_attn_combine_resultsILi96EEvPKfPK15HIP_vector_typeIfLj2EEPfi, .Lfunc_end18-_ZL26flash_attn_combine_resultsILi96EEvPKfPK15HIP_vector_typeIfLj2EEPfi
                                        ; -- End function
	.section	.AMDGPU.csdata,"",@progbits
; Kernel info:
; codeLenInByte = 3168
; NumSgprs: 33
; NumVgprs: 51
; NumAgprs: 0
; TotalNumVgprs: 51
; ScratchSize: 0
; MemoryBound: 0
; FloatMode: 240
; IeeeMode: 1
; LDSByteSize: 0 bytes/workgroup (compile time only)
; SGPRBlocks: 4
; VGPRBlocks: 6
; NumSGPRsForWavesPerEU: 33
; NumVGPRsForWavesPerEU: 51
; AccumOffset: 52
; Occupancy: 8
; WaveLimiterHint : 0
; COMPUTE_PGM_RSRC2:SCRATCH_EN: 0
; COMPUTE_PGM_RSRC2:USER_SGPR: 6
; COMPUTE_PGM_RSRC2:TRAP_HANDLER: 0
; COMPUTE_PGM_RSRC2:TGID_X_EN: 1
; COMPUTE_PGM_RSRC2:TGID_Y_EN: 1
; COMPUTE_PGM_RSRC2:TGID_Z_EN: 1
; COMPUTE_PGM_RSRC2:TIDIG_COMP_CNT: 0
; COMPUTE_PGM_RSRC3_GFX90A:ACCUM_OFFSET: 12
; COMPUTE_PGM_RSRC3_GFX90A:TG_SPLIT: 0
	.section	.text._ZL18flash_attn_ext_f16ILi112ELi112ELi32ELi1ELb0ELb0EEvPKcS1_S1_S1_S1_PKiPfP15HIP_vector_typeIfLj2EEffffjfiS5_IjLj3EEiiiiiiiiiiiliiliiiiil,"axG",@progbits,_ZL18flash_attn_ext_f16ILi112ELi112ELi32ELi1ELb0ELb0EEvPKcS1_S1_S1_S1_PKiPfP15HIP_vector_typeIfLj2EEffffjfiS5_IjLj3EEiiiiiiiiiiiliiliiiiil,comdat
	.globl	_ZL18flash_attn_ext_f16ILi112ELi112ELi32ELi1ELb0ELb0EEvPKcS1_S1_S1_S1_PKiPfP15HIP_vector_typeIfLj2EEffffjfiS5_IjLj3EEiiiiiiiiiiiliiliiiiil ; -- Begin function _ZL18flash_attn_ext_f16ILi112ELi112ELi32ELi1ELb0ELb0EEvPKcS1_S1_S1_S1_PKiPfP15HIP_vector_typeIfLj2EEffffjfiS5_IjLj3EEiiiiiiiiiiiliiliiiiil
	.p2align	8
	.type	_ZL18flash_attn_ext_f16ILi112ELi112ELi32ELi1ELb0ELb0EEvPKcS1_S1_S1_S1_PKiPfP15HIP_vector_typeIfLj2EEffffjfiS5_IjLj3EEiiiiiiiiiiiliiliiiiil,@function
_ZL18flash_attn_ext_f16ILi112ELi112ELi32ELi1ELb0ELb0EEvPKcS1_S1_S1_S1_PKiPfP15HIP_vector_typeIfLj2EEffffjfiS5_IjLj3EEiiiiiiiiiiiliiliiiiil: ; @_ZL18flash_attn_ext_f16ILi112ELi112ELi32ELi1ELb0ELb0EEvPKcS1_S1_S1_S1_PKiPfP15HIP_vector_typeIfLj2EEffffjfiS5_IjLj3EEiiiiiiiiiiiliiliiiiil
; %bb.0:
	s_load_dwordx2 s[14:15], s[4:5], 0x80
	s_load_dwordx4 s[36:39], s[4:5], 0x64
	s_add_u32 flat_scratch_lo, s6, s9
	s_addc_u32 flat_scratch_hi, s7, 0
	s_add_u32 s0, s0, s9
	s_addc_u32 s1, s1, 0
	s_waitcnt lgkmcnt(0)
	s_abs_i32 s6, s15
	v_cvt_f32_u32_e32 v1, s6
	s_sub_i32 s10, 0, s6
	s_abs_i32 s9, s37
	s_xor_b32 s7, s37, s15
	v_rcp_iflag_f32_e32 v1, v1
	s_ashr_i32 s7, s7, 31
                                        ; implicit-def: $vgpr254 : SGPR spill to VGPR lane
	s_load_dword s60, s[4:5], 0xd0
	s_mov_b32 s61, s8
	v_mul_f32_e32 v1, 0x4f7ffffe, v1
	v_cvt_u32_f32_e32 v1, v1
	s_mov_b32 s8, 0
	s_waitcnt lgkmcnt(0)
	v_cvt_f32_u32_e32 v2, s60
	v_cvt_f32_ubyte0_e32 v3, 0
	v_readfirstlane_b32 s11, v1
	s_mul_i32 s10, s10, s11
	s_mul_hi_u32 s10, s11, s10
	s_add_i32 s11, s11, s10
	s_mul_hi_u32 s10, s9, s11
	s_mul_i32 s11, s10, s6
	s_sub_i32 s9, s9, s11
	s_add_i32 s12, s10, 1
	s_sub_i32 s11, s9, s6
	s_cmp_ge_u32 s9, s6
	s_cselect_b32 s10, s12, s10
	s_cselect_b32 s9, s11, s9
	s_add_i32 s11, s10, 1
	s_cmp_ge_u32 s9, s6
	s_cselect_b32 s6, s11, s10
	s_add_i32 s9, s14, 63
	s_xor_b32 s6, s6, s7
	s_ashr_i32 s10, s9, 31
	s_sub_i32 s7, s6, s7
	s_lshr_b32 s6, s10, 26
	s_add_i32 s9, s9, s6
	s_add_i32 s6, s36, 31
	s_lshr_b32 s6, s6, 5
	s_ashr_i32 s9, s9, 6
	v_writelane_b32 v254, s6, 0
	v_writelane_b32 v254, s9, 1
	s_mul_i32 s6, s6, s9
	v_writelane_b32 v254, s7, 2
	v_writelane_b32 v254, s6, 3
	s_mul_i32 s7, s6, s7
	s_mov_b32 s6, s14
	v_writelane_b32 v254, s6, 4
	v_writelane_b32 v254, s7, 5
	s_mul_i32 s6, s7, s15
	s_mul_i32 s10, s6, s38
	v_writelane_b32 v254, s7, 6
	s_ashr_i32 s11, s10, 31
	v_writelane_b32 v254, s6, 7
	s_mul_i32 s6, s11, s61
	s_mul_hi_u32 s7, s10, s61
	s_add_i32 s9, s7, s6
	s_mul_i32 s12, s10, s61
	s_cmp_lg_u64 s[8:9], 0
	s_cbranch_scc0 .LBB19_2
; %bb.1:
	v_madmk_f32 v1, v3, 0x4f800000, v2
	v_rcp_f32_e32 v1, v1
	s_sub_u32 s8, 0, s60
	s_subb_u32 s13, 0, 0
	s_mov_b64 s[6:7], 0
	v_mul_f32_e32 v1, 0x5f7ffffc, v1
	v_mul_f32_e32 v4, 0x2f800000, v1
	v_trunc_f32_e32 v4, v4
	v_madmk_f32 v1, v4, 0xcf800000, v1
	v_cvt_u32_f32_e32 v4, v4
	v_cvt_u32_f32_e32 v1, v1
	v_readfirstlane_b32 s14, v4
	v_readfirstlane_b32 s15, v1
	s_mul_hi_u32 s17, s8, s15
	s_mul_i32 s18, s8, s14
	s_mul_i32 s16, s13, s15
	s_add_i32 s17, s17, s18
	s_add_i32 s17, s17, s16
	s_mul_i32 s19, s8, s15
	s_mul_hi_u32 s16, s15, s17
	s_mul_i32 s18, s15, s17
	s_mul_hi_u32 s15, s15, s19
	s_add_u32 s15, s15, s18
	s_addc_u32 s16, 0, s16
	s_mul_hi_u32 s20, s14, s19
	s_mul_i32 s19, s14, s19
	s_add_u32 s15, s15, s19
	s_mul_hi_u32 s18, s14, s17
	s_addc_u32 s15, s16, s20
	s_addc_u32 s16, s18, 0
	s_mul_i32 s17, s14, s17
	s_add_u32 s15, s15, s17
	s_addc_u32 s16, 0, s16
	v_add_co_u32_e32 v1, vcc, s15, v1
	s_cmp_lg_u64 vcc, 0
	s_addc_u32 s14, s14, s16
	v_readfirstlane_b32 s16, v1
	s_mul_i32 s15, s8, s14
	s_mul_hi_u32 s17, s8, s16
	s_add_i32 s15, s17, s15
	s_mul_i32 s13, s13, s16
	s_add_i32 s15, s15, s13
	s_mul_i32 s8, s8, s16
	s_mul_hi_u32 s17, s14, s8
	s_mul_i32 s18, s14, s8
	s_mul_i32 s20, s16, s15
	s_mul_hi_u32 s8, s16, s8
	s_mul_hi_u32 s19, s16, s15
	s_add_u32 s8, s8, s20
	s_addc_u32 s16, 0, s19
	s_add_u32 s8, s8, s18
	s_mul_hi_u32 s13, s14, s15
	s_addc_u32 s8, s16, s17
	s_addc_u32 s13, s13, 0
	s_mul_i32 s15, s14, s15
	s_add_u32 s8, s8, s15
	s_addc_u32 s13, 0, s13
	v_add_co_u32_e32 v1, vcc, s8, v1
	s_cmp_lg_u64 vcc, 0
	s_addc_u32 s13, s14, s13
	s_ashr_i32 s14, s9, 31
	s_add_u32 s8, s12, s14
	s_mov_b32 s15, s14
	s_addc_u32 s9, s9, s14
	s_xor_b64 s[8:9], s[8:9], s[14:15]
	v_readfirstlane_b32 s18, v1
	s_mul_i32 s17, s8, s13
	s_mul_hi_u32 s19, s8, s18
	s_mul_hi_u32 s16, s8, s13
	s_add_u32 s17, s19, s17
	s_addc_u32 s16, 0, s16
	s_mul_hi_u32 s20, s9, s18
	s_mul_i32 s18, s9, s18
	s_add_u32 s17, s17, s18
	s_mul_hi_u32 s19, s9, s13
	s_addc_u32 s16, s16, s20
	s_addc_u32 s17, s19, 0
	s_mul_i32 s13, s9, s13
	s_add_u32 s13, s16, s13
	s_addc_u32 s16, 0, s17
	s_add_u32 s17, s13, 1
	s_addc_u32 s18, s16, 0
	s_add_u32 s19, s13, 2
	s_mul_i32 s21, s60, s16
	s_mul_hi_u32 s22, s60, s13
	s_addc_u32 s20, s16, 0
	s_add_i32 s22, s22, s21
	s_mul_i32 s21, s60, s13
	v_mov_b32_e32 v1, s21
	v_sub_co_u32_e32 v1, vcc, s8, v1
	s_cmp_lg_u64 vcc, 0
	s_subb_u32 s8, s9, s22
	v_subrev_co_u32_e32 v4, vcc, s60, v1
	s_cmp_lg_u64 vcc, 0
	s_subb_u32 s9, s8, 0
	v_readfirstlane_b32 s21, v4
	s_cmp_ge_u32 s21, s60
	s_cselect_b32 s21, -1, 0
	s_cmp_eq_u32 s9, 0
	s_cselect_b32 s9, s21, -1
	s_cmp_lg_u32 s9, 0
	s_cselect_b32 s9, s20, s18
	v_readfirstlane_b32 s18, v1
	s_cselect_b32 s17, s19, s17
	s_cmp_ge_u32 s18, s60
	s_cselect_b32 s18, -1, 0
	s_cmp_eq_u32 s8, 0
	s_cselect_b32 s8, s18, -1
	s_cmp_lg_u32 s8, 0
	s_cselect_b32 s9, s9, s16
	s_cselect_b32 s8, s17, s13
	s_xor_b64 s[8:9], s[8:9], s[14:15]
	s_sub_u32 s90, s8, s14
	s_branch .LBB19_3
.LBB19_2:
	s_mov_b64 s[6:7], -1
                                        ; implicit-def: $sgpr90_sgpr91
.LBB19_3:
	s_load_dwordx2 s[8:9], s[4:5], 0x74
	v_cvt_f32_u32_e32 v1, s60
	s_andn2_b64 vcc, exec, s[6:7]
	s_waitcnt lgkmcnt(0)
	v_writelane_b32 v254, s8, 8
	v_writelane_b32 v254, s9, 9
	s_cbranch_vccnz .LBB19_5
; %bb.4:
	v_rcp_iflag_f32_e32 v4, v1
	s_sub_i32 s6, 0, s60
	v_mul_f32_e32 v4, 0x4f7ffffe, v4
	v_cvt_u32_f32_e32 v4, v4
	v_readfirstlane_b32 s7, v4
	s_mul_i32 s6, s6, s7
	s_mul_hi_u32 s6, s7, s6
	s_add_i32 s7, s7, s6
	s_mul_hi_u32 s6, s12, s7
	s_mul_i32 s8, s6, s60
	s_sub_i32 s8, s12, s8
	s_add_i32 s7, s6, 1
	s_sub_i32 s9, s8, s60
	s_cmp_ge_u32 s8, s60
	s_cselect_b32 s6, s7, s6
	s_cselect_b32 s8, s9, s8
	s_add_i32 s7, s6, 1
	s_cmp_ge_u32 s8, s60
	s_cselect_b32 s90, s7, s6
.LBB19_5:
	s_add_i32 s6, s61, 1
	s_mul_i32 s7, s11, s6
	s_mul_hi_u32 s8, s10, s6
	s_add_i32 s9, s8, s7
	s_mov_b32 s8, 0
	s_cmp_lg_u64 s[8:9], 0
	s_mul_i32 s8, s10, s6
	s_cbranch_scc0 .LBB19_7
; %bb.6:
	v_madmk_f32 v2, v3, 0x4f800000, v2
	v_rcp_f32_e32 v2, v2
	s_sub_u32 s10, 0, s60
	s_subb_u32 s11, 0, 0
	s_mov_b64 s[6:7], 0
	v_mul_f32_e32 v2, 0x5f7ffffc, v2
	v_mul_f32_e32 v3, 0x2f800000, v2
	v_trunc_f32_e32 v3, v3
	v_madmk_f32 v2, v3, 0xcf800000, v2
	v_cvt_u32_f32_e32 v3, v3
	v_cvt_u32_f32_e32 v2, v2
	v_readfirstlane_b32 s12, v3
	v_readfirstlane_b32 s13, v2
	s_mul_hi_u32 s15, s10, s13
	s_mul_i32 s16, s10, s12
	s_mul_i32 s14, s11, s13
	s_add_i32 s15, s15, s16
	s_add_i32 s15, s15, s14
	s_mul_i32 s17, s10, s13
	s_mul_hi_u32 s14, s13, s15
	s_mul_i32 s16, s13, s15
	s_mul_hi_u32 s13, s13, s17
	s_add_u32 s13, s13, s16
	s_addc_u32 s14, 0, s14
	s_mul_hi_u32 s18, s12, s17
	s_mul_i32 s17, s12, s17
	s_add_u32 s13, s13, s17
	s_mul_hi_u32 s16, s12, s15
	s_addc_u32 s13, s14, s18
	s_addc_u32 s14, s16, 0
	s_mul_i32 s15, s12, s15
	s_add_u32 s13, s13, s15
	s_addc_u32 s14, 0, s14
	v_add_co_u32_e32 v2, vcc, s13, v2
	s_cmp_lg_u64 vcc, 0
	s_addc_u32 s12, s12, s14
	v_readfirstlane_b32 s14, v2
	s_mul_i32 s13, s10, s12
	s_mul_hi_u32 s15, s10, s14
	s_add_i32 s13, s15, s13
	s_mul_i32 s11, s11, s14
	s_add_i32 s13, s13, s11
	s_mul_i32 s10, s10, s14
	s_mul_hi_u32 s15, s12, s10
	s_mul_i32 s16, s12, s10
	s_mul_i32 s18, s14, s13
	s_mul_hi_u32 s10, s14, s10
	s_mul_hi_u32 s17, s14, s13
	s_add_u32 s10, s10, s18
	s_addc_u32 s14, 0, s17
	s_add_u32 s10, s10, s16
	s_mul_hi_u32 s11, s12, s13
	s_addc_u32 s10, s14, s15
	s_addc_u32 s11, s11, 0
	s_mul_i32 s13, s12, s13
	s_add_u32 s10, s10, s13
	s_addc_u32 s11, 0, s11
	v_add_co_u32_e32 v2, vcc, s10, v2
	s_cmp_lg_u64 vcc, 0
	s_addc_u32 s14, s12, s11
	s_ashr_i32 s10, s9, 31
	s_add_u32 s12, s8, s10
	s_mov_b32 s11, s10
	s_addc_u32 s13, s9, s10
	s_xor_b64 s[12:13], s[12:13], s[10:11]
	v_readfirstlane_b32 s16, v2
	s_mul_i32 s15, s12, s14
	s_mul_hi_u32 s17, s12, s16
	s_mul_hi_u32 s9, s12, s14
	s_add_u32 s15, s17, s15
	s_addc_u32 s9, 0, s9
	s_mul_hi_u32 s18, s13, s16
	s_mul_i32 s16, s13, s16
	s_add_u32 s15, s15, s16
	s_mul_hi_u32 s17, s13, s14
	s_addc_u32 s9, s9, s18
	s_addc_u32 s15, s17, 0
	s_mul_i32 s14, s13, s14
	s_add_u32 s9, s9, s14
	s_addc_u32 s14, 0, s15
	s_add_u32 s15, s9, 1
	s_addc_u32 s16, s14, 0
	s_add_u32 s17, s9, 2
	s_mul_i32 s19, s60, s14
	s_mul_hi_u32 s20, s60, s9
	s_addc_u32 s18, s14, 0
	s_add_i32 s20, s20, s19
	s_mul_i32 s19, s60, s9
	v_mov_b32_e32 v2, s19
	v_sub_co_u32_e32 v2, vcc, s12, v2
	s_cmp_lg_u64 vcc, 0
	s_subb_u32 s12, s13, s20
	v_subrev_co_u32_e32 v3, vcc, s60, v2
	s_cmp_lg_u64 vcc, 0
	s_subb_u32 s13, s12, 0
	v_readfirstlane_b32 s19, v3
	s_cmp_ge_u32 s19, s60
	s_cselect_b32 s19, -1, 0
	s_cmp_eq_u32 s13, 0
	s_cselect_b32 s13, s19, -1
	s_cmp_lg_u32 s13, 0
	s_cselect_b32 s13, s18, s16
	v_readfirstlane_b32 s16, v2
	s_cselect_b32 s15, s17, s15
	s_cmp_ge_u32 s16, s60
	s_cselect_b32 s16, -1, 0
	s_cmp_eq_u32 s12, 0
	s_cselect_b32 s12, s16, -1
	s_cmp_lg_u32 s12, 0
	s_cselect_b32 s13, s13, s14
	s_cselect_b32 s12, s15, s9
	s_xor_b64 s[12:13], s[12:13], s[10:11]
	s_sub_u32 s10, s12, s10
	v_writelane_b32 v254, s10, 12
	v_writelane_b32 v254, s11, 13
	s_branch .LBB19_8
.LBB19_7:
	s_mov_b64 s[6:7], -1
                                        ; implicit-def: $sgpr10_sgpr11
                                        ; kill: killed $sgpr10_sgpr11
.LBB19_8:
	s_load_dwordx2 s[10:11], s[4:5], 0x5c
	s_andn2_b64 vcc, exec, s[6:7]
	s_waitcnt lgkmcnt(0)
	v_writelane_b32 v254, s10, 10
	v_writelane_b32 v254, s11, 11
	s_cbranch_vccnz .LBB19_10
; %bb.9:
	v_rcp_iflag_f32_e32 v1, v1
	s_sub_i32 s6, 0, s60
	v_mul_f32_e32 v1, 0x4f7ffffe, v1
	v_cvt_u32_f32_e32 v1, v1
	v_readfirstlane_b32 s7, v1
	s_mul_i32 s6, s6, s7
	s_mul_hi_u32 s6, s7, s6
	s_add_i32 s7, s7, s6
	s_mul_hi_u32 s6, s8, s7
	s_mul_i32 s9, s6, s60
	s_sub_i32 s8, s8, s9
	s_add_i32 s7, s6, 1
	s_sub_i32 s9, s8, s60
	s_cmp_ge_u32 s8, s60
	s_cselect_b32 s6, s7, s6
	s_cselect_b32 s8, s9, s8
	s_add_i32 s7, s6, 1
	s_cmp_ge_u32 s8, s60
	s_cselect_b32 s6, s7, s6
	v_writelane_b32 v254, s6, 12
	v_writelane_b32 v254, s7, 13
.LBB19_10:
	s_load_dwordx16 s[68:83], s[4:5], 0x0
	s_load_dwordx4 s[20:23], s[4:5], 0x40
	s_load_dword s6, s[4:5], 0x50
	v_bfe_u32 v98, v0, 10, 10
	s_mov_b32 s89, 0
	v_lshlrev_b32_e32 v97, 1, v98
	v_lshlrev_b32_e32 v96, 2, v98
	s_waitcnt lgkmcnt(0)
	v_writelane_b32 v254, s6, 14
	s_load_dwordx2 s[6:7], s[4:5], 0x8c
	s_load_dwordx4 s[8:11], s[4:5], 0x98
	s_load_dwordx2 s[12:13], s[4:5], 0xa8
	s_load_dwordx2 s[44:45], s[4:5], 0xb8
	s_nop 0
	s_load_dwordx2 s[4:5], s[4:5], 0xc8
	v_lshlrev_b32_e32 v100, 3, v98
	s_waitcnt lgkmcnt(0)
	s_ashr_i32 s94, s6, 2
	s_ashr_i32 s96, s10, 2
	v_writelane_b32 v254, s12, 15
	v_writelane_b32 v254, s13, 16
	;; [unrolled: 1-line block ×4, first 2 shown]
	v_readlane_b32 s12, v254, 1
	s_abs_i32 s33, s12
	v_cvt_f32_u32_e32 v1, s33
	s_ashr_i32 s4, s39, 3
	v_writelane_b32 v254, s4, 19
	s_mov_b32 s5, s7
	v_rcp_iflag_f32_e32 v1, v1
	v_writelane_b32 v254, s4, 20
	v_writelane_b32 v254, s5, 21
	s_mov_b64 s[4:5], s[8:9]
	v_mul_f32_e32 v1, 0x4f7ffffe, v1
	s_mov_b32 s7, s11
	v_cvt_u32_f32_e32 v1, v1
	v_writelane_b32 v254, s4, 22
	v_writelane_b32 v254, s5, 23
	;; [unrolled: 1-line block ×4, first 2 shown]
	s_sub_i32 s6, 0, s33
	v_readfirstlane_b32 s7, v1
	s_mul_i32 s6, s6, s7
	s_ashr_i32 s5, s12, 31
	s_mul_hi_u32 s6, s7, s6
	v_writelane_b32 v254, s5, 26
	s_abs_i32 s5, s90
	s_add_i32 s47, s7, s6
	s_mul_hi_u32 s6, s5, s47
	s_mul_i32 s6, s6, s33
	s_sub_i32 s5, s5, s6
	s_ashr_i32 s40, s45, 1
	s_ashr_i32 s4, s90, 31
	s_sub_i32 s6, s5, s33
	s_cmp_ge_u32 s5, s33
	s_cselect_b32 s5, s6, s5
	s_sub_i32 s6, s5, s33
	s_cmp_ge_u32 s5, s33
	s_cselect_b32 s5, s6, s5
	s_xor_b32 s5, s5, s4
	s_sub_i32 s48, s5, s4
	v_readlane_b32 s4, v254, 12
	v_readlane_b32 s5, v254, 13
	v_writelane_b32 v254, s68, 27
	v_writelane_b32 v254, s69, 28
	;; [unrolled: 1-line block ×7, first 2 shown]
	s_mov_b32 s10, s4
	s_sub_i32 s4, s4, s90
	v_writelane_b32 v254, s75, 34
	s_add_i32 s6, s4, s48
	v_writelane_b32 v254, s76, 35
	s_min_i32 s67, s12, s6
	v_writelane_b32 v254, s77, 36
	s_cmp_gt_i32 s10, s90
	v_writelane_b32 v254, s78, 37
	s_cselect_b64 s[8:9], -1, 0
	s_cmp_le_i32 s10, s90
	v_writelane_b32 v254, s79, 38
	s_cselect_b64 s[4:5], -1, 0
	s_cmp_gt_i32 s12, s6
	v_writelane_b32 v254, s80, 39
	s_cselect_b64 s[6:7], -1, 0
	v_writelane_b32 v254, s81, 40
	s_or_b64 s[4:5], s[6:7], s[4:5]
	v_writelane_b32 v254, s82, 41
	v_cvt_f16_f32_e32 v1, s20
	s_and_b64 vcc, exec, s[4:5]
	v_writelane_b32 v254, s83, 42
	s_mov_b64 s[4:5], s[36:37]
	v_writelane_b32 v254, s4, 43
	v_writelane_b32 v254, s5, 44
	;; [unrolled: 1-line block ×3, first 2 shown]
	v_pack_b32_f16 v37, v1, v1
	v_lshlrev_b32_e32 v99, 4, v98
	v_and_b32_e32 v101, 1, v98
	v_writelane_b32 v254, s7, 46
	s_cbranch_vccnz .LBB19_287
; %bb.11:
	s_cmp_lg_u64 s[74:75], 0
	v_and_b32_e32 v22, 0x3ff, v0
	v_writelane_b32 v254, s60, 47
	s_cselect_b64 s[4:5], -1, 0
	v_lshrrev_b32_e32 v19, 3, v22
	v_writelane_b32 v254, s4, 48
	v_add_u32_e32 v105, v100, v19
	v_and_b32_e32 v28, 7, v22
	v_writelane_b32 v254, s5, 49
	s_mul_i32 s4, s36, s37
	s_cmp_eq_u64 s[76:77], 0
	v_and_b32_e32 v26, 15, v22
	v_mad_u32_u24 v2, v105, 60, v28
	v_and_b32_e32 v20, 30, v19
	v_writelane_b32 v254, s4, 50
	s_cselect_b64 s[4:5], -1, 0
	v_lshl_add_u32 v106, v2, 2, 0
	v_mul_u32_u24_e32 v2, 0xf0, v26
	v_lshlrev_b32_e32 v3, 2, v20
	v_lshrrev_b32_e32 v11, 2, v22
	v_writelane_b32 v254, s4, 51
	v_and_b32_e32 v10, 0x7f0, v100
	s_movk_i32 s9, 0xf0
	v_add3_u32 v107, 0, v2, v3
	v_and_b32_e32 v12, 16, v99
	v_and_b32_e32 v27, 60, v11
	v_writelane_b32 v254, s5, 52
	s_mov_b64 s[6:7], s[22:23]
	s_mov_b32 s5, s21
	v_mad_u32_u24 v108, v10, s9, v107
	s_movk_i32 s14, 0x90
	v_mul_u32_u24_e32 v128, 0xf0, v12
	v_add_u32_e32 v129, v12, v27
	v_or_b32_e32 v10, v10, v26
	v_add_u16_e32 v12, v12, v27
	v_writelane_b32 v254, s4, 53
	v_mad_u32_u24 v10, v10, s14, 0
	v_lshrrev_b16_e32 v12, 1, v12
	v_add_u32_e32 v131, 32, v129
	v_add_u32_e32 v133, 34, v129
	v_writelane_b32 v254, s5, 54
	v_lshl_add_u32 v130, v12, 2, v10
	v_lshl_add_u32 v132, v131, 1, v10
	;; [unrolled: 1-line block ×3, first 2 shown]
	v_or_b32_e32 v10, 3, v11
	v_writelane_b32 v254, s6, 55
	v_mul_u32_u24_e32 v29, 0xf0, v10
	v_mul_u32_u24_e32 v10, 0x78, v27
	v_and_b32_e32 v34, 8, v100
	s_movk_i32 s30, 0x1e0
	v_writelane_b32 v254, s7, 56
	v_cmp_nle_f32_e64 s[4:5], s21, 0
	v_mul_u32_u24_e32 v31, 0xf0, v27
	v_or_b32_e32 v33, v10, v26
	v_mul_u32_u24_e32 v35, 0x1e0, v34
	v_mad_u32_u24 v36, v34, s30, 0
	v_lshlrev_b32_e32 v38, 1, v26
	v_writelane_b32 v254, s4, 57
	s_cmp_lg_u64 s[78:79], 0
	v_lshlrev_b32_e32 v33, 1, v33
	v_add3_u32 v136, v36, v31, v38
	v_add3_u32 v31, 0, 32, v35
	v_writelane_b32 v254, s5, 58
	s_cselect_b64 s[4:5], -1, 0
	v_add_u32_e32 v135, v36, v33
	v_add3_u32 v137, v36, v29, v38
	v_add_u32_e32 v140, v31, v33
	v_mad_u32_u24 v36, v27, s9, v31
	v_add3_u32 v142, v31, v29, v38
	v_add3_u32 v31, 0, 64, v35
	s_add_i32 s36, 0, 0x60
	v_add_u32_e32 v144, v31, v33
	v_mad_u32_u24 v35, v27, s9, v31
	v_add3_u32 v146, v31, v29, v38
	v_mov_b32_e32 v31, s36
	s_movk_i32 s31, 0x1e00
	v_mad_u32_u24 v31, v34, s30, v31
	s_add_i32 s36, 0, 0x80
	v_add3_u32 v145, v35, v38, s31
	v_add_u32_e32 v148, v31, v33
	v_mad_u32_u24 v35, v27, s9, v31
	v_add3_u32 v150, v31, v29, v38
	v_mov_b32_e32 v31, s36
	v_mad_u32_u24 v31, v34, s30, v31
	s_add_i32 s36, 0, 0xa0
	v_add3_u32 v149, v35, v38, s31
	v_add_u32_e32 v152, v31, v33
	v_mad_u32_u24 v35, v27, s9, v31
	v_add3_u32 v154, v31, v29, v38
	v_mov_b32_e32 v31, s36
	;; [unrolled: 7-line block ×3, first 2 shown]
	v_mad_u32_u24 v31, v34, s30, v31
	v_writelane_b32 v254, s4, 59
	v_mad_u32_u24 v27, v27, s9, v31
	v_writelane_b32 v254, s5, 60
	v_add3_u32 v141, v36, v38, s31
	v_add3_u32 v157, v35, v38, s31
	;; [unrolled: 1-line block ×3, first 2 shown]
	v_cmp_eq_u32_e64 s[30:31], 0, v101
	v_writelane_b32 v254, s30, 61
	v_writelane_b32 v254, s31, 62
	v_cmp_eq_u32_e64 s[30:31], 1, v101
	v_lshlrev_b32_e32 v21, 2, v22
                                        ; implicit-def: $vgpr255 : SGPR spill to VGPR lane
	v_writelane_b32 v254, s30, 63
	v_and_b32_e32 v36, 28, v21
	v_writelane_b32 v255, s31, 0
	v_cmp_gt_u32_e64 s[30:31], 16, v22
	v_and_b32_e32 v32, 4, v21
	v_mul_u32_u24_e32 v25, 0xf0, v105
	v_and_b32_e32 v34, 12, v21
	v_lshlrev_b32_e32 v21, 2, v36
	v_writelane_b32 v255, s30, 1
	v_and_b32_e32 v24, 31, v22
	v_mul_u32_u24_e32 v2, 0x90, v98
	v_lshlrev_b32_e32 v30, 1, v22
	v_add3_u32 v164, 0, v25, v21
	v_writelane_b32 v255, s31, 2
	v_add_u32_e32 v21, v99, v22
	v_cmp_gt_u32_e64 s[30:31], 32, v22
	v_lshrrev_b32_e32 v1, 5, v22
	v_add3_u32 v109, 0, v2, v30
	v_lshrrev_b32_e32 v2, 1, v22
	v_mul_u32_u24_e32 v171, 0xf0, v21
	v_add_u32_e32 v21, v99, v24
	v_writelane_b32 v255, s30, 3
	s_lshl_b32 s88, s61, 5
	v_add_u32_e32 v103, v1, v97
	v_lshrrev_b32_e32 v18, 4, v22
	s_ashr_i32 s41, s40, 31
	s_ashr_i32 s95, s94, 31
	;; [unrolled: 1-line block ×3, first 2 shown]
	v_lshl_add_u32 v124, v98, 5, v2
	v_add_u32_e32 v126, v99, v11
	v_mul_u32_u24_e32 v172, 0xf0, v21
	v_writelane_b32 v255, s31, 4
	s_lshl_b64 s[30:31], s[88:89], 3
	v_or_b32_e32 v21, v100, v22
	v_add_u32_e32 v104, v18, v96
	v_mad_u32_u24 v2, v124, s9, 0
	v_mad_u32_u24 v23, v126, s9, 0
	s_add_u32 s9, s82, s30
	v_lshlrev_b32_e32 v21, 3, v21
	v_add_u32_e32 v174, v1, v98
	v_mad_u32_u24 v1, v103, 60, v24
	v_add3_u32 v162, v31, v29, v38
	v_writelane_b32 v255, s61, 5
	v_add_co_u32_e32 v38, vcc, s9, v21
	s_mul_i32 s9, s37, 56
	v_lshl_add_u32 v177, v1, 2, 0
	v_mad_u32_u24 v1, v104, 60, v26
	v_writelane_b32 v255, s9, 6
	v_add_u32_e32 v175, v18, v97
	v_lshl_add_u32 v181, v1, 2, 0
	v_lshlrev_b32_e32 v1, 1, v174
	v_and_b32_e32 v18, 15, v174
	s_movk_i32 s9, 0x3e0
	v_and_or_b32 v1, v1, s9, v18
	v_mul_u32_u24_e32 v183, 0xf0, v1
	v_mad_u32_u24 v1, v1, 60, v24
	v_add_u32_e32 v185, 4, v174
	v_add_u32_e32 v176, v19, v96
	v_lshl_add_u32 v184, v1, 2, 0
	v_lshlrev_b32_e32 v1, 1, v185
	v_and_b32_e32 v19, 15, v185
	s_movk_i32 s9, 0x7e0
	v_and_or_b32 v1, v1, s9, v19
	v_mul_u32_u24_e32 v186, 0xf0, v1
	v_mad_u32_u24 v1, v1, 60, v24
	v_add_u32_e32 v188, 8, v174
	v_lshl_add_u32 v187, v1, 2, 0
	v_lshlrev_b32_e32 v1, 1, v188
	v_and_b32_e32 v19, 15, v188
	v_and_or_b32 v1, v1, s9, v19
	v_mul_u32_u24_e32 v189, 0xf0, v1
	v_mad_u32_u24 v1, v1, 60, v24
	v_add_u32_e32 v191, 12, v174
	v_lshl_add_u32 v190, v1, 2, 0
	v_lshlrev_b32_e32 v1, 1, v191
	v_and_b32_e32 v19, 15, v191
	v_and_or_b32 v1, v1, s9, v19
	v_mul_u32_u24_e32 v205, 0xf0, v1
	v_mad_u32_u24 v1, v1, 60, v24
	v_add_u32_e32 v202, 16, v174
	v_lshl_add_u32 v201, v1, 2, 0
	v_lshlrev_b32_e32 v1, 1, v202
	v_and_or_b32 v1, v1, s9, v18
	v_mul_u32_u24_e32 v18, 0xf0, v1
	v_mad_u32_u24 v1, v1, 60, v24
	v_add_u32_e32 v197, 20, v174
	buffer_store_dword v18, off, s[0:3], 0 offset:16 ; 4-byte Folded Spill
	v_lshl_add_u32 v196, v1, 2, 0
	v_lshlrev_b32_e32 v1, 1, v197
	v_and_b32_e32 v18, 15, v197
	v_and_or_b32 v1, v1, s9, v18
	v_mul_u32_u24_e32 v18, 0xf0, v1
	v_mad_u32_u24 v1, v1, 60, v24
	v_lshl_add_u32 v1, v1, 2, 0
	v_add_u32_e32 v200, 24, v174
	buffer_store_dword v18, off, s[0:3], 0 offset:20 ; 4-byte Folded Spill
	buffer_store_dword v1, off, s[0:3], 0 offset:24 ; 4-byte Folded Spill
	v_lshlrev_b32_e32 v1, 1, v200
	v_and_b32_e32 v18, 15, v200
	v_and_or_b32 v1, v1, s9, v18
	v_mul_u32_u24_e32 v18, 0xf0, v1
	v_mad_u32_u24 v1, v1, 60, v24
	v_lshl_add_u32 v1, v1, 2, 0
	v_add_u32_e32 v203, 28, v174
	buffer_store_dword v18, off, s[0:3], 0 offset:28 ; 4-byte Folded Spill
	buffer_store_dword v1, off, s[0:3], 0 offset:32 ; 4-byte Folded Spill
	v_lshlrev_b32_e32 v1, 1, v203
	v_and_b32_e32 v18, 15, v203
	v_and_or_b32 v1, v1, s9, v18
	v_mul_u32_u24_e32 v18, 0xf0, v1
	v_mad_u32_u24 v1, v1, 60, v24
	v_lshl_add_u32 v1, v1, 2, 0
	buffer_store_dword v18, off, s[0:3], 0 offset:36 ; 4-byte Folded Spill
	buffer_store_dword v1, off, s[0:3], 0 offset:40 ; 4-byte Folded Spill
	v_lshlrev_b32_e32 v1, 1, v175
	v_and_b32_e32 v18, 15, v175
	v_and_or_b32 v1, v1, s9, v18
	v_mul_u32_u24_e32 v206, 0xf0, v1
	v_mad_u32_u24 v1, v1, 60, v26
	v_add_u32_e32 v208, 8, v175
	v_lshl_add_u32 v207, v1, 2, 0
	v_lshlrev_b32_e32 v1, 1, v208
	v_and_b32_e32 v19, 15, v208
	s_movk_i32 s9, 0xfe0
	v_and_or_b32 v1, v1, s9, v19
	v_mul_u32_u24_e32 v209, 0xf0, v1
	v_mad_u32_u24 v1, v1, 60, v26
	v_add_u32_e32 v211, 16, v175
	v_lshl_add_u32 v210, v1, 2, 0
	v_lshlrev_b32_e32 v1, 1, v211
	v_and_or_b32 v1, v1, s9, v18
	v_mul_u32_u24_e32 v212, 0xf0, v1
	v_mad_u32_u24 v1, v1, 60, v26
	v_add_u32_e32 v214, 24, v175
	v_lshl_add_u32 v213, v1, 2, 0
	v_lshlrev_b32_e32 v1, 1, v214
	v_and_b32_e32 v18, 15, v214
	v_and_or_b32 v1, v1, s9, v18
	v_mul_u32_u24_e32 v215, 0xf0, v1
	v_mad_u32_u24 v1, v1, 60, v26
	v_lshl_add_u32 v216, v1, 2, 0
	v_lshlrev_b32_e32 v1, 1, v176
	v_and_b32_e32 v18, 15, v176
	v_and_or_b32 v1, v1, s9, v18
	v_mul_u32_u24_e32 v217, 0xf0, v1
	v_mad_u32_u24 v1, v1, 60, v28
	v_add_u32_e32 v219, 16, v176
	v_lshl_add_u32 v218, v1, 2, 0
	v_lshlrev_b32_e32 v1, 1, v219
	s_movk_i32 s9, 0x1fe0
	s_addc_u32 s30, s83, s31
	v_and_or_b32 v1, v1, s9, v18
	v_readlane_b32 s9, v254, 7
	v_mov_b32_e32 v21, s30
	v_mul_u32_u24_e32 v220, 0xf0, v1
	v_mad_u32_u24 v1, v1, 60, v28
	s_ashr_i32 s30, s9, 31
	s_abs_i32 s9, s9
	v_lshl_add_u32 v221, v1, 2, 0
	v_cvt_f32_u32_e32 v1, s9
	v_writelane_b32 v255, s30, 7
	v_writelane_b32 v255, s9, 8
	s_sub_i32 s9, 0, s9
	v_rcp_iflag_f32_e32 v1, v1
	v_mul_lo_u32 v14, s96, v124
	v_ashrrev_i32_e32 v15, 31, v14
	v_addc_co_u32_e32 v39, vcc, 0, v21, vcc
	v_mul_f32_e32 v1, 0x4f7ffffe, v1
	v_cvt_u32_f32_e32 v1, v1
	v_lshlrev_b64 v[40:41], 2, v[14:15]
	s_movk_i32 s8, 0xc0
	v_mul_lo_u32 v16, s96, v126
	v_readfirstlane_b32 s30, v1
	s_mul_i32 s9, s9, s30
	s_mul_hi_u32 s9, s30, s9
	s_add_i32 s9, s30, s9
	v_writelane_b32 v255, s9, 9
	v_readlane_b32 s9, v254, 6
	s_ashr_i32 s30, s9, 31
	s_abs_i32 s9, s9
	v_cvt_f32_u32_e32 v1, s9
	v_writelane_b32 v255, s30, 10
	v_writelane_b32 v255, s9, 11
	s_sub_i32 s9, 0, s9
	v_rcp_iflag_f32_e32 v1, v1
	v_ashrrev_i32_e32 v17, 31, v16
	v_lshlrev_b64 v[42:43], 2, v[16:17]
	v_mov_b32_e32 v17, s73
	v_mul_f32_e32 v1, 0x4f7ffffe, v1
	v_cvt_u32_f32_e32 v1, v1
	v_mul_lo_u32 v12, s96, v105
	s_movk_i32 s86, 0x80
	v_ashrrev_i32_e32 v13, 31, v12
	v_readfirstlane_b32 s30, v1
	s_mul_i32 s9, s9, s30
	s_mul_hi_u32 s9, s30, s9
	s_add_i32 s9, s30, s9
	v_writelane_b32 v255, s9, 12
	v_readlane_b32 s9, v254, 3
	s_ashr_i32 s30, s9, 31
	s_abs_i32 s9, s9
	v_cvt_f32_u32_e32 v1, s9
	v_writelane_b32 v255, s30, 13
	v_writelane_b32 v255, s9, 14
	s_sub_i32 s9, 0, s9
	v_rcp_iflag_f32_e32 v1, v1
	v_lshlrev_b64 v[44:45], 2, v[12:13]
	v_add_u32_e32 v127, 32, v105
	v_mul_lo_u32 v10, s96, v127
	v_mul_f32_e32 v1, 0x4f7ffffe, v1
	v_cvt_u32_f32_e32 v1, v1
	v_ashrrev_i32_e32 v11, 31, v10
	v_lshlrev_b64 v[46:47], 2, v[10:11]
	v_mul_lo_u32 v8, s94, v124
	v_readfirstlane_b32 s30, v1
	s_mul_i32 s9, s9, s30
	s_mul_hi_u32 s9, s30, s9
	s_add_i32 s9, s30, s9
	v_writelane_b32 v255, s9, 15
	s_abs_i32 s9, s44
	v_cvt_f32_u32_e32 v1, s9
	s_mov_b32 s30, s44
	v_writelane_b32 v255, s30, 16
	v_writelane_b32 v255, s31, 17
	v_rcp_iflag_f32_e32 v1, v1
	v_writelane_b32 v255, s9, 18
	s_sub_i32 s9, 0, s9
	v_ashrrev_i32_e32 v9, 31, v8
	v_mul_f32_e32 v1, 0x4f7ffffe, v1
	v_cvt_u32_f32_e32 v1, v1
	v_lshlrev_b64 v[48:49], 2, v[8:9]
	v_mov_b32_e32 v9, s71
	v_mul_lo_u32 v6, s94, v126
	v_mul_lo_u32 v18, s9, v1
	v_mul_hi_u32 v18, v1, v18
	v_add_u32_e32 v222, v1, v18
	v_and_b32_e32 v1, 1, v22
	v_lshlrev_b32_e32 v1, 4, v1
	v_add_co_u32_e32 v14, vcc, v1, v40
	v_addc_co_u32_e32 v15, vcc, 0, v41, vcc
	v_add_co_u32_e32 v14, vcc, s72, v14
	v_mov_b32_e32 v18, s73
	v_addc_co_u32_e32 v15, vcc, v15, v18, vcc
	v_add_co_u32_e32 v223, vcc, s8, v14
	v_and_b32_e32 v14, 3, v22
	v_addc_co_u32_e32 v224, vcc, 0, v15, vcc
	v_lshlrev_b32_e32 v14, 4, v14
	v_add_co_u32_e32 v15, vcc, v14, v42
	v_addc_co_u32_e32 v16, vcc, 0, v43, vcc
	v_add_co_u32_e32 v15, vcc, s72, v15
	v_addc_co_u32_e32 v16, vcc, v16, v17, vcc
	;; [unrolled: 2-line block ×3, first 2 shown]
	v_lshlrev_b32_e32 v15, 4, v28
	v_add_co_u32_e32 v12, vcc, v15, v44
	v_addc_co_u32_e32 v13, vcc, 0, v45, vcc
	v_add_co_u32_e32 v227, vcc, s72, v12
	v_mov_b32_e32 v12, s73
	v_addc_co_u32_e32 v228, vcc, v12, v13, vcc
	v_add_co_u32_e32 v10, vcc, v15, v46
	v_addc_co_u32_e32 v11, vcc, 0, v47, vcc
	v_add_co_u32_e32 v229, vcc, s72, v10
	v_mov_b32_e32 v10, s73
	v_addc_co_u32_e32 v230, vcc, v10, v11, vcc
	v_add_co_u32_e32 v1, vcc, v1, v48
	v_addc_co_u32_e32 v8, vcc, 0, v49, vcc
	v_add_co_u32_e32 v1, vcc, s70, v1
	v_addc_co_u32_e32 v8, vcc, v8, v9, vcc
	v_ashrrev_i32_e32 v7, 31, v6
	v_add_co_u32_e32 v231, vcc, s8, v1
	v_addc_co_u32_e32 v232, vcc, 0, v8, vcc
	v_lshlrev_b64 v[50:51], 2, v[6:7]
	v_add_co_u32_e32 v1, vcc, v14, v50
	v_addc_co_u32_e32 v6, vcc, 0, v51, vcc
	v_add_co_u32_e32 v1, vcc, s70, v1
	v_mov_b32_e32 v7, s71
	v_mul_lo_u32 v4, s94, v105
	v_addc_co_u32_e32 v6, vcc, v6, v7, vcc
	v_ashrrev_i32_e32 v5, 31, v4
	v_add_co_u32_e32 v233, vcc, s86, v1
	v_addc_co_u32_e32 v234, vcc, 0, v6, vcc
	v_lshlrev_b64 v[52:53], 2, v[4:5]
	v_lshlrev_b32_e32 v3, 2, v32
	v_add_co_u32_e32 v1, vcc, v15, v52
	v_add3_u32 v125, v2, v3, s8
	v_lshl_add_u32 v2, s94, 5, v4
	v_addc_co_u32_e32 v4, vcc, 0, v53, vcc
	v_ashrrev_i32_e32 v3, 31, v2
	v_add_co_u32_e32 v235, vcc, s70, v1
	v_mov_b32_e32 v1, s71
	v_addc_co_u32_e32 v236, vcc, v1, v4, vcc
	v_lshlrev_b64 v[54:55], 2, v[2:3]
	v_add_co_u32_e32 v1, vcc, v15, v54
	v_addc_co_u32_e32 v2, vcc, 0, v55, vcc
	s_lshl_b64 s[8:9], s[40:41], 1
	v_or_b32_e32 v21, v99, v26
	v_add_co_u32_e32 v237, vcc, s70, v1
	v_mov_b32_e32 v1, s71
	v_writelane_b32 v255, s8, 19
	s_mov_b64 s[34:35], src_private_base
	v_lshlrev_b32_e32 v27, 2, v34
	v_mad_u32_u24 v20, v21, 60, v20
	v_addc_co_u32_e32 v238, vcc, v1, v2, vcc
	v_writelane_b32 v255, s9, 20
	v_mbcnt_lo_u32_b32 v1, -1, 0
	v_mov_b32_e32 v102, 0
	v_cmp_lt_u32_e64 s[4:5], 63, v22
	v_add_u32_e32 v110, 4, v98
	v_add_u32_e32 v111, 0x240, v109
	;; [unrolled: 1-line block ×14, first 2 shown]
	s_mov_b32 s34, 0
	v_cmp_gt_u32_e64 s[6:7], 64, v124
	v_cmp_gt_u32_e64 s[62:63], 64, v126
	;; [unrolled: 1-line block ×12, first 2 shown]
	v_add_u32_e32 v138, 0x1e00, v136
	v_add_u32_e32 v139, 32, v136
	;; [unrolled: 1-line block ×8, first 2 shown]
	v_add3_u32 v163, v23, v27, s86
	v_add_u32_e32 v165, 0x1e00, v164
	v_or_b32_e32 v166, 1, v129
	v_or_b32_e32 v167, 2, v129
	;; [unrolled: 1-line block ×3, first 2 shown]
	v_add_u32_e32 v169, 33, v129
	v_add_u32_e32 v170, 35, v129
	v_lshl_add_u32 v173, v20, 2, 0
	v_add_u32_e32 v178, 8, v103
	v_add_u32_e32 v179, 16, v103
	;; [unrolled: 1-line block ×4, first 2 shown]
	s_lshl_b64 s[38:39], s[96:97], 8
	s_lshl_b64 s[36:37], s[94:95], 8
	v_mov_b32_e32 v239, 0x3ecccdef
	s_mov_b32 s99, 0x42b17218
	s_mov_b32 s85, 0x3fb8aa3b
	s_mov_b32 s30, 0xc2ce8ed0
	s_mov_b32 s87, 0xc1a00000
	s_mov_b32 s91, 0x5040100
	v_mov_b32_e32 v240, 0x37000000
	v_mov_b32_e32 v241, 0x7f800000
	;; [unrolled: 1-line block ×3, first 2 shown]
	v_mbcnt_hi_u32_b32 v243, -1, v1
	v_writelane_b32 v255, s47, 21
	s_mov_b32 s70, s40
	s_branch .LBB19_14
.LBB19_12:                              ;   in Loop: Header=BB19_14 Depth=1
	s_or_b64 exec, exec, s[8:9]
	s_barrier
.LBB19_13:                              ;   in Loop: Header=BB19_14 Depth=1
	v_readlane_b32 s41, v254, 1
	s_add_i32 s8, s90, s41
	s_abs_i32 s31, s8
	v_readlane_b32 s47, v255, 21
	s_mul_hi_u32 s40, s31, s47
	s_mul_i32 s40, s40, s33
	s_sub_i32 s31, s31, s40
	s_ashr_i32 s9, s8, 31
	s_sub_i32 s40, s31, s33
	s_cmp_ge_u32 s31, s33
	s_cselect_b32 s31, s40, s31
	s_sub_i32 s40, s31, s33
	s_cmp_ge_u32 s31, s33
	s_cselect_b32 s31, s40, s31
	s_xor_b32 s31, s31, s9
	s_sub_i32 s9, s9, s31
	s_add_i32 s90, s8, s9
	v_readlane_b32 s8, v254, 12
	s_sub_i32 s31, s8, s90
	s_min_i32 s67, s41, s31
	v_readlane_b32 s9, v254, 13
	s_cmp_gt_i32 s8, s90
	s_cselect_b64 s[8:9], -1, 0
	s_cmp_le_i32 s41, s31
	s_cselect_b64 s[40:41], -1, 0
	s_and_b64 s[40:41], s[40:41], s[8:9]
	s_mov_b32 s48, 0
	s_and_b64 vcc, exec, s[40:41]
	s_cbranch_vccz .LBB19_289
.LBB19_14:                              ; =>This Loop Header: Depth=1
                                        ;     Child Loop BB19_191 Depth 2
                                        ;     Child Loop BB19_51 Depth 2
	s_ashr_i32 s8, s90, 31
	v_readlane_b32 s9, v255, 7
	s_xor_b32 s8, s8, s9
	s_abs_i32 s9, s90
	v_readlane_b32 s31, v255, 9
	s_mul_hi_u32 s31, s9, s31
	v_readlane_b32 s42, v255, 8
	s_mul_i32 s40, s31, s42
	s_sub_i32 s9, s9, s40
	s_add_i32 s40, s31, 1
	s_sub_i32 s41, s9, s42
	s_cmp_ge_u32 s9, s42
	s_cselect_b32 s31, s40, s31
	s_cselect_b32 s9, s41, s9
	s_add_i32 s40, s31, 1
	s_cmp_ge_u32 s9, s42
	s_cselect_b32 s9, s40, s31
	s_xor_b32 s9, s9, s8
	s_sub_i32 s49, s9, s8
	v_readlane_b32 s8, v254, 48
	v_readlane_b32 s9, v254, 49
	s_mov_b32 s52, s70
	s_andn2_b64 vcc, exec, s[8:9]
	s_ashr_i32 s50, s49, 31
	s_cbranch_vccnz .LBB19_16
; %bb.15:                               ;   in Loop: Header=BB19_14 Depth=1
	s_abs_i32 s8, s49
	v_mul_hi_u32 v1, s8, v222
	v_readlane_b32 s9, v255, 18
	v_mul_lo_u32 v1, v1, s9
	v_sub_u32_e32 v1, s8, v1
	v_subrev_u32_e32 v2, s9, v1
	v_cmp_le_u32_e32 vcc, s9, v1
	v_cndmask_b32_e32 v1, v1, v2, vcc
	v_subrev_u32_e32 v2, s9, v1
	v_cmp_le_u32_e32 vcc, s9, v1
	v_cndmask_b32_e32 v1, v1, v2, vcc
	v_xor_b32_e32 v1, s50, v1
	v_readlane_b32 s8, v254, 17
	v_subrev_u32_e32 v1, s50, v1
	v_readlane_b32 s9, v254, 18
	v_ashrrev_i32_e32 v2, 31, v1
	v_mul_lo_u32 v3, v1, s9
	v_mul_hi_u32 v4, v1, s8
	v_readlane_b32 s68, v254, 27
	v_add_u32_e32 v3, v4, v3
	v_mul_lo_u32 v2, v2, s8
	v_mul_lo_u32 v1, v1, s8
	v_readlane_b32 s74, v254, 33
	v_readlane_b32 s75, v254, 34
	v_add_u32_e32 v2, v3, v2
	v_mov_b32_e32 v3, s75
	v_add_co_u32_e32 v58, vcc, s74, v1
	v_addc_co_u32_e32 v59, vcc, v3, v2, vcc
	v_readlane_b32 s69, v254, 28
	v_readlane_b32 s70, v254, 29
	;; [unrolled: 1-line block ×13, first 2 shown]
	s_branch .LBB19_17
.LBB19_16:                              ;   in Loop: Header=BB19_14 Depth=1
	v_pk_mov_b32 v[58:59], 0, 0
.LBB19_17:                              ;   in Loop: Header=BB19_14 Depth=1
	v_readlane_b32 s8, v254, 7
	s_mul_i32 s8, s49, s8
	s_sub_i32 s8, s90, s8
	s_ashr_i32 s9, s8, 31
	v_readlane_b32 s31, v255, 10
	s_xor_b32 s9, s9, s31
	s_abs_i32 s31, s8
	v_readlane_b32 s40, v255, 12
	s_mul_hi_u32 s40, s31, s40
	v_readlane_b32 s43, v255, 11
	s_mul_i32 s41, s40, s43
	s_sub_i32 s31, s31, s41
	s_add_i32 s41, s40, 1
	s_sub_i32 s42, s31, s43
	s_cmp_ge_u32 s31, s43
	s_cselect_b32 s40, s41, s40
	s_cselect_b32 s31, s42, s31
	s_add_i32 s41, s40, 1
	s_cmp_ge_u32 s31, s43
	s_cselect_b32 s31, s41, s40
	s_xor_b32 s31, s31, s9
	s_sub_i32 s51, s31, s9
	v_readlane_b32 s9, v254, 6
	s_mul_i32 s9, s51, s9
	s_sub_i32 s8, s8, s9
	s_ashr_i32 s9, s8, 31
	v_readlane_b32 s31, v255, 13
	s_xor_b32 s9, s9, s31
	s_abs_i32 s31, s8
	v_readlane_b32 s40, v255, 15
	s_mul_hi_u32 s40, s31, s40
	v_readlane_b32 s43, v255, 14
	s_mul_i32 s41, s40, s43
	s_sub_i32 s31, s31, s41
	s_add_i32 s41, s40, 1
	s_sub_i32 s42, s31, s43
	s_cmp_ge_u32 s31, s43
	s_cselect_b32 s40, s41, s40
	s_cselect_b32 s31, s42, s31
	s_add_i32 s41, s40, 1
	s_cmp_ge_u32 s31, s43
	s_cselect_b32 s31, s41, s40
	s_xor_b32 s31, s31, s9
	s_sub_i32 s9, s31, s9
	v_readlane_b32 s31, v254, 2
	v_readlane_b32 s40, v254, 57
	s_mul_i32 s31, s51, s31
	v_readlane_b32 s41, v254, 58
	s_add_i32 s46, s31, s9
	s_andn2_b64 vcc, exec, s[40:41]
	v_mov_b32_e32 v56, 1.0
	s_cbranch_vccnz .LBB19_19
; %bb.18:                               ;   in Loop: Header=BB19_14 Depth=1
	v_readlane_b32 s41, v254, 14
	s_sub_i32 s40, s46, s41
	s_lshl_b32 s40, s40, 1
	s_add_i32 s31, s46, 1
	s_or_b32 s42, s40, 1
	s_cmp_lt_u32 s46, s41
	v_readlane_b32 s56, v254, 53
	v_readlane_b32 s58, v254, 55
	;; [unrolled: 1-line block ×3, first 2 shown]
	s_cselect_b64 vcc, -1, 0
	s_mov_b64 s[54:55], s[58:59]
	s_and_b64 s[40:41], vcc, exec
	v_mov_b32_e32 v1, s55
	v_mov_b32_e32 v2, s54
	s_cselect_b32 s31, s31, s42
	v_cndmask_b32_e32 v18, v1, v2, vcc
	v_cvt_f32_i32_e32 v1, s31
	v_cmp_neq_f32_e32 vcc, 1.0, v18
	s_mov_b32 s31, 0x3f2aaaab
	s_mov_b32 s42, 0x7f800000
	v_cndmask_b32_e32 v19, 1.0, v1, vcc
	v_cmp_eq_f32_e32 vcc, 0, v19
	v_cndmask_b32_e64 v20, |v18|, 1.0, vcc
	v_frexp_mant_f32_e32 v1, v20
	v_cmp_gt_f32_e64 s[40:41], s31, v1
	v_cndmask_b32_e64 v2, 1.0, 2.0, s[40:41]
	v_mul_f32_e32 v1, v1, v2
	v_add_f32_e32 v2, 1.0, v1
	v_rcp_f32_e32 v10, v2
	v_add_f32_e32 v3, -1.0, v2
	v_sub_f32_e32 v5, v1, v3
	v_add_f32_e32 v3, -1.0, v1
	v_mul_f32_e32 v1, v3, v10
	v_mul_f32_e32 v4, v2, v1
	v_fma_f32 v6, v1, v2, -v4
	v_fmac_f32_e32 v6, v1, v5
	v_add_f32_e32 v2, v4, v6
	v_sub_f32_e32 v5, v3, v2
	v_pk_add_f32 v[8:9], v[2:3], v[4:5] neg_lo:[0,1] neg_hi:[0,1]
	v_mov_b32_e32 v7, v2
	v_pk_add_f32 v[2:3], v[8:9], v[6:7] neg_lo:[0,1] neg_hi:[0,1]
	v_add_f32_e32 v2, v2, v3
	v_add_f32_e32 v2, v5, v2
	v_mul_f32_e32 v3, v10, v2
	v_add_f32_e32 v2, v1, v3
	v_sub_f32_e32 v1, v2, v1
	v_sub_f32_e32 v1, v3, v1
	v_mul_f32_e32 v3, v2, v2
	v_fma_f32 v5, v2, v2, -v3
	v_add_f32_e32 v4, v1, v1
	v_fmac_f32_e32 v5, v2, v4
	v_add_f32_e32 v4, v3, v5
	v_mov_b32_e32 v6, 0x3e91f4c4
	v_fmac_f32_e32 v6, 0x3e76c4e1, v4
	v_fma_f32 v6, v4, v6, v239
	v_sub_f32_e32 v3, v4, v3
	v_sub_f32_e32 v12, v5, v3
	v_mul_f32_e32 v3, v4, v6
	v_fma_f32 v5, v4, v6, -v3
	v_fmac_f32_e32 v5, v12, v6
	v_add_f32_e32 v6, v3, v5
	v_add_f32_e32 v7, 0x3f2aaaaa, v6
	v_sub_f32_e32 v3, v6, v3
	v_sub_f32_e32 v3, v5, v3
	v_add_f32_e32 v5, 0xbf2aaaaa, v7
	v_add_f32_e32 v3, 0x31739010, v3
	v_sub_f32_e32 v5, v6, v5
	v_pk_mul_f32 v[8:9], v[2:3], v[4:5]
	v_fma_f32 v6, v4, v2, -v8
	v_pk_add_f32 v[10:11], v[2:3], v[4:5]
	v_fmac_f32_e32 v6, v4, v1
	v_mov_b32_e32 v9, v11
	v_fmac_f32_e32 v6, v12, v2
	v_pk_add_f32 v[4:5], v[8:9], v[6:7]
	v_sub_f32_e32 v3, v4, v8
	v_sub_f32_e32 v3, v6, v3
	;; [unrolled: 1-line block ×3, first 2 shown]
	v_add_f32_e32 v10, v11, v6
	v_mov_b32_e32 v6, v5
	v_pk_mul_f32 v[6:7], v[4:5], v[6:7]
	v_cvt_f64_f32_e32 v[8:9], v20
	v_frexp_exp_i32_f64_e32 v7, v[8:9]
	v_subbrev_co_u32_e64 v7, s[40:41], 0, v7, s[40:41]
	v_cvt_f32_i32_e32 v7, v7
	v_fma_f32 v8, v4, v5, -v6
	v_fmac_f32_e32 v8, v4, v10
	s_mov_b32 s31, 0x3f317218
	v_mul_f32_e32 v4, 0x3f317218, v7
	v_fmac_f32_e32 v8, v3, v5
	v_fma_f32 v10, v7, s31, -v4
	v_fmac_f32_e32 v10, 0xb102e308, v7
	v_ldexp_f32 v11, v2, 1
	v_add_f32_e32 v5, v6, v8
	v_pk_add_f32 v[2:3], v[4:5], v[10:11]
	v_mov_b32_e32 v12, v5
	v_mov_b32_e32 v13, v3
	;; [unrolled: 1-line block ×3, first 2 shown]
	v_pk_add_f32 v[6:7], v[12:13], v[6:7] neg_lo:[0,1] neg_hi:[0,1]
	v_mov_b32_e32 v9, v5
	v_ldexp_f32 v1, v1, 1
	v_pk_add_f32 v[6:7], v[8:9], v[6:7] neg_lo:[0,1] neg_hi:[0,1]
	v_add_f32_e32 v1, v1, v6
	v_add_f32_e32 v5, v1, v7
	v_pk_add_f32 v[6:7], v[2:3], v[4:5] neg_lo:[0,1] neg_hi:[0,1]
	v_pk_add_f32 v[8:9], v[2:3], v[4:5]
	v_mov_b32_e32 v12, v6
	v_mov_b32_e32 v13, v9
	;; [unrolled: 1-line block ×3, first 2 shown]
	v_pk_add_f32 v[12:13], v[10:11], v[12:13]
	v_mov_b32_e32 v4, v13
	v_pk_add_f32 v[14:15], v[4:5], v[2:3] neg_lo:[0,1] neg_hi:[0,1]
	v_mov_b32_e32 v1, v14
	v_mov_b32_e32 v12, v9
	;; [unrolled: 1-line block ×4, first 2 shown]
	v_pk_add_f32 v[6:7], v[10:11], v[6:7] neg_lo:[0,1] neg_hi:[0,1]
	v_pk_add_f32 v[16:17], v[8:9], v[0:1] neg_lo:[0,1] neg_hi:[0,1]
	;; [unrolled: 1-line block ×3, first 2 shown]
	v_mov_b32_e32 v10, v5
	v_pk_add_f32 v[2:3], v[10:11], v[2:3] neg_lo:[0,1] neg_hi:[0,1]
	v_mov_b32_e32 v16, v6
	v_pk_add_f32 v[8:9], v[16:17], v[2:3]
	v_mov_b32_e32 v10, v9
	v_pk_add_f32 v[10:11], v[8:9], v[10:11]
	v_pk_add_f32 v[4:5], v[4:5], v[10:11]
	v_mov_b32_e32 v7, v13
	v_mov_b32_e32 v9, v4
	v_pk_add_f32 v[12:13], v[8:9], v[6:7] neg_lo:[0,1] neg_hi:[0,1]
	v_mov_b32_e32 v3, v10
	v_sub_f32_e32 v1, v8, v12
	v_pk_add_f32 v[2:3], v[2:3], v[12:13] neg_lo:[0,1] neg_hi:[0,1]
	v_sub_f32_e32 v1, v6, v1
	v_add_f32_e32 v1, v2, v1
	v_add_f32_e32 v1, v1, v3
	;; [unrolled: 1-line block ×3, first 2 shown]
	v_sub_f32_e32 v3, v2, v4
	v_sub_f32_e32 v1, v1, v3
	v_mul_f32_e32 v3, v19, v2
	v_fma_f32 v2, v19, v2, -v3
	v_fmac_f32_e32 v2, v19, v1
	s_movk_i32 s31, 0x204
	v_add_f32_e32 v1, v3, v2
	v_cmp_class_f32_e64 s[40:41], v3, s31
	v_sub_f32_e32 v4, v1, v3
	v_cndmask_b32_e64 v1, v1, v3, s[40:41]
	v_cmp_eq_f32_e64 s[40:41], s99, v1
	v_cndmask_b32_e64 v3, 0, v240, s[40:41]
	v_sub_f32_e32 v2, v2, v4
	v_sub_f32_e32 v4, v1, v3
	v_mul_f32_e32 v5, 0x3fb8aa3b, v4
	v_fma_f32 v6, v4, s85, -v5
	v_rndne_f32_e32 v7, v5
	v_fmac_f32_e32 v6, 0x32a5705f, v4
	v_sub_f32_e32 v5, v5, v7
	v_add_f32_e32 v5, v5, v6
	v_exp_f32_e32 v5, v5
	v_cvt_i32_f32_e32 v6, v7
	v_cmp_neq_f32_e64 s[40:41], |v1|, s42
	v_cndmask_b32_e64 v1, 0, v2, s[40:41]
	v_cmp_ngt_f32_e64 s[40:41], s30, v4
	v_ldexp_f32 v2, v5, v6
	v_cndmask_b32_e64 v2, 0, v2, s[40:41]
	v_cmp_nlt_f32_e64 s[40:41], s99, v4
	v_add_f32_e32 v1, v3, v1
	v_cndmask_b32_e64 v2, v241, v2, s[40:41]
	v_fma_f32 v1, v2, v1, v2
	v_cmp_class_f32_e64 s[40:41], v2, s31
	v_trunc_f32_e32 v3, v19
	v_cndmask_b32_e64 v1, v1, v2, s[40:41]
	v_cndmask_b32_e64 v2, v18, 1.0, vcc
	v_cmp_eq_f32_e32 vcc, v3, v19
	v_mul_f32_e32 v3, 0.5, v19
	v_trunc_f32_e32 v4, v3
	v_cmp_neq_f32_e64 s[40:41], v4, v3
	s_and_b64 s[40:41], vcc, s[40:41]
	v_cndmask_b32_e64 v3, 1.0, v2, s[40:41]
	s_brev_b32 s31, -2
	v_bfi_b32 v1, s31, v1, v3
	v_cndmask_b32_e32 v3, v242, v1, vcc
	v_cmp_gt_f32_e32 vcc, 0, v2
	v_cndmask_b32_e32 v1, v1, v3, vcc
	v_cmp_eq_f32_e32 vcc, s42, v20
	v_cmp_eq_f32_e64 s[42:43], 0, v2
	v_cmp_gt_f32_e64 s[44:45], 0, v19
	s_xor_b64 s[44:45], s[44:45], s[42:43]
	v_cndmask_b32_e64 v3, v241, 0, s[44:45]
	v_cndmask_b32_e64 v4, 0, v2, s[40:41]
	v_bfi_b32 v3, s31, v3, v4
	s_or_b64 vcc, vcc, s[42:43]
	v_cndmask_b32_e32 v1, v1, v3, vcc
	v_cmp_o_f32_e32 vcc, v2, v2
	v_readlane_b32 s57, v254, 54
	v_cndmask_b32_e32 v56, v242, v1, vcc
	s_mov_b32 s53, s57
.LBB19_19:                              ;   in Loop: Header=BB19_14 Depth=1
	v_readlane_b32 s31, v254, 3
	s_mul_i32 s9, s9, s31
	s_sub_i32 s8, s8, s9
	s_ashr_i32 s9, s8, 31
	v_readlane_b32 s31, v254, 26
	s_abs_i32 s8, s8
	s_xor_b32 s9, s9, s31
	s_mul_hi_u32 s31, s8, s47
	s_mul_i32 s40, s31, s33
	s_sub_i32 s8, s8, s40
	s_add_i32 s40, s31, 1
	s_sub_i32 s41, s8, s33
	s_cmp_ge_u32 s8, s33
	s_cselect_b32 s31, s40, s31
	s_cselect_b32 s8, s41, s8
	s_add_i32 s40, s31, 1
	s_cmp_ge_u32 s8, s33
	s_cselect_b32 s8, s40, s31
	s_xor_b32 s8, s8, s9
	v_readlane_b32 s40, v254, 59
	v_readlane_b32 s41, v254, 60
	s_sub_i32 s9, s8, s9
	s_andn2_b64 vcc, exec, s[40:41]
	v_writelane_b32 v255, s9, 22
	s_cbranch_vccnz .LBB19_21
; %bb.20:                               ;   in Loop: Header=BB19_14 Depth=1
	v_readlane_b32 s8, v254, 0
	s_mul_i32 s8, s49, s8
	s_add_i32 s8, s9, s8
	s_ashr_i32 s9, s8, 31
	v_readlane_b32 s68, v254, 27
	s_lshl_b64 s[8:9], s[8:9], 2
	v_readlane_b32 s78, v254, 37
	v_readlane_b32 s79, v254, 38
	s_add_u32 s8, s78, s8
	s_addc_u32 s9, s79, s9
	global_load_dword v1, v102, s[8:9]
	v_readlane_b32 s69, v254, 28
	v_readlane_b32 s70, v254, 29
	;; [unrolled: 1-line block ×13, first 2 shown]
	s_waitcnt vmcnt(0)
	v_readfirstlane_b32 s8, v1
	s_ashr_i32 s9, s8, 31
	s_lshr_b32 s9, s9, 26
	s_add_i32 s8, s8, s9
	s_ashr_i32 s8, s8, 6
	s_min_i32 s67, s67, s8
	s_branch .LBB19_22
.LBB19_21:                              ;   in Loop: Header=BB19_14 Depth=1
	v_readlane_b32 s68, v254, 27
	v_readlane_b32 s69, v254, 28
	;; [unrolled: 1-line block ×16, first 2 shown]
.LBB19_22:                              ;   in Loop: Header=BB19_14 Depth=1
	v_readlane_b32 s8, v254, 50
	s_mul_i32 s8, s8, s49
	s_add_i32 s8, s46, s8
	s_mul_i32 s88, s8, 56
	s_lshl_b64 s[8:9], s[88:89], 3
	v_readlane_b32 s40, v254, 15
	s_add_u32 s82, s80, s8
	v_readlane_b32 s41, v254, 16
	s_addc_u32 s83, s81, s9
	s_mul_i32 s8, s49, s41
	s_mul_hi_u32 s9, s49, s40
	s_add_i32 s8, s9, s8
	s_mul_i32 s9, s50, s40
	s_mul_i32 s74, s49, s40
	v_readlane_b32 s40, v254, 22
	s_add_i32 s79, s8, s9
	v_readlane_b32 s43, v254, 25
	s_add_u32 s8, s72, s74
	s_mul_i32 s88, s51, s43
	s_addc_u32 s9, s73, s79
	s_ashr_i32 s64, s88, 31
	s_add_u32 s72, s8, s88
	s_addc_u32 s31, s9, s64
	s_ashr_i32 s47, s46, 31
	v_readlane_b32 s41, v254, 23
	s_lshl_b64 s[8:9], s[46:47], 2
	s_mov_b64 s[44:45], s[40:41]
	s_add_u32 s40, s76, s8
	v_readlane_b32 s42, v254, 24
	s_addc_u32 s41, s77, s9
	v_readlane_b32 s8, v254, 51
	v_readlane_b32 s9, v254, 52
	;; [unrolled: 1-line block ×3, first 2 shown]
	s_and_b64 s[8:9], s[8:9], exec
	v_readlane_b32 s43, v254, 9
	s_cselect_b32 s8, 0, s40
	s_mul_i32 s40, s49, s43
	s_cselect_b32 s9, 0, s41
	s_ashr_i32 s41, s40, 31
	s_add_u32 s40, s68, s40
	s_mul_i32 s42, s46, s42
	s_addc_u32 s41, s69, s41
	s_ashr_i32 s43, s42, 31
	s_add_u32 s80, s40, s42
	s_addc_u32 s81, s41, s43
	s_mul_i32 s40, s49, s45
	s_mul_hi_u32 s41, s49, s44
	s_add_i32 s40, s41, s40
	s_mul_i32 s50, s50, s44
	v_readlane_b32 s42, v254, 20
	s_add_i32 s73, s40, s50
	s_mul_i32 s69, s49, s44
	v_readlane_b32 s43, v254, 21
	s_add_u32 s40, s70, s69
	s_mul_i32 s65, s51, s43
	s_addc_u32 s41, s71, s73
	s_ashr_i32 s66, s65, 31
	s_add_u32 s84, s40, s65
	s_addc_u32 s98, s41, s66
	s_cmp_lg_u32 s48, 0
	s_cbranch_scc0 .LBB19_65
; %bb.23:                               ;   in Loop: Header=BB19_14 Depth=1
	v_readlane_b32 s40, v255, 22
	s_lshl_b32 s75, s40, 5
	v_add_u32_e32 v1, s75, v103
	v_readlane_b32 s40, v254, 43
	v_readlane_b32 s41, v254, 44
	v_cmp_le_i32_e32 vcc, s40, v1
	v_readlane_b32 s42, v254, 45
	v_readlane_b32 s43, v254, 46
	s_and_saveexec_b64 s[40:41], vcc
	s_xor_b64 s[40:41], exec, s[40:41]
	s_mov_b32 s70, s52
	s_cbranch_execz .LBB19_25
; %bb.24:                               ;   in Loop: Header=BB19_14 Depth=1
	ds_write_b32 v177, v102
                                        ; implicit-def: $vgpr1
.LBB19_25:                              ;   in Loop: Header=BB19_14 Depth=1
	s_andn2_saveexec_b64 s[40:41], s[40:41]
	s_cbranch_execz .LBB19_27
; %bb.26:                               ;   in Loop: Header=BB19_14 Depth=1
	v_readlane_b32 s42, v254, 19
	v_mad_u64_u32 v[2:3], s[42:43], v1, s42, v[24:25]
	v_ashrrev_i32_e32 v3, 31, v2
	v_lshlrev_b64 v[2:3], 3, v[2:3]
	v_mov_b32_e32 v1, s81
	v_add_co_u32_e32 v2, vcc, s80, v2
	v_addc_co_u32_e32 v3, vcc, v1, v3, vcc
	global_load_dwordx2 v[2:3], v[2:3], off
	s_waitcnt vmcnt(0)
	v_cvt_f16_f32_e32 v1, v2
	v_cvt_f16_f32_e32 v2, v3
	v_pack_b32_f16 v1, v1, v2
	v_pk_mul_f16 v1, v37, v1
	ds_write_b32 v177, v1
.LBB19_27:                              ;   in Loop: Header=BB19_14 Depth=1
	s_or_b64 exec, exec, s[40:41]
	v_add_u32_e32 v1, s75, v178
	v_readlane_b32 s40, v254, 43
	v_readlane_b32 s41, v254, 44
	v_cmp_le_i32_e32 vcc, s40, v1
	v_readlane_b32 s42, v254, 45
	v_readlane_b32 s43, v254, 46
	s_and_saveexec_b64 s[40:41], vcc
	s_xor_b64 s[40:41], exec, s[40:41]
	s_cbranch_execz .LBB19_29
; %bb.28:                               ;   in Loop: Header=BB19_14 Depth=1
	ds_write_b32 v177, v102 offset:1920
                                        ; implicit-def: $vgpr1
.LBB19_29:                              ;   in Loop: Header=BB19_14 Depth=1
	s_andn2_saveexec_b64 s[40:41], s[40:41]
	s_cbranch_execz .LBB19_31
; %bb.30:                               ;   in Loop: Header=BB19_14 Depth=1
	v_readlane_b32 s42, v254, 19
	v_mad_u64_u32 v[2:3], s[42:43], v1, s42, v[24:25]
	v_ashrrev_i32_e32 v3, 31, v2
	v_lshlrev_b64 v[2:3], 3, v[2:3]
	v_mov_b32_e32 v1, s81
	v_add_co_u32_e32 v2, vcc, s80, v2
	v_addc_co_u32_e32 v3, vcc, v1, v3, vcc
	global_load_dwordx2 v[2:3], v[2:3], off
	s_waitcnt vmcnt(0)
	v_cvt_f16_f32_e32 v1, v2
	v_cvt_f16_f32_e32 v2, v3
	v_pack_b32_f16 v1, v1, v2
	v_pk_mul_f16 v1, v37, v1
	ds_write_b32 v177, v1 offset:1920
.LBB19_31:                              ;   in Loop: Header=BB19_14 Depth=1
	s_or_b64 exec, exec, s[40:41]
	v_add_u32_e32 v1, s75, v179
	v_readlane_b32 s40, v254, 43
	v_readlane_b32 s41, v254, 44
	v_cmp_le_i32_e32 vcc, s40, v1
	v_readlane_b32 s42, v254, 45
	v_readlane_b32 s43, v254, 46
	s_and_saveexec_b64 s[40:41], vcc
	s_xor_b64 s[40:41], exec, s[40:41]
	s_cbranch_execz .LBB19_33
; %bb.32:                               ;   in Loop: Header=BB19_14 Depth=1
	ds_write_b32 v177, v102 offset:3840
                                        ; implicit-def: $vgpr1
.LBB19_33:                              ;   in Loop: Header=BB19_14 Depth=1
	s_andn2_saveexec_b64 s[40:41], s[40:41]
	s_cbranch_execz .LBB19_35
; %bb.34:                               ;   in Loop: Header=BB19_14 Depth=1
	v_readlane_b32 s42, v254, 19
	v_mad_u64_u32 v[2:3], s[42:43], v1, s42, v[24:25]
	v_ashrrev_i32_e32 v3, 31, v2
	v_lshlrev_b64 v[2:3], 3, v[2:3]
	v_mov_b32_e32 v1, s81
	v_add_co_u32_e32 v2, vcc, s80, v2
	v_addc_co_u32_e32 v3, vcc, v1, v3, vcc
	global_load_dwordx2 v[2:3], v[2:3], off
	s_waitcnt vmcnt(0)
	v_cvt_f16_f32_e32 v1, v2
	v_cvt_f16_f32_e32 v2, v3
	v_pack_b32_f16 v1, v1, v2
	v_pk_mul_f16 v1, v37, v1
	ds_write_b32 v177, v1 offset:3840
.LBB19_35:                              ;   in Loop: Header=BB19_14 Depth=1
	s_or_b64 exec, exec, s[40:41]
	v_add_u32_e32 v1, s75, v180
	v_readlane_b32 s40, v254, 43
	v_readlane_b32 s41, v254, 44
	v_cmp_le_i32_e32 vcc, s40, v1
	v_readlane_b32 s42, v254, 45
	v_readlane_b32 s43, v254, 46
	s_and_saveexec_b64 s[40:41], vcc
	s_xor_b64 s[40:41], exec, s[40:41]
	s_cbranch_execz .LBB19_37
; %bb.36:                               ;   in Loop: Header=BB19_14 Depth=1
	ds_write_b32 v177, v102 offset:5760
                                        ; implicit-def: $vgpr1
.LBB19_37:                              ;   in Loop: Header=BB19_14 Depth=1
	s_andn2_saveexec_b64 s[40:41], s[40:41]
	s_cbranch_execz .LBB19_39
; %bb.38:                               ;   in Loop: Header=BB19_14 Depth=1
	v_readlane_b32 s42, v254, 19
	v_mad_u64_u32 v[2:3], s[42:43], v1, s42, v[24:25]
	v_ashrrev_i32_e32 v3, 31, v2
	v_lshlrev_b64 v[2:3], 3, v[2:3]
	v_mov_b32_e32 v1, s81
	v_add_co_u32_e32 v2, vcc, s80, v2
	v_addc_co_u32_e32 v3, vcc, v1, v3, vcc
	global_load_dwordx2 v[2:3], v[2:3], off
	s_waitcnt vmcnt(0)
	v_cvt_f16_f32_e32 v1, v2
	v_cvt_f16_f32_e32 v2, v3
	v_pack_b32_f16 v1, v1, v2
	v_pk_mul_f16 v1, v37, v1
	ds_write_b32 v177, v1 offset:5760
.LBB19_39:                              ;   in Loop: Header=BB19_14 Depth=1
	s_or_b64 exec, exec, s[40:41]
	v_add_u32_e32 v1, s75, v104
	v_readlane_b32 s40, v254, 43
	v_readlane_b32 s41, v254, 44
	v_cmp_le_i32_e32 vcc, s40, v1
	v_readlane_b32 s42, v254, 45
	v_readlane_b32 s43, v254, 46
	s_and_saveexec_b64 s[40:41], vcc
	s_xor_b64 s[40:41], exec, s[40:41]
	s_cbranch_execz .LBB19_41
; %bb.40:                               ;   in Loop: Header=BB19_14 Depth=1
	ds_write_b32 v181, v102 offset:128
                                        ; implicit-def: $vgpr1
.LBB19_41:                              ;   in Loop: Header=BB19_14 Depth=1
	s_andn2_saveexec_b64 s[40:41], s[40:41]
	s_cbranch_execz .LBB19_43
; %bb.42:                               ;   in Loop: Header=BB19_14 Depth=1
	v_readlane_b32 s42, v254, 19
	v_mul_lo_u32 v1, v1, s42
	v_ashrrev_i32_e32 v3, 31, v1
	v_add_co_u32_e32 v2, vcc, v1, v26
	v_addc_co_u32_e32 v3, vcc, 0, v3, vcc
	v_lshlrev_b64 v[2:3], 3, v[2:3]
	v_mov_b32_e32 v1, s81
	v_add_co_u32_e32 v2, vcc, s80, v2
	v_addc_co_u32_e32 v3, vcc, v1, v3, vcc
	global_load_dwordx2 v[2:3], v[2:3], off offset:256
	s_waitcnt vmcnt(0)
	v_cvt_f16_f32_e32 v1, v2
	v_cvt_f16_f32_e32 v2, v3
	v_pack_b32_f16 v1, v1, v2
	v_pk_mul_f16 v1, v37, v1
	ds_write_b32 v181, v1 offset:128
.LBB19_43:                              ;   in Loop: Header=BB19_14 Depth=1
	s_or_b64 exec, exec, s[40:41]
	v_add_u32_e32 v1, s75, v182
	v_readlane_b32 s40, v254, 43
	v_readlane_b32 s41, v254, 44
	v_cmp_le_i32_e32 vcc, s40, v1
	v_readlane_b32 s42, v254, 45
	v_readlane_b32 s43, v254, 46
	s_and_saveexec_b64 s[40:41], vcc
	s_xor_b64 s[40:41], exec, s[40:41]
	s_cbranch_execz .LBB19_45
; %bb.44:                               ;   in Loop: Header=BB19_14 Depth=1
	ds_write_b32 v181, v102 offset:3968
                                        ; implicit-def: $vgpr1
.LBB19_45:                              ;   in Loop: Header=BB19_14 Depth=1
	s_andn2_saveexec_b64 s[40:41], s[40:41]
	s_cbranch_execz .LBB19_47
; %bb.46:                               ;   in Loop: Header=BB19_14 Depth=1
	v_readlane_b32 s42, v254, 19
	v_mul_lo_u32 v1, v1, s42
	v_ashrrev_i32_e32 v3, 31, v1
	v_add_co_u32_e32 v2, vcc, v1, v26
	v_addc_co_u32_e32 v3, vcc, 0, v3, vcc
	v_lshlrev_b64 v[2:3], 3, v[2:3]
	v_mov_b32_e32 v1, s81
	v_add_co_u32_e32 v2, vcc, s80, v2
	v_addc_co_u32_e32 v3, vcc, v1, v3, vcc
	global_load_dwordx2 v[2:3], v[2:3], off offset:256
	s_waitcnt vmcnt(0)
	v_cvt_f16_f32_e32 v1, v2
	v_cvt_f16_f32_e32 v2, v3
	v_pack_b32_f16 v1, v1, v2
	v_pk_mul_f16 v1, v37, v1
	ds_write_b32 v181, v1 offset:3968
.LBB19_47:                              ;   in Loop: Header=BB19_14 Depth=1
	s_or_b64 exec, exec, s[40:41]
	v_add_u32_e32 v1, s75, v105
	v_readlane_b32 s40, v254, 43
	v_readlane_b32 s41, v254, 44
	v_cmp_gt_i32_e32 vcc, s40, v1
	v_mov_b32_e32 v90, 0
	v_mov_b32_e32 v2, 0
	v_readlane_b32 s42, v254, 45
	v_readlane_b32 s43, v254, 46
	s_and_saveexec_b64 s[40:41], vcc
	s_cbranch_execz .LBB19_49
; %bb.48:                               ;   in Loop: Header=BB19_14 Depth=1
	v_readlane_b32 s42, v254, 19
	v_mul_lo_u32 v1, v1, s42
	v_ashrrev_i32_e32 v3, 31, v1
	v_add_co_u32_e32 v2, vcc, v1, v28
	v_addc_co_u32_e32 v3, vcc, 0, v3, vcc
	v_lshlrev_b64 v[2:3], 3, v[2:3]
	v_mov_b32_e32 v1, s81
	v_add_co_u32_e32 v2, vcc, s80, v2
	v_addc_co_u32_e32 v3, vcc, v1, v3, vcc
	global_load_dwordx2 v[2:3], v[2:3], off offset:384
	s_waitcnt vmcnt(0)
	v_cvt_f16_f32_e32 v1, v2
	v_cvt_f16_f32_e32 v2, v3
	v_pack_b32_f16 v1, v1, v2
	v_pk_mul_f16 v2, v37, v1
.LBB19_49:                              ;   in Loop: Header=BB19_14 Depth=1
	s_or_b64 exec, exec, s[40:41]
	ds_write_b32 v106, v2 offset:192
	s_waitcnt lgkmcnt(0)
	s_barrier
	ds_read2_b64 v[10:13], v108 offset1:4
	ds_read2_b64 v[6:9], v108 offset0:8 offset1:12
	ds_read2_b64 v[2:5], v108 offset0:16 offset1:20
	ds_read_b64 v[60:61], v108 offset:192
	s_add_i32 s49, s67, -1
	s_cmp_le_i32 s49, s48
	v_mov_b32_e32 v1, 0xfeffffff
	s_waitcnt lgkmcnt(0)
	s_barrier
	s_cbranch_scc1 .LBB19_66
; %bb.50:                               ;   in Loop: Header=BB19_14 Depth=1
	v_lshlrev_b32_e32 v1, 1, v22
	v_add_co_u32_e32 v23, vcc, v58, v1
	v_add_u32_e32 v1, s75, v98
	v_readlane_b32 s50, v254, 10
	v_mul_hi_u32 v14, s50, v1
	v_readlane_b32 s51, v254, 11
	v_add_u32_e32 v14, v1, v14
	v_lshrrev_b32_e32 v14, s51, v14
	v_readlane_b32 s44, v254, 43
	v_mul_lo_u32 v14, v14, s44
	v_sub_u32_e32 v1, v1, v14
	v_mad_i64_i32 v[14:15], s[42:43], v1, s70, 0
	v_add_u32_e32 v1, s75, v110
	v_mul_hi_u32 v16, s50, v1
	v_add_u32_e32 v16, v1, v16
	v_lshrrev_b32_e32 v16, s51, v16
	v_mul_lo_u32 v16, v16, s44
	v_sub_u32_e32 v1, v1, v16
	v_mad_i64_i32 v[16:17], s[42:43], v1, s70, 0
	v_add_u32_e32 v1, s75, v112
	v_mul_hi_u32 v18, s50, v1
	v_add_u32_e32 v18, v1, v18
	v_lshrrev_b32_e32 v18, s51, v18
	;; [unrolled: 7-line block ×7, first 2 shown]
	v_mul_lo_u32 v27, v27, s44
	v_sub_u32_e32 v1, v1, v27
	v_mad_i64_i32 v[78:79], s[42:43], v1, s70, 0
	v_and_b32_e32 v1, 64, v243
	v_addc_co_u32_e32 v25, vcc, 0, v59, vcc
	v_add_u32_e32 v1, 64, v1
	v_xor_b32_e32 v27, 32, v243
	v_cmp_lt_i32_e32 vcc, v27, v1
	v_xor_b32_e32 v29, 16, v243
	v_cndmask_b32_e32 v27, v243, v27, vcc
	v_cmp_lt_i32_e32 vcc, v29, v1
	v_cndmask_b32_e32 v1, v243, v29, vcc
	v_cmp_ne_u64_e64 s[40:41], 0, v[58:59]
	v_mov_b32_e32 v87, 0
	v_lshlrev_b32_e32 v27, 2, v27
	v_lshlrev_b32_e32 v29, 2, v1
	v_mov_b32_e32 v62, v56
	v_mov_b32_e32 v63, v56
	s_lshl_b32 s44, s48, 6
	v_mov_b32_e32 v89, 0
	v_mov_b32_e32 v94, 0xfeffffff
	v_lshlrev_b64 v[64:65], 1, v[14:15]
	v_lshlrev_b64 v[66:67], 1, v[16:17]
	;; [unrolled: 1-line block ×8, first 2 shown]
	v_mov_b32_e32 v88, 0
	v_mov_b32_e32 v86, 0
	;; [unrolled: 1-line block ×13, first 2 shown]
	v_readlane_b32 s45, v254, 44
	v_readlane_b32 s46, v254, 45
	;; [unrolled: 1-line block ×3, first 2 shown]
.LBB19_51:                              ;   Parent Loop BB19_14 Depth=1
                                        ; =>  This Inner Loop Header: Depth=2
	v_cndmask_b32_e64 v1, 0, 1, s[40:41]
	v_cmp_ne_u32_e64 s[42:43], 1, v1
	s_andn2_b64 vcc, exec, s[40:41]
	s_ashr_i32 s45, s44, 31
	s_cbranch_vccnz .LBB19_57
; %bb.52:                               ;   in Loop: Header=BB19_51 Depth=2
                                        ; implicit-def: $sgpr50
	s_and_saveexec_b64 s[46:47], s[4:5]
	s_xor_b64 s[46:47], exec, s[46:47]
	s_cbranch_execz .LBB19_54
; %bb.53:                               ;   in Loop: Header=BB19_51 Depth=2
	ds_write_b16 v109, v102 offset:15360
	ds_write_b16 v111, v102 offset:15360
	;; [unrolled: 1-line block ×4, first 2 shown]
	s_mov_b32 s50, 0
.LBB19_54:                              ;   in Loop: Header=BB19_51 Depth=2
	s_or_saveexec_b64 s[46:47], s[46:47]
	v_mov_b32_e32 v1, s50
	v_mov_b32_e32 v14, s50
	;; [unrolled: 1-line block ×4, first 2 shown]
	s_xor_b64 exec, exec, s[46:47]
	s_cbranch_execz .LBB19_56
; %bb.55:                               ;   in Loop: Header=BB19_51 Depth=2
	s_lshl_b64 s[50:51], s[44:45], 1
	v_add_co_u32_e32 v18, vcc, s50, v23
	v_mov_b32_e32 v1, s51
	v_addc_co_u32_e32 v19, vcc, v25, v1, vcc
	v_add_co_u32_e32 v14, vcc, v18, v64
	v_addc_co_u32_e32 v15, vcc, v19, v65, vcc
	flat_load_ushort v1, v[14:15]
	v_add_co_u32_e32 v14, vcc, v18, v66
	v_addc_co_u32_e32 v15, vcc, v19, v67, vcc
	flat_load_ushort v16, v[14:15]
	;; [unrolled: 3-line block ×4, first 2 shown]
	s_waitcnt vmcnt(0) lgkmcnt(0)
	ds_write_b16 v109, v1 offset:15360
	ds_write_b16 v111, v16 offset:15360
	;; [unrolled: 1-line block ×4, first 2 shown]
	v_add_co_u32_e32 v14, vcc, v18, v72
	v_addc_co_u32_e32 v15, vcc, v19, v73, vcc
	flat_load_ushort v1, v[14:15]
	v_add_co_u32_e32 v14, vcc, v18, v74
	v_addc_co_u32_e32 v15, vcc, v19, v75, vcc
	v_add_co_u32_e32 v16, vcc, v18, v76
	v_addc_co_u32_e32 v17, vcc, v19, v77, vcc
	flat_load_ushort v14, v[14:15]
	s_nop 0
	flat_load_ushort v15, v[16:17]
	v_add_co_u32_e32 v16, vcc, v18, v78
	v_addc_co_u32_e32 v17, vcc, v19, v79, vcc
	flat_load_ushort v16, v[16:17]
.LBB19_56:                              ;   in Loop: Header=BB19_51 Depth=2
	s_or_b64 exec, exec, s[46:47]
	s_waitcnt vmcnt(0) lgkmcnt(0)
	ds_write_b16 v117, v1 offset:15360
	ds_write_b16 v119, v14 offset:15360
	;; [unrolled: 1-line block ×4, first 2 shown]
.LBB19_57:                              ;   in Loop: Header=BB19_51 Depth=2
	s_mul_hi_i32 s47, s44, s94
	s_mul_i32 s46, s44, s94
	s_lshl_b64 s[46:47], s[46:47], 2
	s_add_u32 s50, s84, s46
	s_addc_u32 s45, s98, s47
	buffer_store_dword v102, off, s[0:3], 0
	buffer_store_dword v102, off, s[0:3], 0 offset:4
	buffer_store_dword v102, off, s[0:3], 0 offset:8
	;; [unrolled: 1-line block ×3, first 2 shown]
	s_and_saveexec_b64 s[46:47], s[6:7]
	s_cbranch_execz .LBB19_59
; %bb.58:                               ;   in Loop: Header=BB19_51 Depth=2
	v_mov_b32_e32 v1, s45
	v_add_co_u32_e32 v14, vcc, s50, v48
	v_addc_co_u32_e32 v1, vcc, v1, v49, vcc
	v_lshlrev_b32_e32 v15, 2, v32
	v_add_co_u32_e32 v14, vcc, v14, v15
	v_addc_co_u32_e32 v15, vcc, 0, v1, vcc
	global_load_dwordx4 v[14:17], v[14:15], off offset:192
	s_waitcnt vmcnt(0)
	ds_write_b128 v125, v[14:17]
.LBB19_59:                              ;   in Loop: Header=BB19_51 Depth=2
	s_or_b64 exec, exec, s[46:47]
	v_add_co_u32_e32 v1, vcc, s50, v50
	v_mov_b32_e32 v14, s45
	v_addc_co_u32_e32 v14, vcc, v14, v51, vcc
	v_lshlrev_b32_e32 v93, 2, v34
	v_add_co_u32_e32 v1, vcc, v1, v93
	v_addc_co_u32_e32 v14, vcc, 0, v14, vcc
	v_add_co_u32_e32 v1, vcc, 0x80, v1
	v_addc_co_u32_e32 v14, vcc, 0, v14, vcc
	v_mov_b32_e32 v18, s35
	v_mov_b32_e32 v19, s34
	v_cndmask_b32_e64 v15, v18, v14, s[62:63]
	v_cndmask_b32_e64 v14, v19, v1, s[62:63]
	flat_load_dwordx4 v[14:17], v[14:15]
	v_add_co_u32_e32 v1, vcc, s50, v52
	v_lshlrev_b32_e32 v92, 2, v36
	s_waitcnt vmcnt(0) lgkmcnt(0)
	ds_write_b128 v163, v[14:17]
	v_mov_b32_e32 v14, s45
	v_addc_co_u32_e32 v14, vcc, v14, v53, vcc
	v_add_co_u32_e32 v1, vcc, v1, v92
	v_addc_co_u32_e32 v14, vcc, 0, v14, vcc
	v_cndmask_b32_e64 v15, v18, v14, s[10:11]
	v_cndmask_b32_e64 v14, v19, v1, s[10:11]
	flat_load_dwordx4 v[14:17], v[14:15]
	v_add_co_u32_e32 v1, vcc, s50, v54
	s_waitcnt vmcnt(0) lgkmcnt(0)
	ds_write_b128 v164, v[14:17]
	v_mov_b32_e32 v14, s45
	v_addc_co_u32_e32 v14, vcc, v14, v55, vcc
	v_add_co_u32_e32 v1, vcc, v1, v92
	v_addc_co_u32_e32 v14, vcc, 0, v14, vcc
	v_cndmask_b32_e64 v15, v18, v14, s[12:13]
	v_cndmask_b32_e64 v14, v19, v1, s[12:13]
	flat_load_dwordx4 v[14:17], v[14:15]
	v_add_u32_e32 v1, v107, v128
	v_add_u32_e32 v57, 0x1800, v1
	s_and_b64 vcc, exec, s[42:43]
	s_waitcnt vmcnt(0) lgkmcnt(0)
	ds_write_b128 v165, v[14:17]
	s_waitcnt lgkmcnt(0)
	s_barrier
	ds_read2_b64 v[14:17], v1 offset1:4
	s_waitcnt lgkmcnt(0)
	v_mfma_f32_16x16x16f16 v[18:21], v[14:15], v[10:11], 0
	v_mfma_f32_16x16x16f16 v[14:17], v[16:17], v[12:13], v[18:21]
	s_nop 7
	s_nop 1
	ds_read2_b64 v[18:21], v1 offset0:8 offset1:12
	s_waitcnt lgkmcnt(0)
	v_mfma_f32_16x16x16f16 v[14:17], v[18:19], v[6:7], v[14:17]
	v_mfma_f32_16x16x16f16 v[14:17], v[20:21], v[8:9], v[14:17]
	ds_read2_b64 v[18:21], v1 offset0:16 offset1:20
	s_waitcnt lgkmcnt(0)
	v_mfma_f32_16x16x16f16 v[14:17], v[18:19], v[2:3], v[14:17]
	ds_read_b64 v[18:19], v1 offset:192
	v_mfma_f32_16x16x16f16 v[14:17], v[20:21], v[4:5], v[14:17]
	s_waitcnt lgkmcnt(0)
	v_mfma_f32_16x16x16f16 v[14:17], v[18:19], v[60:61], v[14:17]
	ds_read2_b64 v[18:21], v57 offset0:192 offset1:196
	s_waitcnt lgkmcnt(0)
	v_mfma_f32_16x16x16f16 v[192:195], v[18:19], v[10:11], 0
	v_mfma_f32_16x16x16f16 v[18:21], v[20:21], v[12:13], v[192:195]
	s_nop 7
	s_nop 1
	ds_read2_b64 v[192:195], v57 offset0:200 offset1:204
	s_waitcnt lgkmcnt(0)
	v_mfma_f32_16x16x16f16 v[18:21], v[192:193], v[6:7], v[18:21]
	v_mfma_f32_16x16x16f16 v[18:21], v[194:195], v[8:9], v[18:21]
	ds_read2_b64 v[192:195], v57 offset0:208 offset1:212
	s_waitcnt lgkmcnt(0)
	v_mfma_f32_16x16x16f16 v[18:21], v[192:193], v[2:3], v[18:21]
	ds_read_b64 v[192:193], v1 offset:7872
	s_waitcnt lgkmcnt(0)
	s_barrier
	v_mfma_f32_16x16x16f16 v[18:21], v[194:195], v[4:5], v[18:21]
	v_mfma_f32_16x16x16f16 v[18:21], v[192:193], v[60:61], v[18:21]
	s_cbranch_vccnz .LBB19_61
; %bb.60:                               ;   in Loop: Header=BB19_51 Depth=2
	v_add_u32_e32 v1, 0x3c00, v130
	ds_read2_b32 v[192:193], v1 offset1:1
	ds_read_b32 v1, v132 offset:15360
	v_mov_b32_e32 v57, v56
	s_waitcnt lgkmcnt(1)
	v_cvt_f32_f16_e32 v194, v192
	v_cvt_f32_f16_sdwa v195, v192 dst_sel:DWORD dst_unused:UNUSED_PAD src0_sel:WORD_1
	v_cvt_f32_f16_e32 v192, v193
	v_cvt_f32_f16_sdwa v193, v193 dst_sel:DWORD dst_unused:UNUSED_PAD src0_sel:WORD_1
	v_pk_fma_f32 v[14:15], v[62:63], v[194:195], v[14:15]
	v_pk_fma_f32 v[16:17], v[56:57], v[192:193], v[16:17]
	s_waitcnt lgkmcnt(0)
	v_cvt_f32_f16_sdwa v193, v1 dst_sel:DWORD dst_unused:UNUSED_PAD src0_sel:WORD_1
	v_cvt_f32_f16_e32 v192, v1
	ds_read_b32 v1, v134 offset:15360
	v_pk_fma_f32 v[18:19], v[62:63], v[192:193], v[18:19]
	s_waitcnt lgkmcnt(0)
	v_cvt_f32_f16_sdwa v195, v1 dst_sel:DWORD dst_unused:UNUSED_PAD src0_sel:WORD_1
	v_cvt_f32_f16_e32 v194, v1
	v_pk_fma_f32 v[20:21], v[56:57], v[194:195], v[20:21]
.LBB19_61:                              ;   in Loop: Header=BB19_51 Depth=2
	v_add_f32_e32 v1, 0x40051340, v14
	v_max_f32_e32 v57, v94, v94
	v_max_f32_e32 v1, v57, v1
	v_cndmask_b32_e64 v1, v94, v1, s[14:15]
	v_add_f32_e32 v57, 0x40051340, v15
	v_max_f32_e32 v95, v1, v1
	v_max_f32_e32 v57, v95, v57
	v_cndmask_b32_e64 v1, v1, v57, s[16:17]
	;; [unrolled: 4-line block ×8, first 2 shown]
	ds_bpermute_b32 v57, v27, v1
	v_max_f32_e32 v1, v1, v1
	s_mul_hi_i32 s43, s44, s96
	s_mul_i32 s42, s44, s96
	s_lshl_b64 s[42:43], s[42:43], 2
	s_waitcnt lgkmcnt(0)
	v_max_f32_e32 v57, v57, v57
	v_max_f32_e32 v1, v1, v57
	ds_bpermute_b32 v57, v29, v1
	s_add_u32 s46, s72, s42
	s_addc_u32 s45, s31, s43
	buffer_store_dword v102, off, s[0:3], 0
	buffer_store_dword v102, off, s[0:3], 0 offset:4
	buffer_store_dword v102, off, s[0:3], 0 offset:8
	buffer_store_dword v102, off, s[0:3], 0 offset:12
	s_and_saveexec_b64 s[42:43], s[6:7]
	s_cbranch_execz .LBB19_63
; %bb.62:                               ;   in Loop: Header=BB19_51 Depth=2
	v_mov_b32_e32 v95, s45
	v_add_co_u32_e32 v192, vcc, s46, v40
	v_addc_co_u32_e32 v95, vcc, v95, v41, vcc
	v_lshlrev_b32_e32 v193, 2, v32
	v_add_co_u32_e32 v192, vcc, v192, v193
	v_addc_co_u32_e32 v193, vcc, 0, v95, vcc
	global_load_dwordx4 v[192:195], v[192:193], off offset:192
	s_waitcnt vmcnt(0)
	ds_write_b128 v125, v[192:195]
.LBB19_63:                              ;   in Loop: Header=BB19_51 Depth=2
	s_or_b64 exec, exec, s[42:43]
	s_waitcnt lgkmcnt(0)
	v_max_f32_e32 v57, v57, v57
	v_max_f32_e32 v1, v1, v1
	;; [unrolled: 1-line block ×3, first 2 shown]
	v_sub_f32_e32 v14, v14, v1
	v_mul_f32_e32 v57, 0x3fb8aa3b, v14
	v_fma_f32 v95, v14, s85, -v57
	v_rndne_f32_e32 v192, v57
	v_fmac_f32_e32 v95, 0x32a5705f, v14
	v_sub_f32_e32 v57, v57, v192
	v_add_f32_e32 v57, v57, v95
	v_exp_f32_e32 v57, v57
	v_cvt_i32_f32_e32 v95, v192
	v_cmp_ngt_f32_e32 vcc, s30, v14
	v_cndmask_b32_e64 v16, v16, v16, s[16:17]
	v_cndmask_b32_e64 v17, v17, v17, s[16:17]
	v_ldexp_f32 v57, v57, v95
	v_cndmask_b32_e32 v57, 0, v57, vcc
	v_cmp_nlt_f32_e32 vcc, s99, v14
	v_cndmask_b32_e32 v14, v241, v57, vcc
	v_cndmask_b32_e64 v192, 0, v14, s[14:15]
	v_sub_f32_e32 v14, v15, v1
	v_mul_f32_e32 v15, 0x3fb8aa3b, v14
	v_fma_f32 v57, v14, s85, -v15
	v_rndne_f32_e32 v95, v15
	v_fmac_f32_e32 v57, 0x32a5705f, v14
	v_sub_f32_e32 v15, v15, v95
	v_add_f32_e32 v15, v15, v57
	v_exp_f32_e32 v15, v15
	v_cvt_i32_f32_e32 v57, v95
	v_cmp_ngt_f32_e32 vcc, s30, v14
	v_cndmask_b32_e64 v19, v19, v19, s[22:23]
	v_cndmask_b32_e64 v20, v20, v20, s[22:23]
	v_ldexp_f32 v15, v15, v57
	v_cndmask_b32_e32 v15, 0, v15, vcc
	v_cmp_nlt_f32_e32 vcc, s99, v14
	v_cndmask_b32_e32 v14, v241, v15, vcc
	v_mov_b32_e32 v15, s89
	v_add_f32_e32 v57, v14, v192
	v_cndmask_b32_e64 v95, v15, v14, s[16:17]
	v_sub_f32_e32 v14, v16, v1
	v_mul_f32_e32 v16, 0x3fb8aa3b, v14
	v_cndmask_b32_e64 v15, v192, v57, s[16:17]
	v_fma_f32 v57, v14, s85, -v16
	v_rndne_f32_e32 v193, v16
	v_fmac_f32_e32 v57, 0x32a5705f, v14
	v_sub_f32_e32 v16, v16, v193
	v_add_f32_e32 v16, v16, v57
	v_exp_f32_e32 v16, v16
	v_cvt_i32_f32_e32 v57, v193
	v_cmp_ngt_f32_e32 vcc, s30, v14
	v_cndmask_b32_e64 v21, v21, v21, s[22:23]
	s_add_i32 s48, s48, 1
	v_ldexp_f32 v16, v16, v57
	v_cndmask_b32_e32 v16, 0, v16, vcc
	v_cmp_nlt_f32_e32 vcc, s99, v14
	v_cndmask_b32_e32 v16, v241, v16, vcc
	v_add_f32_e32 v57, v15, v16
	v_mov_b32_e32 v14, s89
	v_cndmask_b32_e64 v193, v14, v16, s[18:19]
	v_cndmask_b32_e64 v14, v15, v57, s[18:19]
	v_sub_f32_e32 v15, v17, v1
	v_mul_f32_e32 v16, 0x3fb8aa3b, v15
	v_fma_f32 v17, v15, s85, -v16
	v_rndne_f32_e32 v57, v16
	v_fmac_f32_e32 v17, 0x32a5705f, v15
	v_sub_f32_e32 v16, v16, v57
	v_add_f32_e32 v16, v16, v17
	v_exp_f32_e32 v16, v16
	v_cvt_i32_f32_e32 v17, v57
	v_cmp_ngt_f32_e32 vcc, s30, v15
	s_add_i32 s44, s44, 64
	s_cmp_lt_i32 s48, s49
	v_ldexp_f32 v16, v16, v17
	v_cndmask_b32_e32 v16, 0, v16, vcc
	v_cmp_nlt_f32_e32 vcc, s99, v15
	v_cndmask_b32_e32 v16, v241, v16, vcc
	v_add_f32_e32 v15, v14, v16
	v_cndmask_b32_e64 v15, v14, v15, s[20:21]
	v_sub_f32_e32 v14, v18, v1
	v_mul_f32_e32 v17, 0x3fb8aa3b, v14
	v_fma_f32 v18, v14, s85, -v17
	v_rndne_f32_e32 v57, v17
	v_fmac_f32_e32 v18, 0x32a5705f, v14
	v_sub_f32_e32 v17, v17, v57
	v_add_f32_e32 v17, v17, v18
	v_exp_f32_e32 v17, v17
	v_cvt_i32_f32_e32 v18, v57
	v_cmp_ngt_f32_e32 vcc, s30, v14
	v_ldexp_f32 v17, v17, v18
	v_cndmask_b32_e32 v17, 0, v17, vcc
	v_cmp_nlt_f32_e32 vcc, s99, v14
	v_cndmask_b32_e32 v17, v241, v17, vcc
	v_add_f32_e32 v18, v17, v15
	v_mov_b32_e32 v14, s89
	v_cndmask_b32_e64 v17, v14, v17, s[22:23]
	v_cndmask_b32_e64 v14, v15, v18, s[22:23]
	v_sub_f32_e32 v15, v19, v1
	v_mul_f32_e32 v18, 0x3fb8aa3b, v15
	v_fma_f32 v19, v15, s85, -v18
	v_rndne_f32_e32 v57, v18
	v_fmac_f32_e32 v19, 0x32a5705f, v15
	v_sub_f32_e32 v18, v18, v57
	v_add_f32_e32 v18, v18, v19
	v_exp_f32_e32 v18, v18
	v_cvt_i32_f32_e32 v19, v57
	v_cmp_ngt_f32_e32 vcc, s30, v15
	v_ldexp_f32 v18, v18, v19
	v_cndmask_b32_e32 v18, 0, v18, vcc
	v_cmp_nlt_f32_e32 vcc, s99, v15
	v_cndmask_b32_e32 v18, v241, v18, vcc
	v_add_f32_e32 v19, v18, v14
	v_mov_b32_e32 v15, s89
	v_cndmask_b32_e64 v18, v15, v18, s[24:25]
	;; [unrolled: 18-line block ×3, first 2 shown]
	v_cndmask_b32_e64 v14, v15, v20, s[26:27]
	v_sub_f32_e32 v15, v21, v1
	v_mul_f32_e32 v20, 0x3fb8aa3b, v15
	v_fma_f32 v21, v15, s85, -v20
	v_rndne_f32_e32 v57, v20
	v_fmac_f32_e32 v21, 0x32a5705f, v15
	v_sub_f32_e32 v20, v20, v57
	v_add_f32_e32 v20, v20, v21
	v_exp_f32_e32 v20, v20
	v_cvt_i32_f32_e32 v21, v57
	v_cmp_ngt_f32_e32 vcc, s30, v15
	v_ldexp_f32 v20, v20, v21
	v_cndmask_b32_e32 v20, 0, v20, vcc
	v_cmp_nlt_f32_e32 vcc, s99, v15
	v_cndmask_b32_e32 v194, v241, v20, vcc
	v_add_f32_e32 v15, v194, v14
	v_cndmask_b32_e64 v20, v14, v15, s[28:29]
	v_sub_f32_e32 v14, v94, v1
	v_mul_f32_e32 v15, 0x3fb8aa3b, v14
	v_fma_f32 v21, v14, s85, -v15
	v_rndne_f32_e32 v57, v15
	v_fmac_f32_e32 v21, 0x32a5705f, v14
	v_sub_f32_e32 v15, v15, v57
	v_add_f32_e32 v15, v15, v21
	v_exp_f32_e32 v15, v15
	v_cvt_i32_f32_e32 v21, v57
	v_cmp_ngt_f32_e32 vcc, s30, v14
	v_ldexp_f32 v15, v15, v21
	v_cndmask_b32_e32 v15, 0, v15, vcc
	v_cmp_nlt_f32_e32 vcc, s99, v14
	v_cndmask_b32_e32 v15, v241, v15, vcc
	v_cmp_le_f32_e32 vcc, s87, v14
	v_cndmask_b32_e32 v14, 0, v15, vcc
	v_fmac_f32_e32 v20, v89, v14
	v_cvt_f16_f32_e32 v14, v14
	v_mov_b32_e32 v15, s89
	v_pk_mul_f16 v33, v14, v33 op_sel_hi:[0,1]
	v_pk_mul_f16 v31, v14, v31 op_sel_hi:[0,1]
	;; [unrolled: 1-line block ×14, first 2 shown]
	v_cndmask_b32_e64 v88, v15, v194, s[28:29]
	v_cndmask_b32_e64 v90, v15, v16, s[20:21]
	v_cvt_f16_f32_e32 v14, v17
	v_cvt_f16_f32_e32 v15, v18
	;; [unrolled: 1-line block ×5, first 2 shown]
	v_pack_b32_f16 v14, v14, v15
	v_cvt_f16_f32_e32 v15, v19
	v_mov_b32_e32 v19, s45
	v_mov_b32_e32 v88, s35
	;; [unrolled: 1-line block ×3, first 2 shown]
	v_pack_b32_f16 v15, v15, v16
	v_cvt_f16_f32_e32 v16, v192
	v_pack_b32_f16 v16, v16, v17
	v_cvt_f16_f32_e32 v17, v193
	v_pack_b32_f16 v17, v17, v18
	v_add_co_u32_e32 v18, vcc, s46, v42
	v_addc_co_u32_e32 v19, vcc, v19, v43, vcc
	v_add_co_u32_e32 v18, vcc, v18, v93
	v_addc_co_u32_e32 v19, vcc, 0, v19, vcc
	;; [unrolled: 2-line block ×3, first 2 shown]
	v_cndmask_b32_e64 v19, v88, v19, s[62:63]
	v_cndmask_b32_e64 v18, v90, v18, s[62:63]
	flat_load_dwordx4 v[192:195], v[18:19]
	v_add_co_u32_e32 v18, vcc, s46, v44
	v_mov_b32_e32 v19, s45
	v_addc_co_u32_e32 v19, vcc, v19, v45, vcc
	v_add_co_u32_e32 v18, vcc, v18, v92
	v_addc_co_u32_e32 v19, vcc, 0, v19, vcc
	v_cndmask_b32_e64 v19, v88, v19, s[10:11]
	v_cndmask_b32_e64 v18, v90, v18, s[10:11]
	s_waitcnt vmcnt(0) lgkmcnt(0)
	ds_write_b128 v163, v[192:195]
	flat_load_dwordx4 v[192:195], v[18:19]
	v_add_co_u32_e32 v18, vcc, s46, v46
	v_mov_b32_e32 v19, s45
	v_addc_co_u32_e32 v19, vcc, v19, v47, vcc
	v_add_co_u32_e32 v18, vcc, v18, v92
	v_addc_co_u32_e32 v19, vcc, 0, v19, vcc
	v_cndmask_b32_e64 v19, v88, v19, s[12:13]
	v_cndmask_b32_e64 v18, v90, v18, s[12:13]
	s_waitcnt vmcnt(0) lgkmcnt(0)
	ds_write_b128 v164, v[192:195]
	flat_load_dwordx4 v[90:93], v[18:19]
	s_waitcnt vmcnt(0) lgkmcnt(0)
	ds_write_b128 v165, v[90:93]
	s_waitcnt lgkmcnt(0)
	s_barrier
	ds_read_u16 v18, v136 offset:240
	ds_read_u16 v19, v136 offset:480
	v_cvt_f32_f16_e32 v92, v31
	v_cvt_f32_f16_sdwa v93, v31 dst_sel:DWORD dst_unused:UNUSED_PAD src0_sel:WORD_1
	ds_read_u16 v31, v137
	ds_read_u16 v88, v137 offset:32
	v_cvt_f32_f16_e32 v90, v33
	v_cvt_f32_f16_sdwa v91, v33 dst_sel:DWORD dst_unused:UNUSED_PAD src0_sel:WORD_1
	s_waitcnt lgkmcnt(1)
	v_perm_b32 v19, v31, v19, s91
	ds_read_u16 v31, v135
	ds_read_u16 v94, v135 offset:32
	ds_read_u16 v95, v135 offset:7680
	;; [unrolled: 1-line block ×5, first 2 shown]
	s_waitcnt lgkmcnt(5)
	v_perm_b32 v18, v18, v31, s91
	s_nop 1
	v_mfma_f32_16x16x16f16 v[90:93], v[18:19], v[16:17], v[90:93]
	s_nop 7
	s_nop 2
	v_cvt_f16_f32_e32 v18, v90
	v_cvt_f16_f32_e32 v19, v91
	;; [unrolled: 1-line block ×4, first 2 shown]
	v_cvt_f32_f16_e32 v90, v18
	v_cvt_f32_f16_e32 v91, v19
	s_waitcnt lgkmcnt(0)
	v_perm_b32 v19, v194, v193, s91
	v_perm_b32 v18, v192, v95, s91
	v_cvt_f32_f16_e32 v92, v31
	v_cvt_f32_f16_e32 v93, v33
	s_nop 1
	v_mfma_f32_16x16x16f16 v[90:93], v[18:19], v[14:15], v[90:93]
	s_nop 7
	s_nop 2
	v_cvt_f16_f32_e32 v18, v90
	v_cvt_f16_f32_e32 v19, v91
	;; [unrolled: 1-line block ×4, first 2 shown]
	v_cvt_f32_f16_sdwa v91, v80 dst_sel:DWORD dst_unused:UNUSED_PAD src0_sel:WORD_1
	v_pack_b32_f16 v33, v18, v19
	ds_read_u16 v18, v139 offset:240
	ds_read_u16 v19, v139 offset:480
	v_pack_b32_f16 v31, v31, v90
	v_cvt_f32_f16_e32 v90, v80
	v_cvt_f32_f16_e32 v92, v35
	s_waitcnt lgkmcnt(1)
	v_perm_b32 v18, v18, v94, s91
	s_waitcnt lgkmcnt(0)
	v_perm_b32 v19, v88, v19, s91
	v_cvt_f32_f16_sdwa v93, v35 dst_sel:DWORD dst_unused:UNUSED_PAD src0_sel:WORD_1
	ds_read_u16 v88, v140 offset:7680
	ds_read_u16 v94, v141 offset:240
	ds_read_u16 v95, v141 offset:480
	ds_read_u16 v192, v142 offset:7680
	v_mfma_f32_16x16x16f16 v[90:93], v[18:19], v[16:17], v[90:93]
	s_nop 7
	s_nop 2
	v_cvt_f16_f32_e32 v18, v90
	v_cvt_f16_f32_e32 v19, v91
	v_cvt_f16_f32_e32 v35, v92
	v_cvt_f16_f32_e32 v80, v93
	v_cvt_f32_f16_e32 v90, v18
	v_cvt_f32_f16_e32 v91, v19
	s_waitcnt lgkmcnt(0)
	v_perm_b32 v19, v192, v95, s91
	v_perm_b32 v18, v94, v88, s91
	v_cvt_f32_f16_e32 v92, v35
	v_cvt_f32_f16_e32 v93, v80
	s_nop 1
	v_mfma_f32_16x16x16f16 v[90:93], v[18:19], v[14:15], v[90:93]
	s_nop 7
	s_nop 2
	v_cvt_f16_f32_e32 v18, v90
	v_cvt_f16_f32_e32 v19, v91
	v_cvt_f16_f32_e32 v35, v92
	v_cvt_f16_f32_e32 v88, v93
	v_cvt_f32_f16_e32 v90, v82
	v_pack_b32_f16 v80, v18, v19
	v_cvt_f32_f16_sdwa v91, v82 dst_sel:DWORD dst_unused:UNUSED_PAD src0_sel:WORD_1
	v_pack_b32_f16 v35, v35, v88
	ds_read_u16 v18, v135 offset:64
	ds_read_u16 v88, v143 offset:240
	ds_read_u16 v19, v143 offset:480
	ds_read_u16 v94, v137 offset:64
	v_cvt_f32_f16_e32 v92, v81
	v_cvt_f32_f16_sdwa v93, v81 dst_sel:DWORD dst_unused:UNUSED_PAD src0_sel:WORD_1
	s_waitcnt lgkmcnt(2)
	v_perm_b32 v18, v88, v18, s91
	s_waitcnt lgkmcnt(0)
	v_perm_b32 v19, v94, v19, s91
	ds_read_u16 v88, v144 offset:7680
	ds_read_u16 v94, v145 offset:240
	ds_read_u16 v95, v145 offset:480
	ds_read_u16 v192, v146 offset:7680
	v_mfma_f32_16x16x16f16 v[90:93], v[18:19], v[16:17], v[90:93]
	s_nop 7
	s_nop 2
	v_cvt_f16_f32_e32 v18, v90
	v_cvt_f16_f32_e32 v19, v91
	v_cvt_f16_f32_e32 v81, v92
	v_cvt_f16_f32_e32 v82, v93
	v_cvt_f32_f16_e32 v90, v18
	v_cvt_f32_f16_e32 v91, v19
	s_waitcnt lgkmcnt(0)
	v_perm_b32 v19, v192, v95, s91
	v_perm_b32 v18, v94, v88, s91
	v_cvt_f32_f16_e32 v92, v81
	v_cvt_f32_f16_e32 v93, v82
	s_nop 1
	v_mfma_f32_16x16x16f16 v[90:93], v[18:19], v[14:15], v[90:93]
	s_nop 7
	s_nop 2
	v_cvt_f16_f32_e32 v18, v90
	v_cvt_f16_f32_e32 v19, v91
	v_cvt_f16_f32_e32 v81, v92
	v_cvt_f16_f32_e32 v88, v93
	v_cvt_f32_f16_e32 v90, v84
	v_pack_b32_f16 v82, v18, v19
	v_cvt_f32_f16_sdwa v91, v84 dst_sel:DWORD dst_unused:UNUSED_PAD src0_sel:WORD_1
	v_pack_b32_f16 v81, v81, v88
	ds_read_u16 v18, v135 offset:96
	ds_read_u16 v88, v147 offset:240
	ds_read_u16 v19, v147 offset:480
	ds_read_u16 v94, v137 offset:96
	v_cvt_f32_f16_e32 v92, v83
	v_cvt_f32_f16_sdwa v93, v83 dst_sel:DWORD dst_unused:UNUSED_PAD src0_sel:WORD_1
	s_waitcnt lgkmcnt(2)
	v_perm_b32 v18, v88, v18, s91
	s_waitcnt lgkmcnt(0)
	v_perm_b32 v19, v94, v19, s91
	ds_read_u16 v88, v148 offset:7680
	ds_read_u16 v94, v149 offset:240
	ds_read_u16 v95, v149 offset:480
	ds_read_u16 v192, v150 offset:7680
	v_mfma_f32_16x16x16f16 v[90:93], v[18:19], v[16:17], v[90:93]
	s_nop 7
	s_nop 2
	v_cvt_f16_f32_e32 v18, v90
	v_cvt_f16_f32_e32 v19, v91
	v_cvt_f16_f32_e32 v83, v92
	v_cvt_f16_f32_e32 v84, v93
	v_cvt_f32_f16_e32 v90, v18
	v_cvt_f32_f16_e32 v91, v19
	s_waitcnt lgkmcnt(0)
	v_perm_b32 v19, v192, v95, s91
	v_perm_b32 v18, v94, v88, s91
	v_cvt_f32_f16_e32 v92, v83
	v_cvt_f32_f16_e32 v93, v84
	s_nop 1
	v_mfma_f32_16x16x16f16 v[90:93], v[18:19], v[14:15], v[90:93]
	s_nop 7
	s_nop 2
	v_cvt_f16_f32_e32 v18, v90
	v_cvt_f16_f32_e32 v19, v91
	v_cvt_f16_f32_e32 v83, v92
	v_cvt_f16_f32_e32 v88, v93
	v_cvt_f32_f16_e32 v90, v86
	v_pack_b32_f16 v84, v18, v19
	v_cvt_f32_f16_sdwa v91, v86 dst_sel:DWORD dst_unused:UNUSED_PAD src0_sel:WORD_1
	v_pack_b32_f16 v83, v83, v88
	ds_read_u16 v18, v135 offset:128
	ds_read_u16 v88, v151 offset:240
	ds_read_u16 v19, v151 offset:480
	ds_read_u16 v94, v137 offset:128
	v_cvt_f32_f16_e32 v92, v85
	v_cvt_f32_f16_sdwa v93, v85 dst_sel:DWORD dst_unused:UNUSED_PAD src0_sel:WORD_1
	s_waitcnt lgkmcnt(2)
	v_perm_b32 v18, v88, v18, s91
	s_waitcnt lgkmcnt(0)
	v_perm_b32 v19, v94, v19, s91
	ds_read_u16 v88, v152 offset:7680
	ds_read_u16 v94, v153 offset:240
	;; [unrolled: 1-line block ×4, first 2 shown]
	v_mfma_f32_16x16x16f16 v[90:93], v[18:19], v[16:17], v[90:93]
	s_nop 7
	s_nop 2
	v_cvt_f16_f32_e32 v18, v90
	v_cvt_f16_f32_e32 v19, v91
	;; [unrolled: 1-line block ×4, first 2 shown]
	v_cvt_f32_f16_e32 v90, v18
	v_cvt_f32_f16_e32 v91, v19
	s_waitcnt lgkmcnt(0)
	v_perm_b32 v19, v192, v95, s91
	v_perm_b32 v18, v94, v88, s91
	v_cvt_f32_f16_e32 v92, v85
	v_cvt_f32_f16_e32 v93, v86
	s_nop 1
	v_mfma_f32_16x16x16f16 v[90:93], v[18:19], v[14:15], v[90:93]
	s_nop 7
	s_nop 2
	v_cvt_f16_f32_e32 v18, v90
	v_cvt_f16_f32_e32 v19, v91
	v_cvt_f16_f32_e32 v85, v92
	v_cvt_f16_f32_e32 v88, v93
	v_cvt_f32_f16_e32 v90, v87
	v_pack_b32_f16 v86, v18, v19
	ds_read_u16 v18, v135 offset:160
	ds_read_u16 v92, v155 offset:240
	;; [unrolled: 1-line block ×4, first 2 shown]
	v_pack_b32_f16 v85, v85, v88
	v_cvt_f32_f16_e32 v88, v89
	s_waitcnt lgkmcnt(2)
	v_perm_b32 v18, v92, v18, s91
	v_cvt_f32_f16_sdwa v89, v89 dst_sel:DWORD dst_unused:UNUSED_PAD src0_sel:WORD_1
	s_waitcnt lgkmcnt(0)
	v_perm_b32 v19, v93, v19, s91
	v_cvt_f32_f16_sdwa v91, v87 dst_sel:DWORD dst_unused:UNUSED_PAD src0_sel:WORD_1
	ds_read_u16 v92, v156 offset:7680
	ds_read_u16 v93, v157 offset:240
	;; [unrolled: 1-line block ×4, first 2 shown]
	v_mfma_f32_16x16x16f16 v[88:91], v[18:19], v[16:17], v[88:91]
	s_nop 7
	s_nop 2
	v_cvt_f16_f32_e32 v18, v88
	v_cvt_f16_f32_e32 v19, v89
	;; [unrolled: 1-line block ×4, first 2 shown]
	v_cvt_f32_f16_e32 v88, v18
	v_cvt_f32_f16_e32 v89, v19
	s_waitcnt lgkmcnt(0)
	v_perm_b32 v19, v95, v94, s91
	v_perm_b32 v18, v93, v92, s91
	v_cvt_f32_f16_e32 v90, v87
	v_cvt_f32_f16_e32 v91, v91
	;; [unrolled: 1-line block ×3, first 2 shown]
	v_cvt_f32_f16_sdwa v93, v21 dst_sel:DWORD dst_unused:UNUSED_PAD src0_sel:WORD_1
	v_mfma_f32_16x16x16f16 v[88:91], v[18:19], v[14:15], v[88:91]
	s_nop 7
	s_nop 2
	v_cvt_f16_f32_e32 v18, v88
	v_cvt_f16_f32_e32 v19, v89
	v_cvt_f16_f32_e32 v88, v90
	v_cvt_f16_f32_e32 v89, v91
	v_cvt_f32_f16_e32 v90, v57
	v_pack_b32_f16 v87, v18, v19
	v_cvt_f32_f16_sdwa v91, v57 dst_sel:DWORD dst_unused:UNUSED_PAD src0_sel:WORD_1
	v_pack_b32_f16 v88, v88, v89
	ds_read_u16 v18, v135 offset:192
	ds_read_u16 v89, v159 offset:240
	;; [unrolled: 1-line block ×4, first 2 shown]
	s_waitcnt lgkmcnt(2)
	v_perm_b32 v18, v89, v18, s91
	s_waitcnt lgkmcnt(0)
	v_perm_b32 v19, v94, v19, s91
	s_nop 1
	v_mfma_f32_16x16x16f16 v[16:19], v[18:19], v[16:17], v[90:93]
	ds_read_u16 v21, v160 offset:7680
	ds_read_u16 v57, v161 offset:240
	;; [unrolled: 1-line block ×3, first 2 shown]
	s_nop 3
	ds_read_u16 v90, v162 offset:7680
	s_waitcnt lgkmcnt(0)
	s_barrier
	v_perm_b32 v91, v90, v89, s91
	v_perm_b32 v90, v57, v21, s91
	v_cvt_f16_f32_e32 v16, v16
	v_cvt_f16_f32_e32 v17, v17
	;; [unrolled: 1-line block ×4, first 2 shown]
	v_cvt_f32_f16_e32 v16, v16
	v_cvt_f32_f16_e32 v17, v17
	;; [unrolled: 1-line block ×4, first 2 shown]
	s_nop 1
	v_mfma_f32_16x16x16f16 v[14:17], v[90:91], v[14:15], v[16:19]
	s_nop 7
	s_nop 2
	v_cvt_f16_f32_e32 v14, v14
	v_cvt_f16_f32_e32 v15, v15
	v_cvt_f16_f32_e32 v16, v16
	v_cvt_f16_f32_e32 v17, v17
	v_pack_b32_f16 v91, v14, v15
	v_pack_b32_f16 v90, v16, v17
	s_cbranch_scc0 .LBB19_67
; %bb.64:                               ;   in Loop: Header=BB19_51 Depth=2
	v_mov_b32_e32 v89, v20
	v_mov_b32_e32 v94, v1
	s_branch .LBB19_51
.LBB19_65:                              ;   in Loop: Header=BB19_14 Depth=1
	s_mov_b32 s70, s52
	s_cbranch_execz .LBB19_13
	s_branch .LBB19_158
.LBB19_66:                              ;   in Loop: Header=BB19_14 Depth=1
	v_mov_b32_e32 v91, 0
	v_mov_b32_e32 v31, 0
	;; [unrolled: 1-line block ×14, first 2 shown]
.LBB19_67:                              ;   in Loop: Header=BB19_14 Depth=1
	s_lshl_b32 s92, s48, 6
	v_readlane_b32 s40, v254, 4
	v_cmp_eq_u64_e32 vcc, 0, v[58:59]
	s_sub_i32 s78, s40, s92
	v_cmp_ne_u64_e64 s[46:47], 0, v[58:59]
	s_ashr_i32 s93, s92, 31
	v_readlane_b32 s41, v254, 5
	s_cbranch_vccnz .LBB19_77
; %bb.68:                               ;   in Loop: Header=BB19_14 Depth=1
	v_cmp_le_i32_e32 vcc, s78, v22
                                        ; implicit-def: $sgpr44
	s_and_saveexec_b64 s[40:41], vcc
	s_xor_b64 s[40:41], exec, s[40:41]
	s_cbranch_execz .LBB19_70
; %bb.69:                               ;   in Loop: Header=BB19_14 Depth=1
	ds_write_b16 v109, v102 offset:15360
	ds_write_b16 v111, v102 offset:15360
	s_mov_b32 s44, 0
.LBB19_70:                              ;   in Loop: Header=BB19_14 Depth=1
	s_or_saveexec_b64 s[42:43], s[40:41]
	s_lshl_b64 s[40:41], s[92:93], 1
	v_mov_b32_e32 v14, s41
	v_add_co_u32_e64 v15, s[40:41], s40, v58
	v_addc_co_u32_e64 v16, s[40:41], v59, v14, s[40:41]
	v_lshlrev_b32_e32 v14, 1, v22
	v_add_co_u32_e64 v14, s[40:41], v15, v14
	v_addc_co_u32_e64 v15, s[40:41], 0, v16, s[40:41]
	v_mov_b32_e32 v16, s44
	v_mov_b32_e32 v17, s44
	s_xor_b64 exec, exec, s[42:43]
	s_cbranch_execz .LBB19_72
; %bb.71:                               ;   in Loop: Header=BB19_14 Depth=1
	v_add_u32_e32 v16, s75, v98
	v_readlane_b32 s52, v254, 10
	v_mul_hi_u32 v17, s52, v16
	v_readlane_b32 s53, v254, 11
	v_add_u32_e32 v17, v16, v17
	v_readlane_b32 s48, v254, 43
	v_lshrrev_b32_e32 v17, s53, v17
	s_mov_b32 s44, s48
	v_mul_lo_u32 v17, v17, s44
	v_sub_u32_e32 v16, v16, v17
	v_mad_i64_i32 v[16:17], s[40:41], v16, s70, 0
	v_lshlrev_b64 v[16:17], 1, v[16:17]
	v_add_co_u32_e64 v16, s[40:41], v14, v16
	v_addc_co_u32_e64 v17, s[40:41], v15, v17, s[40:41]
	flat_load_ushort v18, v[16:17]
	v_add_u32_e32 v16, s75, v110
	v_mul_hi_u32 v17, s52, v16
	v_add_u32_e32 v17, v16, v17
	v_lshrrev_b32_e32 v17, s53, v17
	v_mul_lo_u32 v17, v17, s44
	v_sub_u32_e32 v16, v16, v17
	v_mad_i64_i32 v[16:17], s[40:41], v16, s70, 0
	v_lshlrev_b64 v[16:17], 1, v[16:17]
	v_add_co_u32_e64 v16, s[40:41], v14, v16
	v_addc_co_u32_e64 v17, s[40:41], v15, v17, s[40:41]
	flat_load_ushort v16, v[16:17]
	v_readlane_b32 s49, v254, 44
	v_readlane_b32 s50, v254, 45
	;; [unrolled: 1-line block ×3, first 2 shown]
	s_waitcnt vmcnt(0) lgkmcnt(0)
	ds_write_b16 v109, v18 offset:15360
	ds_write_b16 v111, v16 offset:15360
	v_add_u32_e32 v16, s75, v112
	v_mul_hi_u32 v17, s52, v16
	v_add_u32_e32 v17, v16, v17
	v_lshrrev_b32_e32 v17, s53, v17
	v_mul_lo_u32 v17, v17, s44
	v_sub_u32_e32 v16, v16, v17
	v_mad_i64_i32 v[16:17], s[40:41], v16, s70, 0
	v_lshlrev_b64 v[16:17], 1, v[16:17]
	v_add_co_u32_e64 v16, s[40:41], v14, v16
	v_addc_co_u32_e64 v17, s[40:41], v15, v17, s[40:41]
	flat_load_ushort v16, v[16:17]
	v_add_u32_e32 v17, s75, v114
	v_mul_hi_u32 v18, s52, v17
	v_add_u32_e32 v18, v17, v18
	v_lshrrev_b32_e32 v18, s53, v18
	v_mul_lo_u32 v18, v18, s44
	v_sub_u32_e32 v17, v17, v18
	v_mad_i64_i32 v[18:19], s[40:41], v17, s70, 0
	v_lshlrev_b64 v[18:19], 1, v[18:19]
	v_add_co_u32_e64 v18, s[40:41], v14, v18
	v_addc_co_u32_e64 v19, s[40:41], v15, v19, s[40:41]
	flat_load_ushort v17, v[18:19]
.LBB19_72:                              ;   in Loop: Header=BB19_14 Depth=1
	s_or_b64 exec, exec, s[42:43]
	s_waitcnt vmcnt(0) lgkmcnt(0)
	ds_write_b16 v113, v16 offset:15360
	ds_write_b16 v115, v17 offset:15360
                                        ; implicit-def: $sgpr42
	s_and_saveexec_b64 s[40:41], vcc
	s_xor_b64 s[40:41], exec, s[40:41]
	s_cbranch_execz .LBB19_74
; %bb.73:                               ;   in Loop: Header=BB19_14 Depth=1
	ds_write_b16 v117, v102 offset:15360
	ds_write_b16 v119, v102 offset:15360
	s_mov_b32 s42, 0
                                        ; implicit-def: $vgpr14
                                        ; implicit-def: $vgpr15
.LBB19_74:                              ;   in Loop: Header=BB19_14 Depth=1
	s_or_saveexec_b64 s[40:41], s[40:41]
	v_mov_b32_e32 v16, s42
	v_mov_b32_e32 v17, s42
	s_xor_b64 exec, exec, s[40:41]
	s_cbranch_execz .LBB19_76
; %bb.75:                               ;   in Loop: Header=BB19_14 Depth=1
	v_add_u32_e32 v16, s75, v116
	v_readlane_b32 s52, v254, 10
	v_mul_hi_u32 v17, s52, v16
	v_readlane_b32 s53, v254, 11
	v_add_u32_e32 v17, v16, v17
	v_readlane_b32 s48, v254, 43
	v_lshrrev_b32_e32 v17, s53, v17
	s_mov_b32 s44, s48
	v_mul_lo_u32 v17, v17, s44
	v_sub_u32_e32 v16, v16, v17
	v_mad_i64_i32 v[16:17], s[42:43], v16, s70, 0
	v_lshlrev_b64 v[16:17], 1, v[16:17]
	v_add_co_u32_e32 v16, vcc, v14, v16
	v_addc_co_u32_e32 v17, vcc, v15, v17, vcc
	flat_load_ushort v18, v[16:17]
	v_add_u32_e32 v16, s75, v118
	v_mul_hi_u32 v17, s52, v16
	v_add_u32_e32 v17, v16, v17
	v_lshrrev_b32_e32 v17, s53, v17
	v_mul_lo_u32 v17, v17, s44
	v_sub_u32_e32 v16, v16, v17
	v_mad_i64_i32 v[16:17], s[42:43], v16, s70, 0
	v_lshlrev_b64 v[16:17], 1, v[16:17]
	v_add_co_u32_e32 v16, vcc, v14, v16
	v_addc_co_u32_e32 v17, vcc, v15, v17, vcc
	flat_load_ushort v16, v[16:17]
	v_readlane_b32 s49, v254, 44
	v_readlane_b32 s50, v254, 45
	;; [unrolled: 1-line block ×3, first 2 shown]
	s_waitcnt vmcnt(0) lgkmcnt(0)
	ds_write_b16 v117, v18 offset:15360
	ds_write_b16 v119, v16 offset:15360
	v_add_u32_e32 v16, s75, v120
	v_mul_hi_u32 v17, s52, v16
	v_add_u32_e32 v17, v16, v17
	v_lshrrev_b32_e32 v17, s53, v17
	v_mul_lo_u32 v17, v17, s44
	v_sub_u32_e32 v16, v16, v17
	v_mad_i64_i32 v[16:17], s[42:43], v16, s70, 0
	v_lshlrev_b64 v[16:17], 1, v[16:17]
	v_add_co_u32_e32 v16, vcc, v14, v16
	v_addc_co_u32_e32 v17, vcc, v15, v17, vcc
	flat_load_ushort v16, v[16:17]
	v_add_u32_e32 v17, s75, v122
	v_mul_hi_u32 v18, s52, v17
	v_add_u32_e32 v18, v17, v18
	v_lshrrev_b32_e32 v18, s53, v18
	v_mul_lo_u32 v18, v18, s44
	v_sub_u32_e32 v17, v17, v18
	v_mad_i64_i32 v[18:19], s[42:43], v17, s70, 0
	v_lshlrev_b64 v[18:19], 1, v[18:19]
	v_add_co_u32_e32 v14, vcc, v14, v18
	v_addc_co_u32_e32 v15, vcc, v15, v19, vcc
	flat_load_ushort v17, v[14:15]
.LBB19_76:                              ;   in Loop: Header=BB19_14 Depth=1
	s_or_b64 exec, exec, s[40:41]
	s_waitcnt vmcnt(0) lgkmcnt(0)
	ds_write_b16 v121, v16 offset:15360
	ds_write_b16 v123, v17 offset:15360
.LBB19_77:                              ;   in Loop: Header=BB19_14 Depth=1
	s_mul_hi_i32 s41, s92, s94
	s_mul_i32 s40, s92, s94
	s_lshl_b64 s[40:41], s[40:41], 2
	s_add_u32 s48, s84, s40
	s_addc_u32 s49, s98, s41
	buffer_store_dword v102, off, s[0:3], 0
	buffer_store_dword v102, off, s[0:3], 0 offset:4
	buffer_store_dword v102, off, s[0:3], 0 offset:8
	;; [unrolled: 1-line block ×3, first 2 shown]
	s_and_saveexec_b64 s[40:41], s[6:7]
	s_cbranch_execz .LBB19_79
; %bb.78:                               ;   in Loop: Header=BB19_14 Depth=1
	v_mov_b32_e32 v14, s49
	v_add_co_u32_e32 v15, vcc, s48, v48
	v_addc_co_u32_e32 v14, vcc, v14, v49, vcc
	v_lshlrev_b32_e32 v16, 2, v32
	v_add_co_u32_e32 v15, vcc, v15, v16
	v_addc_co_u32_e32 v14, vcc, 0, v14, vcc
	v_add_co_u32_e32 v16, vcc, 0xc0, v15
	v_addc_co_u32_e32 v14, vcc, 0, v14, vcc
	v_mov_b32_e32 v15, s35
	v_cmp_gt_i32_e32 vcc, s78, v124
	v_cndmask_b32_e32 v15, v15, v14, vcc
	v_mov_b32_e32 v14, s34
	v_cndmask_b32_e32 v14, v14, v16, vcc
	flat_load_dwordx4 v[14:17], v[14:15]
	s_waitcnt vmcnt(0) lgkmcnt(0)
	ds_write_b128 v125, v[14:17]
.LBB19_79:                              ;   in Loop: Header=BB19_14 Depth=1
	s_or_b64 exec, exec, s[40:41]
	v_mov_b32_e32 v14, s49
	v_add_co_u32_e32 v15, vcc, s48, v50
	v_addc_co_u32_e32 v14, vcc, v14, v51, vcc
	v_lshlrev_b32_e32 v57, 2, v34
	v_add_co_u32_e32 v15, vcc, v15, v57
	v_addc_co_u32_e32 v14, vcc, 0, v14, vcc
	v_add_co_u32_e32 v16, vcc, 0x80, v15
	v_addc_co_u32_e32 v14, vcc, 0, v14, vcc
	v_mov_b32_e32 v21, s35
	v_cmp_gt_i32_e64 s[44:45], s78, v126
	v_mov_b32_e32 v23, s34
	v_cndmask_b32_e64 v15, v21, v14, s[44:45]
	v_cndmask_b32_e64 v14, v23, v16, s[44:45]
	flat_load_dwordx4 v[14:17], v[14:15]
	v_mov_b32_e32 v18, s49
	v_add_co_u32_e32 v19, vcc, s48, v52
	v_lshlrev_b32_e32 v29, 2, v36
	v_addc_co_u32_e32 v18, vcc, v18, v53, vcc
	v_add_co_u32_e32 v25, vcc, v19, v29
	v_addc_co_u32_e32 v18, vcc, 0, v18, vcc
	v_cmp_gt_i32_e64 s[42:43], s78, v105
	v_cndmask_b32_e64 v19, v21, v18, s[42:43]
	v_cndmask_b32_e64 v18, v23, v25, s[42:43]
	v_cmp_gt_i32_e64 s[40:41], s78, v127
	s_waitcnt vmcnt(0) lgkmcnt(0)
	ds_write_b128 v163, v[14:17]
	flat_load_dwordx4 v[14:17], v[18:19]
	v_mov_b32_e32 v18, s49
	v_add_co_u32_e32 v19, vcc, s48, v54
	v_addc_co_u32_e32 v18, vcc, v18, v55, vcc
	v_add_co_u32_e32 v25, vcc, v19, v29
	v_addc_co_u32_e32 v18, vcc, 0, v18, vcc
	v_cndmask_b32_e64 v19, v21, v18, s[40:41]
	v_cndmask_b32_e64 v18, v23, v25, s[40:41]
	s_andn2_b64 vcc, exec, s[46:47]
	s_waitcnt vmcnt(0) lgkmcnt(0)
	ds_write_b128 v164, v[14:17]
	flat_load_dwordx4 v[14:17], v[18:19]
	v_add_u32_e32 v18, v107, v128
	v_add_u32_e32 v19, 0x1800, v18
	s_waitcnt vmcnt(0) lgkmcnt(0)
	ds_write_b128 v165, v[14:17]
	s_waitcnt lgkmcnt(0)
	s_barrier
	ds_read2_b64 v[14:17], v18 offset1:4
	ds_read2_b64 v[66:69], v19 offset0:192 offset1:196
	s_waitcnt lgkmcnt(1)
	v_mfma_f32_16x16x16f16 v[62:65], v[14:15], v[10:11], 0
	s_waitcnt lgkmcnt(0)
	v_mfma_f32_16x16x16f16 v[70:73], v[66:67], v[10:11], 0
	v_mfma_f32_16x16x16f16 v[14:17], v[16:17], v[12:13], v[62:65]
	;; [unrolled: 1-line block ×3, first 2 shown]
	s_nop 6
	ds_read2_b64 v[62:65], v18 offset0:8 offset1:12
	ds_read2_b64 v[66:69], v19 offset0:200 offset1:204
	s_waitcnt lgkmcnt(1)
	v_mfma_f32_16x16x16f16 v[14:17], v[62:63], v[6:7], v[14:17]
	s_waitcnt lgkmcnt(0)
	v_mfma_f32_16x16x16f16 v[10:13], v[66:67], v[6:7], v[10:13]
	v_mfma_f32_16x16x16f16 v[14:17], v[64:65], v[8:9], v[14:17]
	ds_read2_b64 v[62:65], v19 offset0:208 offset1:212
	v_mfma_f32_16x16x16f16 v[6:9], v[68:69], v[8:9], v[10:13]
	s_nop 7
	ds_read2_b64 v[10:13], v18 offset0:16 offset1:20
	s_waitcnt lgkmcnt(0)
	v_mfma_f32_16x16x16f16 v[14:17], v[10:11], v[2:3], v[14:17]
	v_mfma_f32_16x16x16f16 v[6:9], v[62:63], v[2:3], v[6:9]
	v_mfma_f32_16x16x16f16 v[10:13], v[12:13], v[4:5], v[14:17]
	v_mfma_f32_16x16x16f16 v[2:5], v[64:65], v[4:5], v[6:9]
	s_nop 7
	s_nop 0
	ds_read_b64 v[6:7], v18 offset:192
	ds_read_b64 v[14:15], v18 offset:7872
	s_waitcnt lgkmcnt(0)
	s_barrier
	v_mfma_f32_16x16x16f16 v[6:9], v[6:7], v[60:61], v[10:13]
	v_mfma_f32_16x16x16f16 v[2:5], v[14:15], v[60:61], v[2:5]
	s_cbranch_vccnz .LBB19_81
; %bb.80:                               ;   in Loop: Header=BB19_14 Depth=1
	s_nop 4
	v_add_u32_e32 v10, 0x3c00, v130
	ds_read2_b32 v[10:11], v10 offset1:1
	s_waitcnt lgkmcnt(0)
	v_cvt_f32_f16_e32 v12, v10
	v_cvt_f32_f16_sdwa v13, v10 dst_sel:DWORD dst_unused:UNUSED_PAD src0_sel:WORD_1
	v_cvt_f32_f16_e32 v10, v11
	v_cvt_f32_f16_sdwa v11, v11 dst_sel:DWORD dst_unused:UNUSED_PAD src0_sel:WORD_1
	v_pk_fma_f32 v[6:7], v[56:57], v[12:13], v[6:7] op_sel_hi:[0,1,1]
	ds_read_b32 v12, v134 offset:15360
	v_pk_fma_f32 v[8:9], v[56:57], v[10:11], v[8:9] op_sel_hi:[0,1,1]
	ds_read_b32 v10, v132 offset:15360
	s_waitcnt lgkmcnt(1)
	v_cvt_f32_f16_sdwa v13, v12 dst_sel:DWORD dst_unused:UNUSED_PAD src0_sel:WORD_1
	v_cvt_f32_f16_e32 v12, v12
	s_waitcnt lgkmcnt(0)
	v_cvt_f32_f16_sdwa v11, v10 dst_sel:DWORD dst_unused:UNUSED_PAD src0_sel:WORD_1
	v_cvt_f32_f16_e32 v10, v10
	v_pk_fma_f32 v[4:5], v[56:57], v[12:13], v[4:5] op_sel_hi:[0,1,1]
	v_pk_fma_f32 v[2:3], v[56:57], v[10:11], v[2:3] op_sel_hi:[0,1,1]
.LBB19_81:                              ;   in Loop: Header=BB19_14 Depth=1
	s_nop 7
	s_nop 0
	v_add_f32_e32 v10, 0x40051340, v6
	v_max_f32_e32 v11, v1, v1
	v_max_f32_e32 v10, v11, v10
	v_cmp_gt_u32_e64 s[60:61], s78, v129
	v_cndmask_b32_e64 v10, v1, v10, s[60:61]
	v_add_f32_e32 v11, 0x40051340, v7
	v_max_f32_e32 v12, v10, v10
	v_max_f32_e32 v11, v12, v11
	v_cmp_gt_u32_e64 s[58:59], s78, v166
	v_cndmask_b32_e64 v10, v10, v11, s[58:59]
	;; [unrolled: 5-line block ×8, first 2 shown]
	v_and_b32_e32 v11, 64, v243
	v_add_u32_e32 v12, 64, v11
	v_xor_b32_e32 v11, 32, v243
	v_cmp_lt_i32_e32 vcc, v11, v12
	v_cndmask_b32_e32 v11, v243, v11, vcc
	v_lshlrev_b32_e32 v11, 2, v11
	ds_bpermute_b32 v13, v11, v10
	v_max_f32_e32 v10, v10, v10
	s_mul_hi_i32 s77, s92, s96
	s_mul_i32 s76, s92, s96
	s_lshl_b64 s[92:93], s[76:77], 2
	s_waitcnt lgkmcnt(0)
	v_max_f32_e32 v13, v13, v13
	v_max_f32_e32 v10, v10, v13
	v_xor_b32_e32 v13, 16, v243
	v_cmp_lt_i32_e32 vcc, v13, v12
	v_cndmask_b32_e32 v12, v243, v13, vcc
	v_lshlrev_b32_e32 v19, 2, v12
	ds_bpermute_b32 v12, v19, v10
	s_add_u32 s77, s72, s92
	s_addc_u32 s76, s31, s93
	buffer_store_dword v102, off, s[0:3], 0
	buffer_store_dword v102, off, s[0:3], 0 offset:4
	buffer_store_dword v102, off, s[0:3], 0 offset:8
	;; [unrolled: 1-line block ×3, first 2 shown]
	s_and_saveexec_b64 s[92:93], s[6:7]
	s_cbranch_execz .LBB19_83
; %bb.82:                               ;   in Loop: Header=BB19_14 Depth=1
	v_mov_b32_e32 v13, s76
	v_add_co_u32_e32 v14, vcc, s77, v40
	v_addc_co_u32_e32 v13, vcc, v13, v41, vcc
	v_lshlrev_b32_e32 v15, 2, v32
	v_add_co_u32_e32 v14, vcc, v14, v15
	v_addc_co_u32_e32 v13, vcc, 0, v13, vcc
	v_add_co_u32_e32 v14, vcc, 0xc0, v14
	v_addc_co_u32_e32 v13, vcc, 0, v13, vcc
	v_mov_b32_e32 v15, s35
	v_cmp_gt_i32_e32 vcc, s78, v124
	v_cndmask_b32_e32 v15, v15, v13, vcc
	v_mov_b32_e32 v13, s34
	v_cndmask_b32_e32 v14, v13, v14, vcc
	flat_load_dwordx4 v[14:17], v[14:15]
	s_waitcnt vmcnt(0) lgkmcnt(0)
	ds_write_b128 v125, v[14:17]
.LBB19_83:                              ;   in Loop: Header=BB19_14 Depth=1
	s_or_b64 exec, exec, s[92:93]
	s_waitcnt lgkmcnt(0)
	v_max_f32_e32 v12, v12, v12
	v_max_f32_e32 v10, v10, v10
	;; [unrolled: 1-line block ×3, first 2 shown]
	v_sub_f32_e32 v6, v6, v10
	v_mul_f32_e32 v12, 0x3fb8aa3b, v6
	v_fma_f32 v13, v6, s85, -v12
	v_rndne_f32_e32 v14, v12
	v_fmac_f32_e32 v13, 0x32a5705f, v6
	v_sub_f32_e32 v12, v12, v14
	v_add_f32_e32 v12, v12, v13
	v_exp_f32_e32 v12, v12
	v_cvt_i32_f32_e32 v13, v14
	v_cmp_ngt_f32_e32 vcc, s30, v6
	v_sub_f32_e32 v7, v7, v10
	v_cndmask_b32_e64 v8, v8, v8, s[58:59]
	v_ldexp_f32 v12, v12, v13
	v_cndmask_b32_e32 v12, 0, v12, vcc
	v_cmp_nlt_f32_e32 vcc, s99, v6
	v_cndmask_b32_e32 v6, v241, v12, vcc
	v_mul_f32_e32 v12, 0x3fb8aa3b, v7
	v_fma_f32 v13, v7, s85, -v12
	v_rndne_f32_e32 v14, v12
	v_fmac_f32_e32 v13, 0x32a5705f, v7
	v_sub_f32_e32 v12, v12, v14
	v_add_f32_e32 v12, v12, v13
	v_exp_f32_e32 v12, v12
	v_cvt_i32_f32_e32 v13, v14
	v_cmp_ngt_f32_e32 vcc, s30, v7
	v_cndmask_b32_e64 v6, 0, v6, s[60:61]
	v_sub_f32_e32 v8, v8, v10
	v_ldexp_f32 v12, v12, v13
	v_cndmask_b32_e32 v12, 0, v12, vcc
	v_cmp_nlt_f32_e32 vcc, s99, v7
	v_cndmask_b32_e32 v12, v241, v12, vcc
	v_add_f32_e32 v13, v12, v6
	v_mov_b32_e32 v7, s89
	v_cndmask_b32_e64 v7, v7, v12, s[58:59]
	v_cndmask_b32_e64 v12, v6, v13, s[58:59]
	v_mul_f32_e32 v13, 0x3fb8aa3b, v8
	v_fma_f32 v14, v8, s85, -v13
	v_rndne_f32_e32 v15, v13
	v_fmac_f32_e32 v14, 0x32a5705f, v8
	v_sub_f32_e32 v13, v13, v15
	v_add_f32_e32 v13, v13, v14
	v_exp_f32_e32 v13, v13
	v_cvt_i32_f32_e32 v14, v15
	v_cmp_ngt_f32_e32 vcc, s30, v8
	v_cndmask_b32_e64 v9, v9, v9, s[58:59]
	v_sub_f32_e32 v9, v9, v10
	v_ldexp_f32 v13, v13, v14
	v_cndmask_b32_e32 v13, 0, v13, vcc
	v_cmp_nlt_f32_e32 vcc, s99, v8
	v_cndmask_b32_e32 v13, v241, v13, vcc
	v_add_f32_e32 v14, v12, v13
	v_mov_b32_e32 v8, s89
	v_cndmask_b32_e64 v60, v8, v13, s[56:57]
	v_cndmask_b32_e64 v8, v12, v14, s[56:57]
	v_mul_f32_e32 v12, 0x3fb8aa3b, v9
	v_fma_f32 v13, v9, s85, -v12
	v_rndne_f32_e32 v14, v12
	v_fmac_f32_e32 v13, 0x32a5705f, v9
	v_sub_f32_e32 v12, v12, v14
	v_add_f32_e32 v12, v12, v13
	v_exp_f32_e32 v12, v12
	v_cvt_i32_f32_e32 v13, v14
	v_cmp_ngt_f32_e32 vcc, s30, v9
	v_sub_f32_e32 v2, v2, v10
	v_cndmask_b32_e64 v3, v3, v3, s[54:55]
	v_ldexp_f32 v12, v12, v13
	v_cndmask_b32_e32 v12, 0, v12, vcc
	v_cmp_nlt_f32_e32 vcc, s99, v9
	v_cndmask_b32_e32 v61, v241, v12, vcc
	v_add_f32_e32 v9, v8, v61
	v_cndmask_b32_e64 v8, v8, v9, s[46:47]
	v_mul_f32_e32 v9, 0x3fb8aa3b, v2
	v_fma_f32 v12, v2, s85, -v9
	v_rndne_f32_e32 v13, v9
	v_fmac_f32_e32 v12, 0x32a5705f, v2
	v_sub_f32_e32 v9, v9, v13
	v_add_f32_e32 v9, v9, v12
	v_exp_f32_e32 v9, v9
	v_cvt_i32_f32_e32 v12, v13
	v_cmp_ngt_f32_e32 vcc, s30, v2
	v_sub_f32_e32 v3, v3, v10
	v_cndmask_b32_e64 v4, v4, v4, s[54:55]
	v_ldexp_f32 v9, v9, v12
	v_cndmask_b32_e32 v9, 0, v9, vcc
	v_cmp_nlt_f32_e32 vcc, s99, v2
	v_cndmask_b32_e32 v9, v241, v9, vcc
	v_add_f32_e32 v12, v9, v8
	v_mov_b32_e32 v2, s89
	v_cndmask_b32_e64 v62, v2, v9, s[54:55]
	v_cndmask_b32_e64 v2, v8, v12, s[54:55]
	v_mul_f32_e32 v8, 0x3fb8aa3b, v3
	v_fma_f32 v9, v3, s85, -v8
	v_rndne_f32_e32 v12, v8
	v_fmac_f32_e32 v9, 0x32a5705f, v3
	v_sub_f32_e32 v8, v8, v12
	v_add_f32_e32 v8, v8, v9
	v_exp_f32_e32 v8, v8
	v_cvt_i32_f32_e32 v9, v12
	v_cmp_ngt_f32_e32 vcc, s30, v3
	v_cndmask_b32_e64 v5, v5, v5, s[54:55]
	v_sub_f32_e32 v1, v1, v10
	v_ldexp_f32 v8, v8, v9
	v_cndmask_b32_e32 v8, 0, v8, vcc
	v_cmp_nlt_f32_e32 vcc, s99, v3
	v_cndmask_b32_e32 v8, v241, v8, vcc
	v_add_f32_e32 v9, v8, v2
	v_mov_b32_e32 v3, s89
	v_cndmask_b32_e64 v63, v3, v8, s[52:53]
	v_cndmask_b32_e64 v3, v2, v9, s[52:53]
	v_sub_f32_e32 v2, v4, v10
	v_mul_f32_e32 v4, 0x3fb8aa3b, v2
	v_fma_f32 v8, v2, s85, -v4
	v_rndne_f32_e32 v9, v4
	v_fmac_f32_e32 v8, 0x32a5705f, v2
	v_sub_f32_e32 v4, v4, v9
	v_add_f32_e32 v4, v4, v8
	v_exp_f32_e32 v4, v4
	v_cvt_i32_f32_e32 v8, v9
	v_cmp_ngt_f32_e32 vcc, s30, v2
	s_cmp_eq_u64 s[8:9], 0
	v_ldexp_f32 v4, v4, v8
	v_cndmask_b32_e32 v4, 0, v4, vcc
	v_cmp_nlt_f32_e32 vcc, s99, v2
	v_cndmask_b32_e32 v4, v241, v4, vcc
	v_add_f32_e32 v8, v4, v3
	v_mov_b32_e32 v2, s89
	v_cndmask_b32_e64 v4, v2, v4, s[50:51]
	v_cndmask_b32_e64 v2, v3, v8, s[50:51]
	v_sub_f32_e32 v3, v5, v10
	v_mul_f32_e32 v5, 0x3fb8aa3b, v3
	v_fma_f32 v8, v3, s85, -v5
	v_rndne_f32_e32 v9, v5
	v_fmac_f32_e32 v8, 0x32a5705f, v3
	v_sub_f32_e32 v5, v5, v9
	v_add_f32_e32 v5, v5, v8
	v_exp_f32_e32 v5, v5
	v_cvt_i32_f32_e32 v8, v9
	v_cmp_ngt_f32_e32 vcc, s30, v3
	v_ldexp_f32 v5, v5, v8
	v_cndmask_b32_e32 v5, 0, v5, vcc
	v_cmp_nlt_f32_e32 vcc, s99, v3
	v_cndmask_b32_e32 v5, v241, v5, vcc
	v_add_f32_e32 v3, v5, v2
	v_cndmask_b32_e64 v21, v2, v3, s[48:49]
	v_mul_f32_e32 v2, 0x3fb8aa3b, v1
	v_fma_f32 v3, v1, s85, -v2
	v_rndne_f32_e32 v8, v2
	v_fmac_f32_e32 v3, 0x32a5705f, v1
	v_sub_f32_e32 v2, v2, v8
	v_add_f32_e32 v2, v2, v3
	v_exp_f32_e32 v2, v2
	v_cvt_i32_f32_e32 v3, v8
	v_cmp_ngt_f32_e32 vcc, s30, v1
	v_ldexp_f32 v2, v2, v3
	v_cndmask_b32_e32 v2, 0, v2, vcc
	v_cmp_nlt_f32_e32 vcc, s99, v1
	v_cndmask_b32_e32 v2, v241, v2, vcc
	v_cmp_le_f32_e32 vcc, s87, v1
	v_cndmask_b32_e32 v1, 0, v2, vcc
	v_cvt_f16_f32_e32 v2, v1
	v_mov_b32_e32 v3, s89
	v_fmac_f32_e32 v21, v20, v1
	v_cndmask_b32_e64 v5, v3, v5, s[48:49]
	v_pk_mul_f16 v27, v2, v33 op_sel_hi:[0,1]
	v_pk_mul_f16 v1, v2, v31 op_sel_hi:[0,1]
	;; [unrolled: 1-line block ×14, first 2 shown]
	v_cndmask_b32_e64 v31, v3, v61, s[46:47]
	v_cvt_f16_f32_e32 v2, v62
	v_cvt_f16_f32_e32 v3, v63
	v_mov_b32_e32 v33, s34
	v_readlane_b32 s46, v254, 61
	v_readlane_b32 s47, v254, 62
	v_pack_b32_f16 v2, v2, v3
	v_cvt_f16_f32_e32 v3, v4
	v_cvt_f16_f32_e32 v4, v5
	;; [unrolled: 1-line block ×3, first 2 shown]
	v_mov_b32_e32 v7, s76
	v_pack_b32_f16 v3, v3, v4
	v_cvt_f16_f32_e32 v4, v6
	v_cvt_f16_f32_e32 v6, v31
	v_mov_b32_e32 v31, s35
	v_pack_b32_f16 v4, v4, v5
	v_cvt_f16_f32_e32 v5, v60
	v_pack_b32_f16 v5, v5, v6
	v_add_co_u32_e32 v6, vcc, s77, v42
	v_addc_co_u32_e32 v7, vcc, v7, v43, vcc
	v_add_co_u32_e32 v6, vcc, v6, v57
	v_addc_co_u32_e32 v7, vcc, 0, v7, vcc
	;; [unrolled: 2-line block ×3, first 2 shown]
	v_cndmask_b32_e64 v7, v31, v7, s[44:45]
	v_cndmask_b32_e64 v6, v33, v6, s[44:45]
	flat_load_dwordx4 v[60:63], v[6:7]
	v_add_co_u32_e32 v6, vcc, s77, v44
	v_mov_b32_e32 v7, s76
	v_addc_co_u32_e32 v7, vcc, v7, v45, vcc
	v_add_co_u32_e32 v6, vcc, v6, v29
	v_addc_co_u32_e32 v7, vcc, 0, v7, vcc
	v_cndmask_b32_e64 v7, v31, v7, s[42:43]
	v_cndmask_b32_e64 v6, v33, v6, s[42:43]
	s_waitcnt vmcnt(0) lgkmcnt(0)
	ds_write_b128 v163, v[60:63]
	flat_load_dwordx4 v[60:63], v[6:7]
	v_add_co_u32_e32 v6, vcc, s77, v46
	v_mov_b32_e32 v7, s76
	v_addc_co_u32_e32 v7, vcc, v7, v47, vcc
	v_add_co_u32_e32 v6, vcc, v6, v29
	v_addc_co_u32_e32 v7, vcc, 0, v7, vcc
	v_cndmask_b32_e64 v7, v31, v7, s[40:41]
	v_cndmask_b32_e64 v6, v33, v6, s[40:41]
	s_cselect_b64 s[40:41], -1, 0
	s_xor_b64 s[42:43], s[46:47], -1
	s_or_b64 s[40:41], s[42:43], s[40:41]
	s_waitcnt vmcnt(0) lgkmcnt(0)
	ds_write_b128 v164, v[60:63]
	flat_load_dwordx4 v[60:63], v[6:7]
	s_waitcnt vmcnt(0) lgkmcnt(0)
	ds_write_b128 v165, v[60:63]
	s_waitcnt lgkmcnt(0)
	s_barrier
	ds_read_u16 v6, v136 offset:240
	ds_read_u16 v7, v136 offset:480
	v_cvt_f32_f16_e32 v60, v27
	v_cvt_f32_f16_sdwa v61, v27 dst_sel:DWORD dst_unused:UNUSED_PAD src0_sel:WORD_1
	v_cvt_f32_f16_e32 v62, v1
	v_cvt_f32_f16_sdwa v63, v1 dst_sel:DWORD dst_unused:UNUSED_PAD src0_sel:WORD_1
	ds_read_u16 v1, v137
	ds_read_u16 v27, v137 offset:32
	s_waitcnt lgkmcnt(1)
	v_perm_b32 v7, v1, v7, s91
	ds_read_u16 v1, v135
	ds_read_u16 v29, v135 offset:32
	ds_read_u16 v33, v135 offset:7680
	;; [unrolled: 1-line block ×5, first 2 shown]
	s_waitcnt lgkmcnt(5)
	v_perm_b32 v6, v6, v1, s91
	s_nop 1
	v_mfma_f32_16x16x16f16 v[60:63], v[6:7], v[4:5], v[60:63]
	s_nop 7
	s_nop 2
	v_cvt_f16_f32_e32 v6, v61
	v_cvt_f16_f32_e32 v7, v62
	;; [unrolled: 1-line block ×4, first 2 shown]
	v_cvt_f32_f16_e32 v61, v6
	v_cvt_f32_f16_e32 v62, v7
	s_waitcnt lgkmcnt(0)
	v_perm_b32 v7, v64, v57, s91
	v_perm_b32 v6, v35, v33, s91
	v_cvt_f32_f16_e32 v60, v1
	v_cvt_f32_f16_e32 v63, v31
	s_nop 1
	v_mfma_f32_16x16x16f16 v[60:63], v[6:7], v[2:3], v[60:63]
	s_nop 7
	s_nop 2
	v_cvt_f16_f32_e32 v1, v60
	v_cvt_f16_f32_e32 v6, v61
	v_cvt_f16_f32_e32 v7, v62
	v_cvt_f16_f32_e32 v31, v63
	v_cvt_f32_f16_e32 v60, v25
	v_pack_b32_f16 v6, v1, v6
	v_cvt_f32_f16_sdwa v61, v25 dst_sel:DWORD dst_unused:UNUSED_PAD src0_sel:WORD_1
	v_pack_b32_f16 v1, v7, v31
	ds_read_u16 v7, v139 offset:240
	ds_read_u16 v31, v139 offset:480
	v_cvt_f32_f16_e32 v62, v8
	v_cvt_f32_f16_sdwa v63, v8 dst_sel:DWORD dst_unused:UNUSED_PAD src0_sel:WORD_1
	s_waitcnt lgkmcnt(1)
	v_perm_b32 v64, v7, v29, s91
	s_waitcnt lgkmcnt(0)
	v_perm_b32 v65, v27, v31, s91
	ds_read_u16 v29, v140 offset:7680
	ds_read_u16 v31, v141 offset:240
	ds_read_u16 v33, v141 offset:480
	ds_read_u16 v35, v142 offset:7680
	v_mfma_f32_16x16x16f16 v[60:63], v[64:65], v[4:5], v[60:63]
	s_waitcnt lgkmcnt(0)
	v_perm_b32 v65, v35, v33, s91
	v_perm_b32 v64, v31, v29, s91
	s_nop 7
	v_cvt_f16_f32_e32 v7, v60
	v_cvt_f16_f32_e32 v8, v61
	v_cvt_f16_f32_e32 v25, v62
	v_cvt_f16_f32_e32 v27, v63
	v_cvt_f32_f16_e32 v60, v7
	v_cvt_f32_f16_e32 v61, v8
	v_cvt_f32_f16_e32 v62, v25
	v_cvt_f32_f16_e32 v63, v27
	s_nop 1
	v_mfma_f32_16x16x16f16 v[60:63], v[64:65], v[2:3], v[60:63]
	s_nop 7
	s_nop 2
	v_cvt_f16_f32_e32 v7, v60
	v_cvt_f16_f32_e32 v8, v61
	v_cvt_f16_f32_e32 v25, v62
	v_cvt_f16_f32_e32 v27, v63
	v_cvt_f32_f16_e32 v60, v12
	v_pack_b32_f16 v8, v7, v8
	v_cvt_f32_f16_sdwa v61, v12 dst_sel:DWORD dst_unused:UNUSED_PAD src0_sel:WORD_1
	v_pack_b32_f16 v7, v25, v27
	ds_read_u16 v25, v135 offset:64
	ds_read_u16 v27, v143 offset:240
	ds_read_u16 v29, v143 offset:480
	ds_read_u16 v31, v137 offset:64
	v_cvt_f32_f16_e32 v62, v9
	v_cvt_f32_f16_sdwa v63, v9 dst_sel:DWORD dst_unused:UNUSED_PAD src0_sel:WORD_1
	s_waitcnt lgkmcnt(2)
	v_perm_b32 v64, v27, v25, s91
	s_waitcnt lgkmcnt(0)
	v_perm_b32 v65, v31, v29, s91
	ds_read_u16 v29, v144 offset:7680
	ds_read_u16 v31, v145 offset:240
	ds_read_u16 v33, v145 offset:480
	ds_read_u16 v35, v146 offset:7680
	v_mfma_f32_16x16x16f16 v[60:63], v[64:65], v[4:5], v[60:63]
	s_waitcnt lgkmcnt(0)
	v_perm_b32 v65, v35, v33, s91
	v_perm_b32 v64, v31, v29, s91
	s_nop 7
	v_cvt_f16_f32_e32 v9, v60
	v_cvt_f16_f32_e32 v12, v61
	v_cvt_f16_f32_e32 v25, v62
	v_cvt_f16_f32_e32 v27, v63
	v_cvt_f32_f16_e32 v60, v9
	v_cvt_f32_f16_e32 v61, v12
	v_cvt_f32_f16_e32 v62, v25
	v_cvt_f32_f16_e32 v63, v27
	s_nop 1
	v_mfma_f32_16x16x16f16 v[60:63], v[64:65], v[2:3], v[60:63]
	s_nop 7
	s_nop 2
	v_cvt_f16_f32_e32 v9, v60
	v_cvt_f16_f32_e32 v12, v61
	v_cvt_f16_f32_e32 v25, v62
	v_cvt_f16_f32_e32 v27, v63
	v_cvt_f32_f16_e32 v60, v14
	v_pack_b32_f16 v12, v9, v12
	v_cvt_f32_f16_sdwa v61, v14 dst_sel:DWORD dst_unused:UNUSED_PAD src0_sel:WORD_1
	v_pack_b32_f16 v9, v25, v27
	ds_read_u16 v25, v135 offset:96
	ds_read_u16 v27, v147 offset:240
	;; [unrolled: 39-line block ×5, first 2 shown]
	ds_read_u16 v29, v159 offset:480
	ds_read_u16 v31, v137 offset:192
	v_cvt_f32_f16_e32 v62, v20
	v_cvt_f32_f16_sdwa v63, v20 dst_sel:DWORD dst_unused:UNUSED_PAD src0_sel:WORD_1
	s_waitcnt lgkmcnt(2)
	v_perm_b32 v64, v27, v25, s91
	s_waitcnt lgkmcnt(0)
	v_perm_b32 v65, v31, v29, s91
	ds_read_u16 v25, v160 offset:7680
	ds_read_u16 v27, v161 offset:240
	;; [unrolled: 1-line block ×4, first 2 shown]
	v_mfma_f32_16x16x16f16 v[60:63], v[64:65], v[4:5], v[60:63]
	s_waitcnt lgkmcnt(0)
	s_barrier
	s_nop 7
	s_nop 0
	v_cvt_f16_f32_e32 v4, v60
	v_cvt_f16_f32_e32 v5, v61
	;; [unrolled: 1-line block ×4, first 2 shown]
	v_cvt_f32_f16_e32 v60, v4
	v_cvt_f32_f16_e32 v61, v5
	v_perm_b32 v5, v31, v29, s91
	v_perm_b32 v4, v27, v25, s91
	v_cvt_f32_f16_e32 v62, v20
	v_cvt_f32_f16_e32 v63, v23
	s_nop 1
	v_mfma_f32_16x16x16f16 v[2:5], v[4:5], v[2:3], v[60:63]
	s_nop 7
	s_nop 2
	v_cvt_f16_f32_e32 v2, v2
	v_cvt_f16_f32_e32 v3, v3
	;; [unrolled: 1-line block ×4, first 2 shown]
	v_pack_b32_f16 v2, v2, v3
	v_pack_b32_f16 v3, v4, v5
	ds_bpermute_b32 v4, v11, v21
	s_waitcnt lgkmcnt(0)
	v_add_f32_e32 v4, v21, v4
	ds_bpermute_b32 v5, v19, v4
	s_waitcnt lgkmcnt(0)
	v_add_f32_e32 v11, v4, v5
	s_and_saveexec_b64 s[42:43], s[40:41]
	s_xor_b64 s[40:41], exec, s[42:43]
	s_andn2_saveexec_b64 s[40:41], s[40:41]
	s_cbranch_execz .LBB19_85
; %bb.84:                               ;   in Loop: Header=BB19_14 Depth=1
	global_load_dword v5, v102, s[8:9]
	v_max_f32_e32 v20, v10, v10
	s_waitcnt vmcnt(0)
	v_max_f32_e32 v4, v5, v5
	v_max_f32_e32 v4, v20, v4
	v_sub_f32_e32 v10, v10, v4
	v_mul_f32_e32 v20, 0x3fb8aa3b, v10
	v_fma_f32 v21, v10, s85, -v20
	v_rndne_f32_e32 v23, v20
	v_fmac_f32_e32 v21, 0x32a5705f, v10
	v_sub_f32_e32 v20, v20, v23
	v_add_f32_e32 v20, v20, v21
	v_exp_f32_e32 v20, v20
	v_cvt_i32_f32_e32 v21, v23
	v_cmp_ngt_f32_e32 vcc, s30, v10
	v_sub_f32_e32 v5, v5, v4
	v_ldexp_f32 v20, v20, v21
	v_cndmask_b32_e32 v20, 0, v20, vcc
	v_cmp_nlt_f32_e32 vcc, s99, v10
	v_cndmask_b32_e32 v20, v241, v20, vcc
	v_cmp_le_f32_e32 vcc, s87, v10
	v_cndmask_b32_e32 v10, 0, v20, vcc
	v_cvt_f16_f32_e32 v20, v10
	v_cmp_ngt_f32_e32 vcc, s30, v5
	v_pk_mul_f16 v6, v20, v6 op_sel_hi:[0,1]
	v_pk_mul_f16 v1, v20, v1 op_sel_hi:[0,1]
	;; [unrolled: 1-line block ×14, first 2 shown]
	v_mul_f32_e32 v20, 0x3fb8aa3b, v5
	v_fma_f32 v21, v5, s85, -v20
	v_rndne_f32_e32 v23, v20
	v_fmac_f32_e32 v21, 0x32a5705f, v5
	v_sub_f32_e32 v20, v20, v23
	v_add_f32_e32 v20, v20, v21
	v_exp_f32_e32 v20, v20
	v_cvt_i32_f32_e32 v21, v23
	v_ldexp_f32 v20, v20, v21
	v_cndmask_b32_e32 v20, 0, v20, vcc
	v_cmp_nlt_f32_e32 vcc, s99, v5
	v_cndmask_b32_e32 v5, v241, v20, vcc
	v_fmac_f32_e32 v5, v11, v10
	v_pk_mov_b32 v[10:11], v[4:5], v[4:5] op_sel:[0,1]
.LBB19_85:                              ;   in Loop: Header=BB19_14 Depth=1
	s_or_b64 exec, exec, s[40:41]
	s_mov_b64 s[40:41], exec
	v_readlane_b32 s42, v255, 1
	v_readlane_b32 s43, v255, 2
	s_and_b64 s[42:43], s[40:41], s[42:43]
	s_mov_b64 exec, s[42:43]
	s_cbranch_execz .LBB19_87
; %bb.86:                               ;   in Loop: Header=BB19_14 Depth=1
	v_add_u32_e32 v4, 0, v171
	ds_write2_b32 v4, v10, v11 offset0:56 offset1:57
.LBB19_87:                              ;   in Loop: Header=BB19_14 Depth=1
	s_or_b64 exec, exec, s[40:41]
	s_waitcnt lgkmcnt(0)
	s_barrier
	s_mov_b64 s[40:41], exec
	v_readlane_b32 s42, v254, 63
	v_readlane_b32 s43, v255, 0
	s_and_b64 s[42:43], s[40:41], s[42:43]
	s_xor_b64 s[40:41], s[42:43], s[40:41]
	s_mov_b64 exec, s[42:43]
	s_cbranch_execz .LBB19_89
; %bb.88:                               ;   in Loop: Header=BB19_14 Depth=1
	s_barrier
	s_waitcnt lgkmcnt(0)
                                        ; implicit-def: $vgpr19
.LBB19_89:                              ;   in Loop: Header=BB19_14 Depth=1
	s_andn2_saveexec_b64 s[40:41], s[40:41]
	s_cbranch_execz .LBB19_95
; %bb.90:                               ;   in Loop: Header=BB19_14 Depth=1
	v_add_u32_e32 v5, 0, v172
	ds_read_b64 v[20:21], v5 offset:224
	s_waitcnt lgkmcnt(0)
	s_barrier
	ds_bpermute_b32 v4, v19, v20
	v_max_f32_e32 v10, v20, v20
	s_waitcnt lgkmcnt(0)
	v_max_f32_e32 v4, v4, v4
	v_max_f32_e32 v4, v10, v4
	v_sub_f32_e32 v10, v20, v4
	v_mul_f32_e32 v11, 0x3fb8aa3b, v10
	v_fma_f32 v20, v10, s85, -v11
	v_rndne_f32_e32 v23, v11
	v_fmac_f32_e32 v20, 0x32a5705f, v10
	v_sub_f32_e32 v11, v11, v23
	v_add_f32_e32 v11, v11, v20
	v_cvt_i32_f32_e32 v23, v23
	v_exp_f32_e32 v11, v11
	v_cmp_ngt_f32_e32 vcc, s30, v10
	v_ldexp_f32 v11, v11, v23
	v_cndmask_b32_e32 v11, 0, v11, vcc
	v_cmp_nlt_f32_e32 vcc, s99, v10
	v_cndmask_b32_e32 v10, v241, v11, vcc
	v_mul_f32_e32 v11, v21, v10
	ds_bpermute_b32 v11, v19, v11
	s_waitcnt lgkmcnt(0)
	v_fmac_f32_e32 v11, v21, v10
	s_mov_b64 s[42:43], exec
	v_readlane_b32 s44, v255, 3
	v_readlane_b32 s45, v255, 4
	s_and_b64 s[44:45], s[42:43], s[44:45]
	s_mov_b64 exec, s[44:45]
	s_cbranch_execz .LBB19_92
; %bb.91:                               ;   in Loop: Header=BB19_14 Depth=1
	ds_write_b64 v5, v[10:11] offset:224
.LBB19_92:                              ;   in Loop: Header=BB19_14 Depth=1
	s_or_b64 exec, exec, s[42:43]
	s_mov_b64 s[42:43], exec
	v_readlane_b32 s44, v255, 1
	v_readlane_b32 s45, v255, 2
	s_and_b64 s[44:45], s[42:43], s[44:45]
	s_mov_b64 exec, s[44:45]
	s_cbranch_execz .LBB19_94
; %bb.93:                               ;   in Loop: Header=BB19_14 Depth=1
	v_mov_b32_e32 v5, v11
	global_store_dwordx2 v[38:39], v[4:5], off
.LBB19_94:                              ;   in Loop: Header=BB19_14 Depth=1
	s_or_b64 exec, exec, s[42:43]
.LBB19_95:                              ;   in Loop: Header=BB19_14 Depth=1
	s_or_b64 exec, exec, s[40:41]
	ds_write2_b32 v173, v6, v1 offset1:1
	ds_write2_b32 v173, v8, v7 offset0:8 offset1:9
	ds_write2_b32 v173, v12, v9 offset0:16 offset1:17
	;; [unrolled: 1-line block ×6, first 2 shown]
	s_waitcnt lgkmcnt(0)
	s_barrier
	s_and_saveexec_b64 s[40:41], s[46:47]
	s_cbranch_execz .LBB19_157
; %bb.96:                               ;   in Loop: Header=BB19_14 Depth=1
	v_add_u32_e32 v1, s75, v174
	v_readlane_b32 s44, v254, 43
	v_cmp_gt_i32_e32 vcc, s44, v1
	v_mov_b32_e32 v2, 0x47
	v_readlane_b32 s45, v254, 44
	v_readlane_b32 s46, v254, 45
	;; [unrolled: 1-line block ×3, first 2 shown]
	s_and_saveexec_b64 s[42:43], vcc
	s_cbranch_execz .LBB19_98
; %bb.97:                               ;   in Loop: Header=BB19_14 Depth=1
	v_add_u32_e32 v2, 0, v183
	v_add_u32_e32 v2, 0xe0, v2
	ds_read2st64_b32 v[2:3], v2 offset1:15
	ds_read2st64_b32 v[4:5], v184 offset1:15
	v_readlane_b32 s44, v255, 6
	v_mad_u64_u32 v[6:7], s[44:45], v1, s44, v[24:25]
	v_ashrrev_i32_e32 v7, 31, v6
	s_waitcnt lgkmcnt(0)
	v_cvt_f32_f16_sdwa v9, v4 dst_sel:DWORD dst_unused:UNUSED_PAD src0_sel:WORD_1
	v_cvt_f32_f16_e32 v8, v4
	v_cvt_f32_f16_sdwa v11, v5 dst_sel:DWORD dst_unused:UNUSED_PAD src0_sel:WORD_1
	v_cvt_f32_f16_e32 v10, v5
	v_lshlrev_b64 v[6:7], 3, v[6:7]
	v_add_co_u32_e32 v6, vcc, s82, v6
	v_mov_b32_e32 v1, s83
	v_pk_fma_f32 v[8:9], v[2:3], v[8:9], 0 op_sel_hi:[0,1,0]
	v_mov_b32_e32 v2, v3
	v_addc_co_u32_e32 v7, vcc, v1, v7, vcc
	v_pk_fma_f32 v[2:3], v[2:3], v[10:11], v[8:9] op_sel_hi:[0,1,1]
	global_store_dwordx2 v[6:7], v[2:3], off
	v_mov_b32_e32 v2, 0
.LBB19_98:                              ;   in Loop: Header=BB19_14 Depth=1
	s_or_b64 exec, exec, s[42:43]
	s_movk_i32 s42, 0x47
	v_cmp_gt_i32_e32 vcc, s42, v2
	s_mov_b64 s[44:45], -1
	s_and_saveexec_b64 s[42:43], vcc
; %bb.99:                               ;   in Loop: Header=BB19_14 Depth=1
	v_cmp_eq_u32_e32 vcc, 0, v2
	s_orn2_b64 s[44:45], vcc, exec
; %bb.100:                              ;   in Loop: Header=BB19_14 Depth=1
	s_or_b64 exec, exec, s[42:43]
	s_and_saveexec_b64 s[42:43], s[44:45]
	s_cbranch_execz .LBB19_133
; %bb.101:                              ;   in Loop: Header=BB19_14 Depth=1
	v_add_u32_e32 v1, s75, v185
	v_readlane_b32 s44, v254, 43
	v_readlane_b32 s45, v254, 44
	v_cmp_gt_i32_e32 vcc, s44, v1
	v_mov_b32_e32 v2, 0x47
	v_readlane_b32 s46, v254, 45
	v_readlane_b32 s47, v254, 46
	s_and_saveexec_b64 s[44:45], vcc
	s_cbranch_execz .LBB19_103
; %bb.102:                              ;   in Loop: Header=BB19_14 Depth=1
	v_add_u32_e32 v2, 0, v186
	v_add_u32_e32 v2, 0xe0, v2
	ds_read2st64_b32 v[2:3], v2 offset1:15
	ds_read2st64_b32 v[4:5], v187 offset1:15
	v_readlane_b32 s46, v255, 6
	v_mad_u64_u32 v[6:7], s[46:47], v1, s46, v[24:25]
	v_ashrrev_i32_e32 v7, 31, v6
	s_waitcnt lgkmcnt(0)
	v_cvt_f32_f16_sdwa v9, v4 dst_sel:DWORD dst_unused:UNUSED_PAD src0_sel:WORD_1
	v_cvt_f32_f16_e32 v8, v4
	v_cvt_f32_f16_sdwa v11, v5 dst_sel:DWORD dst_unused:UNUSED_PAD src0_sel:WORD_1
	v_cvt_f32_f16_e32 v10, v5
	v_lshlrev_b64 v[6:7], 3, v[6:7]
	v_add_co_u32_e32 v6, vcc, s82, v6
	v_mov_b32_e32 v1, s83
	v_pk_fma_f32 v[8:9], v[2:3], v[8:9], 0 op_sel_hi:[0,1,0]
	v_mov_b32_e32 v2, v3
	v_addc_co_u32_e32 v7, vcc, v1, v7, vcc
	v_pk_fma_f32 v[2:3], v[2:3], v[10:11], v[8:9] op_sel_hi:[0,1,1]
	global_store_dwordx2 v[6:7], v[2:3], off
	v_mov_b32_e32 v2, 0
.LBB19_103:                             ;   in Loop: Header=BB19_14 Depth=1
	s_or_b64 exec, exec, s[44:45]
	s_movk_i32 s44, 0x47
	v_cmp_gt_i32_e32 vcc, s44, v2
	s_mov_b64 s[44:45], -1
	s_and_saveexec_b64 s[46:47], vcc
; %bb.104:                              ;   in Loop: Header=BB19_14 Depth=1
	v_cmp_eq_u32_e32 vcc, 0, v2
	s_orn2_b64 s[44:45], vcc, exec
; %bb.105:                              ;   in Loop: Header=BB19_14 Depth=1
	s_or_b64 exec, exec, s[46:47]
	s_and_b64 exec, exec, s[44:45]
	s_cbranch_execz .LBB19_133
; %bb.106:                              ;   in Loop: Header=BB19_14 Depth=1
	v_add_u32_e32 v1, s75, v188
	v_readlane_b32 s44, v254, 43
	v_readlane_b32 s45, v254, 44
	v_cmp_gt_i32_e32 vcc, s44, v1
	v_mov_b32_e32 v2, 0x47
	v_readlane_b32 s46, v254, 45
	v_readlane_b32 s47, v254, 46
	s_and_saveexec_b64 s[44:45], vcc
	s_cbranch_execz .LBB19_108
; %bb.107:                              ;   in Loop: Header=BB19_14 Depth=1
	v_add_u32_e32 v2, 0, v189
	v_add_u32_e32 v2, 0xe0, v2
	ds_read2st64_b32 v[2:3], v2 offset1:15
	ds_read2st64_b32 v[4:5], v190 offset1:15
	v_readlane_b32 s46, v255, 6
	v_mad_u64_u32 v[6:7], s[46:47], v1, s46, v[24:25]
	v_ashrrev_i32_e32 v7, 31, v6
	s_waitcnt lgkmcnt(0)
	v_cvt_f32_f16_sdwa v9, v4 dst_sel:DWORD dst_unused:UNUSED_PAD src0_sel:WORD_1
	v_cvt_f32_f16_e32 v8, v4
	v_cvt_f32_f16_sdwa v11, v5 dst_sel:DWORD dst_unused:UNUSED_PAD src0_sel:WORD_1
	v_cvt_f32_f16_e32 v10, v5
	v_lshlrev_b64 v[6:7], 3, v[6:7]
	v_add_co_u32_e32 v6, vcc, s82, v6
	v_mov_b32_e32 v1, s83
	v_pk_fma_f32 v[8:9], v[2:3], v[8:9], 0 op_sel_hi:[0,1,0]
	v_mov_b32_e32 v2, v3
	v_addc_co_u32_e32 v7, vcc, v1, v7, vcc
	v_pk_fma_f32 v[2:3], v[2:3], v[10:11], v[8:9] op_sel_hi:[0,1,1]
	global_store_dwordx2 v[6:7], v[2:3], off
	v_mov_b32_e32 v2, 0
.LBB19_108:                             ;   in Loop: Header=BB19_14 Depth=1
	s_or_b64 exec, exec, s[44:45]
	s_movk_i32 s44, 0x47
	v_cmp_gt_i32_e32 vcc, s44, v2
	s_mov_b64 s[44:45], -1
	s_and_saveexec_b64 s[46:47], vcc
; %bb.109:                              ;   in Loop: Header=BB19_14 Depth=1
	v_cmp_eq_u32_e32 vcc, 0, v2
	s_orn2_b64 s[44:45], vcc, exec
; %bb.110:                              ;   in Loop: Header=BB19_14 Depth=1
	s_or_b64 exec, exec, s[46:47]
	s_and_b64 exec, exec, s[44:45]
	;; [unrolled: 45-line block ×3, first 2 shown]
	s_cbranch_execz .LBB19_133
; %bb.116:                              ;   in Loop: Header=BB19_14 Depth=1
	v_add_u32_e32 v1, s75, v202
	v_readlane_b32 s44, v254, 43
	v_readlane_b32 s45, v254, 44
	v_cmp_gt_i32_e32 vcc, s44, v1
	v_mov_b32_e32 v2, 0x47
	v_readlane_b32 s46, v254, 45
	v_readlane_b32 s47, v254, 46
	s_and_saveexec_b64 s[44:45], vcc
	s_cbranch_execz .LBB19_118
; %bb.117:                              ;   in Loop: Header=BB19_14 Depth=1
	buffer_load_dword v2, off, s[0:3], 0 offset:16 ; 4-byte Folded Reload
	v_readlane_b32 s46, v255, 6
	v_mad_u64_u32 v[6:7], s[46:47], v1, s46, v[24:25]
	v_ashrrev_i32_e32 v7, 31, v6
	v_lshlrev_b64 v[6:7], 3, v[6:7]
	v_add_co_u32_e32 v6, vcc, s82, v6
	v_mov_b32_e32 v1, s83
	v_addc_co_u32_e32 v7, vcc, v1, v7, vcc
	s_waitcnt vmcnt(0)
	v_add_u32_e32 v2, 0, v2
	v_add_u32_e32 v2, 0xe0, v2
	ds_read2st64_b32 v[2:3], v2 offset1:15
	ds_read2st64_b32 v[4:5], v196 offset1:15
	s_waitcnt lgkmcnt(0)
	v_cvt_f32_f16_sdwa v9, v4 dst_sel:DWORD dst_unused:UNUSED_PAD src0_sel:WORD_1
	v_cvt_f32_f16_e32 v8, v4
	v_cvt_f32_f16_sdwa v11, v5 dst_sel:DWORD dst_unused:UNUSED_PAD src0_sel:WORD_1
	v_cvt_f32_f16_e32 v10, v5
	v_pk_fma_f32 v[8:9], v[2:3], v[8:9], 0 op_sel_hi:[0,1,0]
	v_mov_b32_e32 v2, v3
	v_pk_fma_f32 v[2:3], v[2:3], v[10:11], v[8:9] op_sel_hi:[0,1,1]
	global_store_dwordx2 v[6:7], v[2:3], off
	v_mov_b32_e32 v2, 0
.LBB19_118:                             ;   in Loop: Header=BB19_14 Depth=1
	s_or_b64 exec, exec, s[44:45]
	s_movk_i32 s44, 0x47
	v_cmp_gt_i32_e32 vcc, s44, v2
	s_mov_b64 s[44:45], -1
	s_and_saveexec_b64 s[46:47], vcc
; %bb.119:                              ;   in Loop: Header=BB19_14 Depth=1
	v_cmp_eq_u32_e32 vcc, 0, v2
	s_orn2_b64 s[44:45], vcc, exec
; %bb.120:                              ;   in Loop: Header=BB19_14 Depth=1
	s_or_b64 exec, exec, s[46:47]
	s_and_b64 exec, exec, s[44:45]
	s_cbranch_execz .LBB19_133
; %bb.121:                              ;   in Loop: Header=BB19_14 Depth=1
	v_add_u32_e32 v1, s75, v197
	v_readlane_b32 s44, v254, 43
	v_readlane_b32 s45, v254, 44
	v_cmp_gt_i32_e32 vcc, s44, v1
	v_mov_b32_e32 v2, 0x47
	v_readlane_b32 s46, v254, 45
	v_readlane_b32 s47, v254, 46
	s_and_saveexec_b64 s[44:45], vcc
	s_cbranch_execz .LBB19_123
; %bb.122:                              ;   in Loop: Header=BB19_14 Depth=1
	buffer_load_dword v2, off, s[0:3], 0 offset:20 ; 4-byte Folded Reload
	buffer_load_dword v4, off, s[0:3], 0 offset:24 ; 4-byte Folded Reload
	v_readlane_b32 s46, v255, 6
	v_mad_u64_u32 v[6:7], s[46:47], v1, s46, v[24:25]
	v_ashrrev_i32_e32 v7, 31, v6
	v_lshlrev_b64 v[6:7], 3, v[6:7]
	v_add_co_u32_e32 v6, vcc, s82, v6
	v_mov_b32_e32 v1, s83
	v_addc_co_u32_e32 v7, vcc, v1, v7, vcc
	s_waitcnt vmcnt(1)
	v_add_u32_e32 v2, 0, v2
	s_waitcnt vmcnt(0)
	ds_read2st64_b32 v[4:5], v4 offset1:15
	v_add_u32_e32 v2, 0xe0, v2
	ds_read2st64_b32 v[2:3], v2 offset1:15
	s_waitcnt lgkmcnt(1)
	v_cvt_f32_f16_sdwa v9, v4 dst_sel:DWORD dst_unused:UNUSED_PAD src0_sel:WORD_1
	v_cvt_f32_f16_e32 v8, v4
	v_cvt_f32_f16_sdwa v11, v5 dst_sel:DWORD dst_unused:UNUSED_PAD src0_sel:WORD_1
	v_cvt_f32_f16_e32 v10, v5
	s_waitcnt lgkmcnt(0)
	v_pk_fma_f32 v[8:9], v[2:3], v[8:9], 0 op_sel_hi:[0,1,0]
	v_mov_b32_e32 v2, v3
	v_pk_fma_f32 v[2:3], v[2:3], v[10:11], v[8:9] op_sel_hi:[0,1,1]
	global_store_dwordx2 v[6:7], v[2:3], off
	v_mov_b32_e32 v2, 0
.LBB19_123:                             ;   in Loop: Header=BB19_14 Depth=1
	s_or_b64 exec, exec, s[44:45]
	s_movk_i32 s44, 0x47
	v_cmp_gt_i32_e32 vcc, s44, v2
	s_mov_b64 s[44:45], -1
	s_and_saveexec_b64 s[46:47], vcc
; %bb.124:                              ;   in Loop: Header=BB19_14 Depth=1
	v_cmp_eq_u32_e32 vcc, 0, v2
	s_orn2_b64 s[44:45], vcc, exec
; %bb.125:                              ;   in Loop: Header=BB19_14 Depth=1
	s_or_b64 exec, exec, s[46:47]
	s_and_b64 exec, exec, s[44:45]
	s_cbranch_execz .LBB19_133
; %bb.126:                              ;   in Loop: Header=BB19_14 Depth=1
	v_add_u32_e32 v1, s75, v200
	v_readlane_b32 s44, v254, 43
	v_readlane_b32 s45, v254, 44
	v_cmp_gt_i32_e32 vcc, s44, v1
	v_mov_b32_e32 v2, 0x47
	v_readlane_b32 s46, v254, 45
	v_readlane_b32 s47, v254, 46
	s_and_saveexec_b64 s[44:45], vcc
	s_cbranch_execz .LBB19_128
; %bb.127:                              ;   in Loop: Header=BB19_14 Depth=1
	buffer_load_dword v2, off, s[0:3], 0 offset:28 ; 4-byte Folded Reload
	buffer_load_dword v4, off, s[0:3], 0 offset:32 ; 4-byte Folded Reload
	v_readlane_b32 s46, v255, 6
	v_mad_u64_u32 v[6:7], s[46:47], v1, s46, v[24:25]
	v_ashrrev_i32_e32 v7, 31, v6
	v_lshlrev_b64 v[6:7], 3, v[6:7]
	v_add_co_u32_e32 v6, vcc, s82, v6
	v_mov_b32_e32 v1, s83
	v_addc_co_u32_e32 v7, vcc, v1, v7, vcc
	s_waitcnt vmcnt(1)
	v_add_u32_e32 v2, 0, v2
	s_waitcnt vmcnt(0)
	ds_read2st64_b32 v[4:5], v4 offset1:15
	v_add_u32_e32 v2, 0xe0, v2
	ds_read2st64_b32 v[2:3], v2 offset1:15
	s_waitcnt lgkmcnt(1)
	v_cvt_f32_f16_sdwa v9, v4 dst_sel:DWORD dst_unused:UNUSED_PAD src0_sel:WORD_1
	v_cvt_f32_f16_e32 v8, v4
	v_cvt_f32_f16_sdwa v11, v5 dst_sel:DWORD dst_unused:UNUSED_PAD src0_sel:WORD_1
	v_cvt_f32_f16_e32 v10, v5
	s_waitcnt lgkmcnt(0)
	v_pk_fma_f32 v[8:9], v[2:3], v[8:9], 0 op_sel_hi:[0,1,0]
	v_mov_b32_e32 v2, v3
	v_pk_fma_f32 v[2:3], v[2:3], v[10:11], v[8:9] op_sel_hi:[0,1,1]
	global_store_dwordx2 v[6:7], v[2:3], off
	v_mov_b32_e32 v2, 0
.LBB19_128:                             ;   in Loop: Header=BB19_14 Depth=1
	s_or_b64 exec, exec, s[44:45]
	s_movk_i32 s44, 0x47
	v_cmp_gt_i32_e32 vcc, s44, v2
	s_mov_b64 s[44:45], -1
	s_and_saveexec_b64 s[46:47], vcc
; %bb.129:                              ;   in Loop: Header=BB19_14 Depth=1
	v_cmp_eq_u32_e32 vcc, 0, v2
	s_orn2_b64 s[44:45], vcc, exec
; %bb.130:                              ;   in Loop: Header=BB19_14 Depth=1
	s_or_b64 exec, exec, s[46:47]
	s_and_b64 exec, exec, s[44:45]
	s_cbranch_execz .LBB19_133
; %bb.131:                              ;   in Loop: Header=BB19_14 Depth=1
	v_add_u32_e32 v1, s75, v203
	v_readlane_b32 s44, v254, 43
	v_cmp_gt_i32_e32 vcc, s44, v1
	v_readlane_b32 s45, v254, 44
	v_readlane_b32 s46, v254, 45
	;; [unrolled: 1-line block ×3, first 2 shown]
	s_and_b64 exec, exec, vcc
	s_cbranch_execz .LBB19_133
; %bb.132:                              ;   in Loop: Header=BB19_14 Depth=1
	buffer_load_dword v2, off, s[0:3], 0 offset:36 ; 4-byte Folded Reload
	buffer_load_dword v4, off, s[0:3], 0 offset:40 ; 4-byte Folded Reload
	v_readlane_b32 s44, v255, 6
	v_mad_u64_u32 v[6:7], s[44:45], v1, s44, v[24:25]
	v_ashrrev_i32_e32 v7, 31, v6
	v_lshlrev_b64 v[6:7], 3, v[6:7]
	v_add_co_u32_e32 v6, vcc, s82, v6
	v_mov_b32_e32 v1, s83
	v_addc_co_u32_e32 v7, vcc, v1, v7, vcc
	s_waitcnt vmcnt(1)
	v_add_u32_e32 v2, 0, v2
	s_waitcnt vmcnt(0)
	ds_read2st64_b32 v[4:5], v4 offset1:15
	v_add_u32_e32 v2, 0xe0, v2
	ds_read2st64_b32 v[2:3], v2 offset1:15
	s_waitcnt lgkmcnt(1)
	v_cvt_f32_f16_sdwa v9, v4 dst_sel:DWORD dst_unused:UNUSED_PAD src0_sel:WORD_1
	v_cvt_f32_f16_e32 v8, v4
	v_cvt_f32_f16_sdwa v11, v5 dst_sel:DWORD dst_unused:UNUSED_PAD src0_sel:WORD_1
	v_cvt_f32_f16_e32 v10, v5
	s_waitcnt lgkmcnt(0)
	v_pk_fma_f32 v[8:9], v[2:3], v[8:9], 0 op_sel_hi:[0,1,0]
	v_mov_b32_e32 v2, v3
	v_pk_fma_f32 v[2:3], v[2:3], v[10:11], v[8:9] op_sel_hi:[0,1,1]
	global_store_dwordx2 v[6:7], v[2:3], off
.LBB19_133:                             ;   in Loop: Header=BB19_14 Depth=1
	s_or_b64 exec, exec, s[42:43]
	v_add_u32_e32 v2, s75, v175
	v_readlane_b32 s44, v254, 43
	v_cmp_gt_i32_e32 vcc, s44, v2
	v_mov_b32_e32 v1, 0x47
	v_readlane_b32 s45, v254, 44
	v_readlane_b32 s46, v254, 45
	;; [unrolled: 1-line block ×3, first 2 shown]
	s_and_saveexec_b64 s[42:43], vcc
	s_cbranch_execz .LBB19_135
; %bb.134:                              ;   in Loop: Header=BB19_14 Depth=1
	v_add_u32_e32 v4, 0x80, v207
	ds_read2st64_b32 v[4:5], v4 offset1:15
	v_readlane_b32 s44, v255, 6
	v_mul_lo_u32 v1, v2, s44
	v_add_u32_e32 v2, 0, v206
	v_add_u32_e32 v2, 0xe0, v2
	ds_read2st64_b32 v[2:3], v2 offset1:15
	s_waitcnt lgkmcnt(1)
	v_cvt_f32_f16_sdwa v9, v4 dst_sel:DWORD dst_unused:UNUSED_PAD src0_sel:WORD_1
	v_cvt_f32_f16_e32 v8, v4
	v_ashrrev_i32_e32 v7, 31, v1
	v_add_co_u32_e32 v6, vcc, v1, v26
	v_cvt_f32_f16_sdwa v11, v5 dst_sel:DWORD dst_unused:UNUSED_PAD src0_sel:WORD_1
	v_cvt_f32_f16_e32 v10, v5
	v_addc_co_u32_e32 v7, vcc, 0, v7, vcc
	v_lshlrev_b64 v[6:7], 3, v[6:7]
	v_add_co_u32_e32 v6, vcc, s82, v6
	v_mov_b32_e32 v1, s83
	s_waitcnt lgkmcnt(0)
	v_pk_fma_f32 v[8:9], v[2:3], v[8:9], 0 op_sel_hi:[0,1,0]
	v_mov_b32_e32 v2, v3
	v_addc_co_u32_e32 v7, vcc, v1, v7, vcc
	v_pk_fma_f32 v[2:3], v[2:3], v[10:11], v[8:9] op_sel_hi:[0,1,1]
	v_mov_b32_e32 v1, 0
	global_store_dwordx2 v[6:7], v[2:3], off offset:256
.LBB19_135:                             ;   in Loop: Header=BB19_14 Depth=1
	s_or_b64 exec, exec, s[42:43]
	s_movk_i32 s42, 0x47
	v_cmp_gt_i32_e32 vcc, s42, v1
	s_mov_b64 s[44:45], -1
	s_and_saveexec_b64 s[42:43], vcc
; %bb.136:                              ;   in Loop: Header=BB19_14 Depth=1
	v_cmp_eq_u32_e32 vcc, 0, v1
	s_orn2_b64 s[44:45], vcc, exec
; %bb.137:                              ;   in Loop: Header=BB19_14 Depth=1
	s_or_b64 exec, exec, s[42:43]
	s_and_saveexec_b64 s[42:43], s[44:45]
	s_cbranch_execz .LBB19_150
; %bb.138:                              ;   in Loop: Header=BB19_14 Depth=1
	v_add_u32_e32 v2, s75, v208
	v_readlane_b32 s44, v254, 43
	v_readlane_b32 s45, v254, 44
	v_cmp_gt_i32_e32 vcc, s44, v2
	v_mov_b32_e32 v1, 0x47
	v_readlane_b32 s46, v254, 45
	v_readlane_b32 s47, v254, 46
	s_and_saveexec_b64 s[44:45], vcc
	s_cbranch_execz .LBB19_140
; %bb.139:                              ;   in Loop: Header=BB19_14 Depth=1
	v_add_u32_e32 v4, 0x80, v210
	ds_read2st64_b32 v[4:5], v4 offset1:15
	v_readlane_b32 s46, v255, 6
	v_mul_lo_u32 v1, v2, s46
	v_add_u32_e32 v2, 0, v209
	v_add_u32_e32 v2, 0xe0, v2
	ds_read2st64_b32 v[2:3], v2 offset1:15
	s_waitcnt lgkmcnt(1)
	v_cvt_f32_f16_sdwa v9, v4 dst_sel:DWORD dst_unused:UNUSED_PAD src0_sel:WORD_1
	v_cvt_f32_f16_e32 v8, v4
	v_ashrrev_i32_e32 v7, 31, v1
	v_add_co_u32_e32 v6, vcc, v1, v26
	v_cvt_f32_f16_sdwa v11, v5 dst_sel:DWORD dst_unused:UNUSED_PAD src0_sel:WORD_1
	v_cvt_f32_f16_e32 v10, v5
	v_addc_co_u32_e32 v7, vcc, 0, v7, vcc
	v_lshlrev_b64 v[6:7], 3, v[6:7]
	v_add_co_u32_e32 v6, vcc, s82, v6
	v_mov_b32_e32 v1, s83
	s_waitcnt lgkmcnt(0)
	v_pk_fma_f32 v[8:9], v[2:3], v[8:9], 0 op_sel_hi:[0,1,0]
	v_mov_b32_e32 v2, v3
	v_addc_co_u32_e32 v7, vcc, v1, v7, vcc
	v_pk_fma_f32 v[2:3], v[2:3], v[10:11], v[8:9] op_sel_hi:[0,1,1]
	v_mov_b32_e32 v1, 0
	global_store_dwordx2 v[6:7], v[2:3], off offset:256
.LBB19_140:                             ;   in Loop: Header=BB19_14 Depth=1
	s_or_b64 exec, exec, s[44:45]
	s_movk_i32 s44, 0x47
	v_cmp_gt_i32_e32 vcc, s44, v1
	s_mov_b64 s[44:45], -1
	s_and_saveexec_b64 s[46:47], vcc
; %bb.141:                              ;   in Loop: Header=BB19_14 Depth=1
	v_cmp_eq_u32_e32 vcc, 0, v1
	s_orn2_b64 s[44:45], vcc, exec
; %bb.142:                              ;   in Loop: Header=BB19_14 Depth=1
	s_or_b64 exec, exec, s[46:47]
	s_and_b64 exec, exec, s[44:45]
	s_cbranch_execz .LBB19_150
; %bb.143:                              ;   in Loop: Header=BB19_14 Depth=1
	v_add_u32_e32 v2, s75, v211
	v_readlane_b32 s44, v254, 43
	v_readlane_b32 s45, v254, 44
	v_cmp_gt_i32_e32 vcc, s44, v2
	v_mov_b32_e32 v1, 0x47
	v_readlane_b32 s46, v254, 45
	v_readlane_b32 s47, v254, 46
	s_and_saveexec_b64 s[44:45], vcc
	s_cbranch_execz .LBB19_145
; %bb.144:                              ;   in Loop: Header=BB19_14 Depth=1
	v_add_u32_e32 v4, 0x80, v213
	ds_read2st64_b32 v[4:5], v4 offset1:15
	v_readlane_b32 s46, v255, 6
	v_mul_lo_u32 v1, v2, s46
	v_add_u32_e32 v2, 0, v212
	v_add_u32_e32 v2, 0xe0, v2
	ds_read2st64_b32 v[2:3], v2 offset1:15
	s_waitcnt lgkmcnt(1)
	v_cvt_f32_f16_sdwa v9, v4 dst_sel:DWORD dst_unused:UNUSED_PAD src0_sel:WORD_1
	v_cvt_f32_f16_e32 v8, v4
	v_ashrrev_i32_e32 v7, 31, v1
	v_add_co_u32_e32 v6, vcc, v1, v26
	v_cvt_f32_f16_sdwa v11, v5 dst_sel:DWORD dst_unused:UNUSED_PAD src0_sel:WORD_1
	v_cvt_f32_f16_e32 v10, v5
	v_addc_co_u32_e32 v7, vcc, 0, v7, vcc
	v_lshlrev_b64 v[6:7], 3, v[6:7]
	v_add_co_u32_e32 v6, vcc, s82, v6
	v_mov_b32_e32 v1, s83
	s_waitcnt lgkmcnt(0)
	v_pk_fma_f32 v[8:9], v[2:3], v[8:9], 0 op_sel_hi:[0,1,0]
	v_mov_b32_e32 v2, v3
	v_addc_co_u32_e32 v7, vcc, v1, v7, vcc
	v_pk_fma_f32 v[2:3], v[2:3], v[10:11], v[8:9] op_sel_hi:[0,1,1]
	v_mov_b32_e32 v1, 0
	global_store_dwordx2 v[6:7], v[2:3], off offset:256
.LBB19_145:                             ;   in Loop: Header=BB19_14 Depth=1
	s_or_b64 exec, exec, s[44:45]
	s_movk_i32 s44, 0x47
	v_cmp_gt_i32_e32 vcc, s44, v1
	s_mov_b64 s[44:45], -1
	s_and_saveexec_b64 s[46:47], vcc
; %bb.146:                              ;   in Loop: Header=BB19_14 Depth=1
	v_cmp_eq_u32_e32 vcc, 0, v1
	s_orn2_b64 s[44:45], vcc, exec
; %bb.147:                              ;   in Loop: Header=BB19_14 Depth=1
	s_or_b64 exec, exec, s[46:47]
	s_and_b64 exec, exec, s[44:45]
	s_cbranch_execz .LBB19_150
; %bb.148:                              ;   in Loop: Header=BB19_14 Depth=1
	v_add_u32_e32 v1, s75, v214
	v_readlane_b32 s44, v254, 43
	v_cmp_gt_i32_e32 vcc, s44, v1
	v_readlane_b32 s45, v254, 44
	v_readlane_b32 s46, v254, 45
	;; [unrolled: 1-line block ×3, first 2 shown]
	s_and_b64 exec, exec, vcc
	s_cbranch_execz .LBB19_150
; %bb.149:                              ;   in Loop: Header=BB19_14 Depth=1
	v_add_u32_e32 v4, 0x80, v216
	ds_read2st64_b32 v[4:5], v4 offset1:15
	v_add_u32_e32 v2, 0, v215
	v_add_u32_e32 v2, 0xe0, v2
	v_readlane_b32 s44, v255, 6
	ds_read2st64_b32 v[2:3], v2 offset1:15
	v_mul_lo_u32 v1, v1, s44
	s_waitcnt lgkmcnt(1)
	v_cvt_f32_f16_sdwa v9, v4 dst_sel:DWORD dst_unused:UNUSED_PAD src0_sel:WORD_1
	v_cvt_f32_f16_e32 v8, v4
	v_ashrrev_i32_e32 v7, 31, v1
	v_add_co_u32_e32 v6, vcc, v1, v26
	v_cvt_f32_f16_sdwa v11, v5 dst_sel:DWORD dst_unused:UNUSED_PAD src0_sel:WORD_1
	v_cvt_f32_f16_e32 v10, v5
	v_addc_co_u32_e32 v7, vcc, 0, v7, vcc
	v_lshlrev_b64 v[6:7], 3, v[6:7]
	v_add_co_u32_e32 v6, vcc, s82, v6
	v_mov_b32_e32 v1, s83
	s_waitcnt lgkmcnt(0)
	v_pk_fma_f32 v[8:9], v[2:3], v[8:9], 0 op_sel_hi:[0,1,0]
	v_mov_b32_e32 v2, v3
	v_addc_co_u32_e32 v7, vcc, v1, v7, vcc
	v_pk_fma_f32 v[2:3], v[2:3], v[10:11], v[8:9] op_sel_hi:[0,1,1]
	global_store_dwordx2 v[6:7], v[2:3], off offset:256
.LBB19_150:                             ;   in Loop: Header=BB19_14 Depth=1
	s_or_b64 exec, exec, s[42:43]
	v_add_u32_e32 v2, s75, v176
	v_readlane_b32 s44, v254, 43
	v_cmp_gt_i32_e32 vcc, s44, v2
	v_mov_b32_e32 v1, 0x47
	v_readlane_b32 s45, v254, 44
	v_readlane_b32 s46, v254, 45
	;; [unrolled: 1-line block ×3, first 2 shown]
	s_and_saveexec_b64 s[42:43], vcc
	s_cbranch_execz .LBB19_152
; %bb.151:                              ;   in Loop: Header=BB19_14 Depth=1
	v_add_u32_e32 v4, 0xc0, v218
	ds_read2st64_b32 v[4:5], v4 offset1:15
	v_readlane_b32 s44, v255, 6
	v_mul_lo_u32 v1, v2, s44
	v_add_u32_e32 v2, 0, v217
	v_add_u32_e32 v2, 0xe0, v2
	ds_read2st64_b32 v[2:3], v2 offset1:15
	s_waitcnt lgkmcnt(1)
	v_cvt_f32_f16_sdwa v9, v4 dst_sel:DWORD dst_unused:UNUSED_PAD src0_sel:WORD_1
	v_cvt_f32_f16_e32 v8, v4
	v_ashrrev_i32_e32 v7, 31, v1
	v_add_co_u32_e32 v6, vcc, v1, v28
	v_cvt_f32_f16_sdwa v11, v5 dst_sel:DWORD dst_unused:UNUSED_PAD src0_sel:WORD_1
	v_cvt_f32_f16_e32 v10, v5
	v_addc_co_u32_e32 v7, vcc, 0, v7, vcc
	v_lshlrev_b64 v[6:7], 3, v[6:7]
	v_add_co_u32_e32 v6, vcc, s82, v6
	v_mov_b32_e32 v1, s83
	s_waitcnt lgkmcnt(0)
	v_pk_fma_f32 v[8:9], v[2:3], v[8:9], 0 op_sel_hi:[0,1,0]
	v_mov_b32_e32 v2, v3
	v_addc_co_u32_e32 v7, vcc, v1, v7, vcc
	v_pk_fma_f32 v[2:3], v[2:3], v[10:11], v[8:9] op_sel_hi:[0,1,1]
	v_mov_b32_e32 v1, 0
	global_store_dwordx2 v[6:7], v[2:3], off offset:384
.LBB19_152:                             ;   in Loop: Header=BB19_14 Depth=1
	s_or_b64 exec, exec, s[42:43]
	s_movk_i32 s42, 0x47
	v_cmp_gt_i32_e32 vcc, s42, v1
	s_mov_b64 s[42:43], -1
	s_and_saveexec_b64 s[44:45], vcc
; %bb.153:                              ;   in Loop: Header=BB19_14 Depth=1
	v_cmp_eq_u32_e32 vcc, 0, v1
	s_orn2_b64 s[42:43], vcc, exec
; %bb.154:                              ;   in Loop: Header=BB19_14 Depth=1
	s_or_b64 exec, exec, s[44:45]
	s_and_b64 exec, exec, s[42:43]
	s_cbranch_execz .LBB19_157
; %bb.155:                              ;   in Loop: Header=BB19_14 Depth=1
	v_add_u32_e32 v1, s75, v219
	v_readlane_b32 s44, v254, 43
	v_cmp_gt_i32_e32 vcc, s44, v1
	v_readlane_b32 s45, v254, 44
	v_readlane_b32 s46, v254, 45
	;; [unrolled: 1-line block ×3, first 2 shown]
	s_and_b64 exec, exec, vcc
	s_cbranch_execz .LBB19_157
; %bb.156:                              ;   in Loop: Header=BB19_14 Depth=1
	v_add_u32_e32 v4, 0xc0, v221
	ds_read2st64_b32 v[4:5], v4 offset1:15
	v_add_u32_e32 v2, 0, v220
	v_add_u32_e32 v2, 0xe0, v2
	v_readlane_b32 s42, v255, 6
	ds_read2st64_b32 v[2:3], v2 offset1:15
	v_mul_lo_u32 v1, v1, s42
	s_waitcnt lgkmcnt(1)
	v_cvt_f32_f16_sdwa v9, v4 dst_sel:DWORD dst_unused:UNUSED_PAD src0_sel:WORD_1
	v_cvt_f32_f16_e32 v8, v4
	v_ashrrev_i32_e32 v7, 31, v1
	v_add_co_u32_e32 v6, vcc, v1, v28
	v_cvt_f32_f16_sdwa v11, v5 dst_sel:DWORD dst_unused:UNUSED_PAD src0_sel:WORD_1
	v_cvt_f32_f16_e32 v10, v5
	v_addc_co_u32_e32 v7, vcc, 0, v7, vcc
	v_lshlrev_b64 v[6:7], 3, v[6:7]
	v_add_co_u32_e32 v6, vcc, s82, v6
	v_mov_b32_e32 v1, s83
	s_waitcnt lgkmcnt(0)
	v_pk_fma_f32 v[8:9], v[2:3], v[8:9], 0 op_sel_hi:[0,1,0]
	v_mov_b32_e32 v2, v3
	v_addc_co_u32_e32 v7, vcc, v1, v7, vcc
	v_pk_fma_f32 v[2:3], v[2:3], v[10:11], v[8:9] op_sel_hi:[0,1,1]
	global_store_dwordx2 v[6:7], v[2:3], off offset:384
.LBB19_157:                             ;   in Loop: Header=BB19_14 Depth=1
	s_or_b64 exec, exec, s[40:41]
	s_barrier
	s_branch .LBB19_13
.LBB19_158:                             ;   in Loop: Header=BB19_14 Depth=1
	v_readlane_b32 s40, v255, 22
	s_lshl_b32 s68, s40, 5
	v_add_u32_e32 v1, s68, v103
	v_readlane_b32 s40, v254, 43
	v_readlane_b32 s41, v254, 44
	v_cmp_le_i32_e32 vcc, s40, v1
	v_readlane_b32 s42, v254, 45
	v_readlane_b32 s43, v254, 46
	s_and_saveexec_b64 s[40:41], vcc
	s_xor_b64 s[40:41], exec, s[40:41]
	s_cbranch_execz .LBB19_160
; %bb.159:                              ;   in Loop: Header=BB19_14 Depth=1
	ds_write_b32 v177, v102
                                        ; implicit-def: $vgpr1
.LBB19_160:                             ;   in Loop: Header=BB19_14 Depth=1
	s_andn2_saveexec_b64 s[40:41], s[40:41]
	s_cbranch_execz .LBB19_162
; %bb.161:                              ;   in Loop: Header=BB19_14 Depth=1
	v_readlane_b32 s42, v254, 19
	v_mad_u64_u32 v[2:3], s[42:43], v1, s42, v[24:25]
	v_ashrrev_i32_e32 v3, 31, v2
	v_lshlrev_b64 v[2:3], 3, v[2:3]
	v_mov_b32_e32 v1, s81
	v_add_co_u32_e32 v2, vcc, s80, v2
	v_addc_co_u32_e32 v3, vcc, v1, v3, vcc
	global_load_dwordx2 v[2:3], v[2:3], off
	s_waitcnt vmcnt(0)
	v_cvt_f16_f32_e32 v1, v2
	v_cvt_f16_f32_e32 v2, v3
	v_pack_b32_f16 v1, v1, v2
	v_pk_mul_f16 v1, v37, v1
	ds_write_b32 v177, v1
.LBB19_162:                             ;   in Loop: Header=BB19_14 Depth=1
	s_or_b64 exec, exec, s[40:41]
	v_add_u32_e32 v1, s68, v178
	v_readlane_b32 s40, v254, 43
	v_readlane_b32 s41, v254, 44
	v_cmp_le_i32_e32 vcc, s40, v1
	v_readlane_b32 s42, v254, 45
	v_readlane_b32 s43, v254, 46
	s_and_saveexec_b64 s[40:41], vcc
	s_xor_b64 s[40:41], exec, s[40:41]
	s_cbranch_execz .LBB19_164
; %bb.163:                              ;   in Loop: Header=BB19_14 Depth=1
	ds_write_b32 v177, v102 offset:1920
                                        ; implicit-def: $vgpr1
.LBB19_164:                             ;   in Loop: Header=BB19_14 Depth=1
	s_andn2_saveexec_b64 s[40:41], s[40:41]
	s_cbranch_execz .LBB19_166
; %bb.165:                              ;   in Loop: Header=BB19_14 Depth=1
	v_readlane_b32 s42, v254, 19
	v_mad_u64_u32 v[2:3], s[42:43], v1, s42, v[24:25]
	v_ashrrev_i32_e32 v3, 31, v2
	v_lshlrev_b64 v[2:3], 3, v[2:3]
	v_mov_b32_e32 v1, s81
	v_add_co_u32_e32 v2, vcc, s80, v2
	v_addc_co_u32_e32 v3, vcc, v1, v3, vcc
	global_load_dwordx2 v[2:3], v[2:3], off
	s_waitcnt vmcnt(0)
	v_cvt_f16_f32_e32 v1, v2
	v_cvt_f16_f32_e32 v2, v3
	v_pack_b32_f16 v1, v1, v2
	v_pk_mul_f16 v1, v37, v1
	ds_write_b32 v177, v1 offset:1920
.LBB19_166:                             ;   in Loop: Header=BB19_14 Depth=1
	s_or_b64 exec, exec, s[40:41]
	v_add_u32_e32 v1, s68, v179
	v_readlane_b32 s40, v254, 43
	v_readlane_b32 s41, v254, 44
	v_cmp_le_i32_e32 vcc, s40, v1
	v_readlane_b32 s42, v254, 45
	v_readlane_b32 s43, v254, 46
	s_and_saveexec_b64 s[40:41], vcc
	s_xor_b64 s[40:41], exec, s[40:41]
	s_cbranch_execz .LBB19_168
; %bb.167:                              ;   in Loop: Header=BB19_14 Depth=1
	ds_write_b32 v177, v102 offset:3840
                                        ; implicit-def: $vgpr1
.LBB19_168:                             ;   in Loop: Header=BB19_14 Depth=1
	s_andn2_saveexec_b64 s[40:41], s[40:41]
	s_cbranch_execz .LBB19_170
; %bb.169:                              ;   in Loop: Header=BB19_14 Depth=1
	v_readlane_b32 s42, v254, 19
	v_mad_u64_u32 v[2:3], s[42:43], v1, s42, v[24:25]
	v_ashrrev_i32_e32 v3, 31, v2
	v_lshlrev_b64 v[2:3], 3, v[2:3]
	v_mov_b32_e32 v1, s81
	v_add_co_u32_e32 v2, vcc, s80, v2
	v_addc_co_u32_e32 v3, vcc, v1, v3, vcc
	global_load_dwordx2 v[2:3], v[2:3], off
	s_waitcnt vmcnt(0)
	v_cvt_f16_f32_e32 v1, v2
	v_cvt_f16_f32_e32 v2, v3
	v_pack_b32_f16 v1, v1, v2
	v_pk_mul_f16 v1, v37, v1
	ds_write_b32 v177, v1 offset:3840
.LBB19_170:                             ;   in Loop: Header=BB19_14 Depth=1
	;; [unrolled: 32-line block ×3, first 2 shown]
	s_or_b64 exec, exec, s[40:41]
	v_add_u32_e32 v1, s68, v104
	v_readlane_b32 s40, v254, 43
	v_readlane_b32 s41, v254, 44
	v_cmp_le_i32_e32 vcc, s40, v1
	v_readlane_b32 s42, v254, 45
	v_readlane_b32 s43, v254, 46
	s_and_saveexec_b64 s[40:41], vcc
	s_xor_b64 s[40:41], exec, s[40:41]
	s_cbranch_execz .LBB19_176
; %bb.175:                              ;   in Loop: Header=BB19_14 Depth=1
	ds_write_b32 v181, v102 offset:128
                                        ; implicit-def: $vgpr1
.LBB19_176:                             ;   in Loop: Header=BB19_14 Depth=1
	s_andn2_saveexec_b64 s[40:41], s[40:41]
	s_cbranch_execz .LBB19_178
; %bb.177:                              ;   in Loop: Header=BB19_14 Depth=1
	v_readlane_b32 s42, v254, 19
	v_mul_lo_u32 v1, v1, s42
	v_ashrrev_i32_e32 v3, 31, v1
	v_add_co_u32_e32 v2, vcc, v1, v26
	v_addc_co_u32_e32 v3, vcc, 0, v3, vcc
	v_lshlrev_b64 v[2:3], 3, v[2:3]
	v_mov_b32_e32 v1, s81
	v_add_co_u32_e32 v2, vcc, s80, v2
	v_addc_co_u32_e32 v3, vcc, v1, v3, vcc
	global_load_dwordx2 v[2:3], v[2:3], off offset:256
	s_waitcnt vmcnt(0)
	v_cvt_f16_f32_e32 v1, v2
	v_cvt_f16_f32_e32 v2, v3
	v_pack_b32_f16 v1, v1, v2
	v_pk_mul_f16 v1, v37, v1
	ds_write_b32 v181, v1 offset:128
.LBB19_178:                             ;   in Loop: Header=BB19_14 Depth=1
	s_or_b64 exec, exec, s[40:41]
	v_add_u32_e32 v1, s68, v182
	v_readlane_b32 s40, v254, 43
	v_readlane_b32 s41, v254, 44
	v_cmp_le_i32_e32 vcc, s40, v1
	v_readlane_b32 s42, v254, 45
	v_readlane_b32 s43, v254, 46
	s_and_saveexec_b64 s[40:41], vcc
	s_xor_b64 s[40:41], exec, s[40:41]
	s_cbranch_execz .LBB19_180
; %bb.179:                              ;   in Loop: Header=BB19_14 Depth=1
	ds_write_b32 v181, v102 offset:3968
                                        ; implicit-def: $vgpr1
.LBB19_180:                             ;   in Loop: Header=BB19_14 Depth=1
	s_andn2_saveexec_b64 s[40:41], s[40:41]
	s_cbranch_execz .LBB19_182
; %bb.181:                              ;   in Loop: Header=BB19_14 Depth=1
	v_readlane_b32 s42, v254, 19
	v_mul_lo_u32 v1, v1, s42
	v_ashrrev_i32_e32 v3, 31, v1
	v_add_co_u32_e32 v2, vcc, v1, v26
	v_addc_co_u32_e32 v3, vcc, 0, v3, vcc
	v_lshlrev_b64 v[2:3], 3, v[2:3]
	v_mov_b32_e32 v1, s81
	v_add_co_u32_e32 v2, vcc, s80, v2
	v_addc_co_u32_e32 v3, vcc, v1, v3, vcc
	global_load_dwordx2 v[2:3], v[2:3], off offset:256
	s_waitcnt vmcnt(0)
	v_cvt_f16_f32_e32 v1, v2
	v_cvt_f16_f32_e32 v2, v3
	v_pack_b32_f16 v1, v1, v2
	v_pk_mul_f16 v1, v37, v1
	ds_write_b32 v181, v1 offset:3968
.LBB19_182:                             ;   in Loop: Header=BB19_14 Depth=1
	s_or_b64 exec, exec, s[40:41]
	v_add_u32_e32 v1, s68, v105
	v_readlane_b32 s40, v254, 43
	v_readlane_b32 s41, v254, 44
	v_cmp_gt_i32_e32 vcc, s40, v1
	v_mov_b32_e32 v252, 0
	v_mov_b32_e32 v2, 0
	v_readlane_b32 s42, v254, 45
	v_readlane_b32 s43, v254, 46
	s_and_saveexec_b64 s[40:41], vcc
	s_cbranch_execz .LBB19_184
; %bb.183:                              ;   in Loop: Header=BB19_14 Depth=1
	v_readlane_b32 s42, v254, 19
	v_mul_lo_u32 v1, v1, s42
	v_ashrrev_i32_e32 v3, 31, v1
	v_add_co_u32_e32 v2, vcc, v1, v28
	v_addc_co_u32_e32 v3, vcc, 0, v3, vcc
	v_lshlrev_b64 v[2:3], 3, v[2:3]
	v_mov_b32_e32 v1, s81
	v_add_co_u32_e32 v2, vcc, s80, v2
	v_addc_co_u32_e32 v3, vcc, v1, v3, vcc
	global_load_dwordx2 v[2:3], v[2:3], off offset:384
	s_waitcnt vmcnt(0)
	v_cvt_f16_f32_e32 v1, v2
	v_cvt_f16_f32_e32 v2, v3
	v_pack_b32_f16 v1, v1, v2
	v_pk_mul_f16 v2, v37, v1
.LBB19_184:                             ;   in Loop: Header=BB19_14 Depth=1
	s_or_b64 exec, exec, s[40:41]
	ds_write_b32 v106, v2 offset:192
	s_waitcnt lgkmcnt(0)
	s_barrier
	ds_read2_b64 v[10:13], v108 offset1:4
	ds_read2_b64 v[6:9], v108 offset0:8 offset1:12
	ds_read2_b64 v[2:5], v108 offset0:16 offset1:20
	ds_read_b64 v[60:61], v108 offset:192
	v_readlane_b32 s48, v254, 43
	s_mov_b32 s46, 0
	s_cmp_lt_i32 s67, 2
	v_mov_b32_e32 v57, 0xfeffffff
	v_cmp_ne_u64_e64 s[40:41], 0, v[58:59]
	v_mov_b32_e32 v250, 0
	v_mov_b32_e32 v69, 0
	v_mov_b32_e32 v71, 0
	v_mov_b32_e32 v73, 0
	v_mov_b32_e32 v75, 0
	v_mov_b32_e32 v77, 0
	v_mov_b32_e32 v79, 0
	v_mov_b32_e32 v244, 0
	v_mov_b32_e32 v245, 0
	v_mov_b32_e32 v246, 0
	v_mov_b32_e32 v247, 0
	v_mov_b32_e32 v249, 0
	v_mov_b32_e32 v248, 0
	v_mov_b32_e32 v20, 0
	s_mov_b32 s76, s48
	s_waitcnt lgkmcnt(0)
	s_barrier
	v_readlane_b32 s49, v254, 44
	v_readlane_b32 s50, v254, 45
	v_readlane_b32 s51, v254, 46
	s_cbranch_scc1 .LBB19_199
; %bb.185:                              ;   in Loop: Header=BB19_14 Depth=1
	v_add_u32_e32 v1, s68, v98
	v_readlane_b32 s42, v254, 10
	v_mul_hi_u32 v14, s42, v1
	v_readlane_b32 s43, v254, 11
	v_add_u32_e32 v14, v1, v14
	v_lshrrev_b32_e32 v14, s43, v14
	v_mul_lo_u32 v14, v14, s76
	v_sub_u32_e32 v14, v1, v14
	v_add_u32_e32 v1, s68, v110
	v_mul_hi_u32 v15, s42, v1
	v_add_u32_e32 v15, v1, v15
	v_lshrrev_b32_e32 v15, s43, v15
	v_mul_lo_u32 v15, v15, s76
	v_sub_u32_e32 v15, v1, v15
	v_add_u32_e32 v1, s68, v112
	v_mul_hi_u32 v16, s42, v1
	;; [unrolled: 6-line block ×7, first 2 shown]
	v_add_u32_e32 v21, v1, v21
	v_lshrrev_b32_e32 v21, s43, v21
	v_mul_lo_u32 v21, v21, s76
	v_sub_u32_e32 v21, v1, v21
	v_and_b32_e32 v1, 64, v243
	v_add_u32_e32 v1, 64, v1
	v_xor_b32_e32 v23, 32, v243
	v_cmp_lt_i32_e32 vcc, v23, v1
	v_cndmask_b32_e32 v23, v243, v23, vcc
	v_lshlrev_b32_e32 v65, 2, v23
	v_xor_b32_e32 v23, 16, v243
	v_cmp_lt_i32_e32 vcc, v23, v1
	v_cndmask_b32_e32 v1, v243, v23, vcc
	v_mov_b32_e32 v27, s79
	v_add_co_u32_e32 v64, vcc, s74, v223
	v_lshlrev_b32_e32 v67, 2, v1
	v_addc_co_u32_e32 v1, vcc, v224, v27, vcc
	v_add_co_u32_e32 v66, vcc, s74, v225
	v_addc_co_u32_e32 v23, vcc, v226, v27, vcc
	v_add_co_u32_e32 v68, vcc, s74, v227
	;; [unrolled: 2-line block ×3, first 2 shown]
	v_addc_co_u32_e32 v27, vcc, v230, v27, vcc
	v_mov_b32_e32 v35, s73
	v_add_co_u32_e32 v72, vcc, s69, v231
	v_addc_co_u32_e32 v29, vcc, v232, v35, vcc
	v_add_co_u32_e32 v74, vcc, s69, v233
	v_addc_co_u32_e32 v31, vcc, v234, v35, vcc
	;; [unrolled: 2-line block ×3, first 2 shown]
	v_readlane_b32 s42, v255, 19
	s_add_i32 s46, s67, -1
	v_add_co_u32_e32 v78, vcc, s69, v237
	v_readlane_b32 s43, v255, 20
	s_mov_b32 s44, s42
	v_mov_b32_e32 v248, 0
	v_mov_b32_e32 v62, v56
	v_mov_b32_e32 v63, v56
	v_addc_co_u32_e32 v35, vcc, v238, v35, vcc
	v_mad_i64_i32 v[80:81], s[42:43], s44, v17, v[58:59]
	v_mad_i64_i32 v[82:83], s[42:43], s44, v16, v[58:59]
	;; [unrolled: 1-line block ×8, first 2 shown]
	v_mov_b32_e32 v251, 0
	v_mov_b32_e32 v253, 0xfeffffff
	s_mov_b32 s47, s46
	v_mov_b32_e32 v249, 0
	v_mov_b32_e32 v247, 0
	v_mov_b32_e32 v246, 0
	v_mov_b32_e32 v245, 0
	v_mov_b32_e32 v244, 0
	v_mov_b32_e32 v79, 0
	v_mov_b32_e32 v77, 0
	v_mov_b32_e32 v75, 0
	v_mov_b32_e32 v73, 0
	v_mov_b32_e32 v71, 0
	v_mov_b32_e32 v69, 0
	v_mov_b32_e32 v250, 0
	v_mov_b32_e32 v252, 0
	v_cndmask_b32_e64 v14, 0, 1, s[40:41]
	v_cmp_ne_u32_e64 s[42:43], 1, v14
	s_andn2_b64 vcc, exec, s[40:41]
	s_cbranch_vccnz .LBB19_191
.LBB19_186:                             ;   in Loop: Header=BB19_14 Depth=1
                                        ; implicit-def: $sgpr48
	s_and_saveexec_b64 s[44:45], s[4:5]
	s_xor_b64 s[44:45], exec, s[44:45]
	s_cbranch_execz .LBB19_188
; %bb.187:                              ;   in Loop: Header=BB19_14 Depth=1
	ds_write_b16 v109, v102 offset:15360
	ds_write_b16 v111, v102 offset:15360
	;; [unrolled: 1-line block ×4, first 2 shown]
	s_mov_b32 s48, 0
.LBB19_188:                             ;   in Loop: Header=BB19_14 Depth=1
	s_or_saveexec_b64 s[44:45], s[44:45]
	v_mov_b32_e32 v14, s48
	v_mov_b32_e32 v15, s48
	;; [unrolled: 1-line block ×4, first 2 shown]
	s_xor_b64 exec, exec, s[44:45]
	s_cbranch_execz .LBB19_190
; %bb.189:                              ;   in Loop: Header=BB19_14 Depth=1
	v_add_co_u32_e32 v14, vcc, v86, v30
	v_addc_co_u32_e32 v15, vcc, 0, v87, vcc
	flat_load_ushort v16, v[14:15]
	v_add_co_u32_e32 v14, vcc, v84, v30
	v_addc_co_u32_e32 v15, vcc, 0, v85, vcc
	flat_load_ushort v17, v[14:15]
	;; [unrolled: 3-line block ×4, first 2 shown]
	s_waitcnt vmcnt(0) lgkmcnt(0)
	ds_write_b16 v109, v16 offset:15360
	ds_write_b16 v111, v17 offset:15360
	;; [unrolled: 1-line block ×4, first 2 shown]
	v_add_co_u32_e32 v14, vcc, v94, v30
	v_addc_co_u32_e32 v15, vcc, 0, v95, vcc
	v_add_co_u32_e32 v16, vcc, v92, v30
	v_addc_co_u32_e32 v17, vcc, 0, v93, vcc
	flat_load_ushort v14, v[14:15]
	s_nop 0
	flat_load_ushort v15, v[16:17]
	v_add_co_u32_e32 v16, vcc, v90, v30
	v_addc_co_u32_e32 v17, vcc, 0, v91, vcc
	v_add_co_u32_e32 v18, vcc, v88, v30
	v_addc_co_u32_e32 v19, vcc, 0, v89, vcc
	flat_load_ushort v16, v[16:17]
	s_nop 0
	flat_load_ushort v17, v[18:19]
.LBB19_190:                             ;   in Loop: Header=BB19_14 Depth=1
	s_or_b64 exec, exec, s[44:45]
	s_waitcnt vmcnt(0) lgkmcnt(0)
	ds_write_b16 v117, v14 offset:15360
	ds_write_b16 v119, v15 offset:15360
	;; [unrolled: 1-line block ×4, first 2 shown]
.LBB19_191:                             ;   Parent Loop BB19_14 Depth=1
                                        ; =>  This Inner Loop Header: Depth=2
	buffer_store_dword v102, off, s[0:3], 0
	buffer_store_dword v102, off, s[0:3], 0 offset:4
	buffer_store_dword v102, off, s[0:3], 0 offset:8
	;; [unrolled: 1-line block ×3, first 2 shown]
	s_and_saveexec_b64 s[44:45], s[6:7]
	s_cbranch_execz .LBB19_193
; %bb.192:                              ;   in Loop: Header=BB19_191 Depth=2
	v_mov_b32_e32 v15, s66
	v_add_co_u32_e32 v14, vcc, s65, v72
	v_addc_co_u32_e32 v15, vcc, v29, v15, vcc
	global_load_dwordx4 v[14:17], v[14:15], off
	s_waitcnt vmcnt(0)
	ds_write_b128 v125, v[14:17]
.LBB19_193:                             ;   in Loop: Header=BB19_191 Depth=2
	s_or_b64 exec, exec, s[44:45]
	v_add_co_u32_e32 v14, vcc, s65, v74
	v_mov_b32_e32 v18, s66
	v_addc_co_u32_e32 v15, vcc, v31, v18, vcc
	v_mov_b32_e32 v19, s35
	v_mov_b32_e32 v20, s34
	v_cndmask_b32_e64 v15, v19, v15, s[62:63]
	v_cndmask_b32_e64 v14, v20, v14, s[62:63]
	flat_load_dwordx4 v[14:17], v[14:15]
	v_add_u32_e32 v57, v107, v128
	v_add_u32_e32 v204, 0x1800, v57
	s_waitcnt vmcnt(0) lgkmcnt(0)
	ds_write_b128 v163, v[14:17]
	v_add_co_u32_e32 v14, vcc, s65, v76
	v_addc_co_u32_e32 v15, vcc, v33, v18, vcc
	v_cndmask_b32_e64 v15, v19, v15, s[10:11]
	v_cndmask_b32_e64 v14, v20, v14, s[10:11]
	flat_load_dwordx4 v[14:17], v[14:15]
	s_waitcnt vmcnt(0) lgkmcnt(0)
	ds_write_b128 v164, v[14:17]
	v_add_co_u32_e32 v14, vcc, s65, v78
	v_addc_co_u32_e32 v15, vcc, v35, v18, vcc
	v_cndmask_b32_e64 v15, v19, v15, s[12:13]
	v_cndmask_b32_e64 v14, v20, v14, s[12:13]
	flat_load_dwordx4 v[14:17], v[14:15]
	s_and_b64 vcc, exec, s[42:43]
	s_waitcnt vmcnt(0) lgkmcnt(0)
	ds_write_b128 v165, v[14:17]
	s_waitcnt lgkmcnt(0)
	s_barrier
	ds_read2_b64 v[14:17], v57 offset1:4
	s_waitcnt lgkmcnt(0)
	v_mfma_f32_16x16x16f16 v[18:21], v[14:15], v[10:11], 0
	v_mfma_f32_16x16x16f16 v[14:17], v[16:17], v[12:13], v[18:21]
	s_nop 7
	s_nop 1
	ds_read2_b64 v[18:21], v57 offset0:8 offset1:12
	s_waitcnt lgkmcnt(0)
	v_mfma_f32_16x16x16f16 v[14:17], v[18:19], v[6:7], v[14:17]
	v_mfma_f32_16x16x16f16 v[14:17], v[20:21], v[8:9], v[14:17]
	ds_read2_b64 v[18:21], v57 offset0:16 offset1:20
	s_waitcnt lgkmcnt(0)
	v_mfma_f32_16x16x16f16 v[14:17], v[18:19], v[2:3], v[14:17]
	ds_read_b64 v[18:19], v57 offset:192
	v_mfma_f32_16x16x16f16 v[14:17], v[20:21], v[4:5], v[14:17]
	s_waitcnt lgkmcnt(0)
	v_mfma_f32_16x16x16f16 v[14:17], v[18:19], v[60:61], v[14:17]
	ds_read2_b64 v[18:21], v204 offset0:192 offset1:196
	s_waitcnt lgkmcnt(0)
	v_mfma_f32_16x16x16f16 v[192:195], v[18:19], v[10:11], 0
	v_mfma_f32_16x16x16f16 v[18:21], v[20:21], v[12:13], v[192:195]
	s_nop 7
	s_nop 1
	ds_read2_b64 v[192:195], v204 offset0:200 offset1:204
	s_waitcnt lgkmcnt(0)
	v_mfma_f32_16x16x16f16 v[18:21], v[192:193], v[6:7], v[18:21]
	v_mfma_f32_16x16x16f16 v[18:21], v[194:195], v[8:9], v[18:21]
	ds_read2_b64 v[192:195], v204 offset0:208 offset1:212
	s_waitcnt lgkmcnt(0)
	v_mfma_f32_16x16x16f16 v[18:21], v[192:193], v[2:3], v[18:21]
	ds_read_b64 v[192:193], v57 offset:7872
	s_waitcnt lgkmcnt(0)
	s_barrier
	v_mfma_f32_16x16x16f16 v[18:21], v[194:195], v[4:5], v[18:21]
	v_mfma_f32_16x16x16f16 v[18:21], v[192:193], v[60:61], v[18:21]
	s_cbranch_vccnz .LBB19_195
; %bb.194:                              ;   in Loop: Header=BB19_191 Depth=2
	v_add_u32_e32 v57, 0x3c00, v130
	ds_read2_b32 v[192:193], v57 offset1:1
	v_mov_b32_e32 v57, v56
	s_waitcnt lgkmcnt(0)
	v_cvt_f32_f16_e32 v194, v192
	v_cvt_f32_f16_sdwa v195, v192 dst_sel:DWORD dst_unused:UNUSED_PAD src0_sel:WORD_1
	v_cvt_f32_f16_e32 v192, v193
	v_cvt_f32_f16_sdwa v193, v193 dst_sel:DWORD dst_unused:UNUSED_PAD src0_sel:WORD_1
	v_pk_fma_f32 v[14:15], v[62:63], v[194:195], v[14:15]
	ds_read_b32 v194, v134 offset:15360
	v_pk_fma_f32 v[16:17], v[56:57], v[192:193], v[16:17]
	ds_read_b32 v192, v132 offset:15360
	s_waitcnt lgkmcnt(1)
	v_cvt_f32_f16_sdwa v195, v194 dst_sel:DWORD dst_unused:UNUSED_PAD src0_sel:WORD_1
	v_cvt_f32_f16_e32 v194, v194
	s_waitcnt lgkmcnt(0)
	v_cvt_f32_f16_sdwa v193, v192 dst_sel:DWORD dst_unused:UNUSED_PAD src0_sel:WORD_1
	v_cvt_f32_f16_e32 v192, v192
	v_pk_fma_f32 v[20:21], v[56:57], v[194:195], v[20:21]
	v_pk_fma_f32 v[18:19], v[62:63], v[192:193], v[18:19]
.LBB19_195:                             ;   in Loop: Header=BB19_191 Depth=2
	v_add_f32_e32 v57, 0x40051340, v14
	v_max_f32_e32 v192, v253, v253
	v_max_f32_e32 v57, v192, v57
	v_cndmask_b32_e64 v57, v253, v57, s[14:15]
	v_add_f32_e32 v192, 0x40051340, v15
	v_max_f32_e32 v193, v57, v57
	v_max_f32_e32 v192, v193, v192
	v_cndmask_b32_e64 v57, v57, v192, s[16:17]
	;; [unrolled: 4-line block ×8, first 2 shown]
	ds_bpermute_b32 v192, v65, v57
	v_max_f32_e32 v57, v57, v57
	buffer_store_dword v102, off, s[0:3], 0
	buffer_store_dword v102, off, s[0:3], 0 offset:4
	buffer_store_dword v102, off, s[0:3], 0 offset:8
	;; [unrolled: 1-line block ×3, first 2 shown]
	s_waitcnt lgkmcnt(0)
	v_max_f32_e32 v192, v192, v192
	v_max_f32_e32 v57, v57, v192
	ds_bpermute_b32 v204, v67, v57
	s_and_saveexec_b64 s[42:43], s[6:7]
	s_cbranch_execz .LBB19_197
; %bb.196:                              ;   in Loop: Header=BB19_191 Depth=2
	v_mov_b32_e32 v193, s64
	v_add_co_u32_e32 v192, vcc, s88, v64
	v_addc_co_u32_e32 v193, vcc, v1, v193, vcc
	global_load_dwordx4 v[192:195], v[192:193], off
	s_waitcnt vmcnt(0)
	ds_write_b128 v125, v[192:195]
.LBB19_197:                             ;   in Loop: Header=BB19_191 Depth=2
	s_or_b64 exec, exec, s[42:43]
	s_waitcnt lgkmcnt(0)
	v_max_f32_e32 v192, v204, v204
	v_max_f32_e32 v57, v57, v57
	;; [unrolled: 1-line block ×3, first 2 shown]
	v_sub_f32_e32 v14, v14, v57
	v_mul_f32_e32 v192, 0x3fb8aa3b, v14
	v_fma_f32 v193, v14, s85, -v192
	v_rndne_f32_e32 v194, v192
	v_fmac_f32_e32 v193, 0x32a5705f, v14
	v_sub_f32_e32 v192, v192, v194
	v_add_f32_e32 v192, v192, v193
	v_exp_f32_e32 v192, v192
	v_cvt_i32_f32_e32 v193, v194
	v_cmp_ngt_f32_e32 vcc, s30, v14
	v_cndmask_b32_e64 v16, v16, v16, s[16:17]
	v_cndmask_b32_e64 v17, v17, v17, s[16:17]
	v_ldexp_f32 v192, v192, v193
	v_cndmask_b32_e32 v192, 0, v192, vcc
	v_cmp_nlt_f32_e32 vcc, s99, v14
	v_cndmask_b32_e32 v14, v241, v192, vcc
	v_cndmask_b32_e64 v192, 0, v14, s[14:15]
	v_sub_f32_e32 v14, v15, v57
	v_mul_f32_e32 v15, 0x3fb8aa3b, v14
	v_fma_f32 v193, v14, s85, -v15
	v_rndne_f32_e32 v194, v15
	v_fmac_f32_e32 v193, 0x32a5705f, v14
	v_sub_f32_e32 v15, v15, v194
	v_add_f32_e32 v15, v15, v193
	v_exp_f32_e32 v15, v15
	v_cvt_i32_f32_e32 v193, v194
	v_cmp_ngt_f32_e32 vcc, s30, v14
	v_cndmask_b32_e64 v19, v19, v19, s[22:23]
	v_cndmask_b32_e64 v20, v20, v20, s[22:23]
	v_ldexp_f32 v15, v15, v193
	v_cndmask_b32_e32 v15, 0, v15, vcc
	v_cmp_nlt_f32_e32 vcc, s99, v14
	v_cndmask_b32_e32 v14, v241, v15, vcc
	v_mov_b32_e32 v15, s89
	v_add_f32_e32 v193, v14, v192
	v_cndmask_b32_e64 v194, v15, v14, s[16:17]
	v_sub_f32_e32 v14, v16, v57
	v_mul_f32_e32 v16, 0x3fb8aa3b, v14
	v_cndmask_b32_e64 v15, v192, v193, s[16:17]
	v_fma_f32 v193, v14, s85, -v16
	v_rndne_f32_e32 v195, v16
	v_fmac_f32_e32 v193, 0x32a5705f, v14
	v_sub_f32_e32 v16, v16, v195
	v_add_f32_e32 v16, v16, v193
	v_exp_f32_e32 v16, v16
	v_cvt_i32_f32_e32 v193, v195
	v_cmp_ngt_f32_e32 vcc, s30, v14
	v_cndmask_b32_e64 v21, v21, v21, s[22:23]
	s_add_i32 s47, s47, -1
	v_ldexp_f32 v16, v16, v193
	v_cndmask_b32_e32 v16, 0, v16, vcc
	v_cmp_nlt_f32_e32 vcc, s99, v14
	v_cndmask_b32_e32 v16, v241, v16, vcc
	v_add_f32_e32 v193, v15, v16
	v_mov_b32_e32 v14, s89
	v_cndmask_b32_e64 v195, v14, v16, s[18:19]
	v_cndmask_b32_e64 v14, v15, v193, s[18:19]
	v_sub_f32_e32 v15, v17, v57
	v_mul_f32_e32 v16, 0x3fb8aa3b, v15
	v_fma_f32 v17, v15, s85, -v16
	v_rndne_f32_e32 v193, v16
	v_fmac_f32_e32 v17, 0x32a5705f, v15
	v_sub_f32_e32 v16, v16, v193
	v_add_f32_e32 v16, v16, v17
	v_exp_f32_e32 v16, v16
	v_cvt_i32_f32_e32 v17, v193
	v_cmp_ngt_f32_e32 vcc, s30, v15
	s_cmp_lg_u32 s47, 0
	v_ldexp_f32 v16, v16, v17
	v_cndmask_b32_e32 v16, 0, v16, vcc
	v_cmp_nlt_f32_e32 vcc, s99, v15
	v_cndmask_b32_e32 v16, v241, v16, vcc
	v_add_f32_e32 v15, v14, v16
	v_cndmask_b32_e64 v15, v14, v15, s[20:21]
	v_sub_f32_e32 v14, v18, v57
	v_mul_f32_e32 v17, 0x3fb8aa3b, v14
	v_fma_f32 v18, v14, s85, -v17
	v_rndne_f32_e32 v193, v17
	v_fmac_f32_e32 v18, 0x32a5705f, v14
	v_sub_f32_e32 v17, v17, v193
	v_add_f32_e32 v17, v17, v18
	v_exp_f32_e32 v17, v17
	v_cvt_i32_f32_e32 v18, v193
	v_cmp_ngt_f32_e32 vcc, s30, v14
	v_ldexp_f32 v17, v17, v18
	v_cndmask_b32_e32 v17, 0, v17, vcc
	v_cmp_nlt_f32_e32 vcc, s99, v14
	v_cndmask_b32_e32 v17, v241, v17, vcc
	v_add_f32_e32 v18, v17, v15
	v_mov_b32_e32 v14, s89
	v_cndmask_b32_e64 v17, v14, v17, s[22:23]
	v_cndmask_b32_e64 v14, v15, v18, s[22:23]
	v_sub_f32_e32 v15, v19, v57
	v_mul_f32_e32 v18, 0x3fb8aa3b, v15
	v_fma_f32 v19, v15, s85, -v18
	v_rndne_f32_e32 v193, v18
	v_fmac_f32_e32 v19, 0x32a5705f, v15
	v_sub_f32_e32 v18, v18, v193
	v_add_f32_e32 v18, v18, v19
	v_exp_f32_e32 v18, v18
	v_cvt_i32_f32_e32 v19, v193
	v_cmp_ngt_f32_e32 vcc, s30, v15
	v_ldexp_f32 v18, v18, v19
	v_cndmask_b32_e32 v18, 0, v18, vcc
	v_cmp_nlt_f32_e32 vcc, s99, v15
	v_cndmask_b32_e32 v18, v241, v18, vcc
	v_add_f32_e32 v19, v18, v14
	v_mov_b32_e32 v15, s89
	v_cndmask_b32_e64 v18, v15, v18, s[24:25]
	;; [unrolled: 18-line block ×3, first 2 shown]
	v_cndmask_b32_e64 v14, v15, v20, s[26:27]
	v_sub_f32_e32 v15, v21, v57
	v_mul_f32_e32 v20, 0x3fb8aa3b, v15
	v_fma_f32 v21, v15, s85, -v20
	v_rndne_f32_e32 v193, v20
	v_fmac_f32_e32 v21, 0x32a5705f, v15
	v_sub_f32_e32 v20, v20, v193
	v_add_f32_e32 v20, v20, v21
	v_exp_f32_e32 v20, v20
	v_cvt_i32_f32_e32 v21, v193
	v_cmp_ngt_f32_e32 vcc, s30, v15
	v_ldexp_f32 v20, v20, v21
	v_cndmask_b32_e32 v20, 0, v20, vcc
	v_cmp_nlt_f32_e32 vcc, s99, v15
	v_cndmask_b32_e32 v193, v241, v20, vcc
	v_add_f32_e32 v15, v193, v14
	v_cndmask_b32_e64 v20, v14, v15, s[28:29]
	v_sub_f32_e32 v14, v253, v57
	v_mul_f32_e32 v15, 0x3fb8aa3b, v14
	v_fma_f32 v21, v14, s85, -v15
	v_rndne_f32_e32 v204, v15
	v_fmac_f32_e32 v21, 0x32a5705f, v14
	v_sub_f32_e32 v15, v15, v204
	v_add_f32_e32 v15, v15, v21
	v_exp_f32_e32 v15, v15
	v_cvt_i32_f32_e32 v21, v204
	v_cmp_ngt_f32_e32 vcc, s30, v14
	v_ldexp_f32 v15, v15, v21
	v_cndmask_b32_e32 v15, 0, v15, vcc
	v_cmp_nlt_f32_e32 vcc, s99, v14
	v_cndmask_b32_e32 v15, v241, v15, vcc
	v_cmp_le_f32_e32 vcc, s87, v14
	v_cndmask_b32_e32 v14, 0, v15, vcc
	v_fmac_f32_e32 v20, v251, v14
	v_cvt_f16_f32_e32 v14, v14
	v_mov_b32_e32 v15, s89
	v_cndmask_b32_e64 v193, v15, v193, s[28:29]
	v_cndmask_b32_e64 v204, v15, v16, s[20:21]
	v_pk_mul_f16 v71, v14, v71 op_sel_hi:[0,1]
	v_pk_mul_f16 v69, v14, v69 op_sel_hi:[0,1]
	;; [unrolled: 1-line block ×14, first 2 shown]
	v_cvt_f16_f32_e32 v14, v17
	v_cvt_f16_f32_e32 v15, v18
	;; [unrolled: 1-line block ×5, first 2 shown]
	v_pack_b32_f16 v14, v14, v15
	v_cvt_f16_f32_e32 v15, v19
	v_mov_b32_e32 v204, s64
	v_mov_b32_e32 v249, s35
	;; [unrolled: 1-line block ×3, first 2 shown]
	v_pack_b32_f16 v15, v15, v16
	v_cvt_f16_f32_e32 v16, v192
	v_pack_b32_f16 v16, v16, v17
	v_cvt_f16_f32_e32 v17, v195
	v_pack_b32_f16 v17, v17, v18
	v_add_co_u32_e32 v18, vcc, s88, v66
	v_addc_co_u32_e32 v19, vcc, v23, v204, vcc
	v_cndmask_b32_e64 v19, v249, v19, s[62:63]
	v_cndmask_b32_e64 v18, v252, v18, s[62:63]
	flat_load_dwordx4 v[192:195], v[18:19]
	v_add_co_u32_e32 v18, vcc, s88, v68
	v_addc_co_u32_e32 v19, vcc, v25, v204, vcc
	v_cndmask_b32_e64 v19, v249, v19, s[10:11]
	v_cndmask_b32_e64 v18, v252, v18, s[10:11]
	s_waitcnt vmcnt(0) lgkmcnt(0)
	ds_write_b128 v163, v[192:195]
	flat_load_dwordx4 v[192:195], v[18:19]
	v_add_co_u32_e32 v18, vcc, s88, v70
	v_addc_co_u32_e32 v19, vcc, v27, v204, vcc
	v_cndmask_b32_e64 v19, v249, v19, s[12:13]
	v_cndmask_b32_e64 v18, v252, v18, s[12:13]
	v_add_co_u32_e32 v64, vcc, s38, v64
	s_waitcnt vmcnt(0) lgkmcnt(0)
	ds_write_b128 v164, v[192:195]
	flat_load_dwordx4 v[192:195], v[18:19]
	s_waitcnt vmcnt(0) lgkmcnt(0)
	ds_write_b128 v165, v[192:195]
	s_waitcnt lgkmcnt(0)
	s_barrier
	ds_read_u16 v18, v136 offset:240
	ds_read_u16 v19, v136 offset:480
	v_cvt_f32_f16_e32 v194, v69
	v_cvt_f32_f16_sdwa v195, v69 dst_sel:DWORD dst_unused:UNUSED_PAD src0_sel:WORD_1
	ds_read_u16 v69, v137
	ds_read_u16 v204, v137 offset:32
	v_cvt_f32_f16_e32 v192, v71
	v_cvt_f32_f16_sdwa v193, v71 dst_sel:DWORD dst_unused:UNUSED_PAD src0_sel:WORD_1
	s_waitcnt lgkmcnt(1)
	v_perm_b32 v19, v69, v19, s91
	ds_read_u16 v69, v135
	ds_read_u16 v249, v135 offset:32
	ds_read_u16 v252, v135 offset:7680
	ds_read_u16 v253, v138 offset:240
	ds_read_u16 v199, v138 offset:480
	ds_read_u16 v198, v137 offset:7680
	s_waitcnt lgkmcnt(5)
	v_perm_b32 v18, v18, v69, s91
	s_nop 1
	v_mfma_f32_16x16x16f16 v[192:195], v[18:19], v[16:17], v[192:195]
	s_nop 7
	s_nop 2
	v_cvt_f16_f32_e32 v18, v192
	v_cvt_f16_f32_e32 v19, v193
	;; [unrolled: 1-line block ×4, first 2 shown]
	v_cvt_f32_f16_e32 v192, v18
	v_cvt_f32_f16_e32 v193, v19
	s_waitcnt lgkmcnt(0)
	v_perm_b32 v19, v198, v199, s91
	v_perm_b32 v18, v253, v252, s91
	v_cvt_f32_f16_e32 v194, v69
	v_cvt_f32_f16_e32 v195, v71
	s_nop 1
	v_mfma_f32_16x16x16f16 v[192:195], v[18:19], v[14:15], v[192:195]
	s_nop 7
	s_nop 2
	v_cvt_f16_f32_e32 v18, v192
	v_cvt_f16_f32_e32 v19, v193
	;; [unrolled: 1-line block ×4, first 2 shown]
	v_cvt_f32_f16_sdwa v193, v75 dst_sel:DWORD dst_unused:UNUSED_PAD src0_sel:WORD_1
	v_pack_b32_f16 v71, v18, v19
	ds_read_u16 v18, v139 offset:240
	ds_read_u16 v19, v139 offset:480
	v_pack_b32_f16 v69, v69, v192
	v_cvt_f32_f16_e32 v192, v75
	v_cvt_f32_f16_e32 v194, v73
	s_waitcnt lgkmcnt(1)
	v_perm_b32 v18, v18, v249, s91
	s_waitcnt lgkmcnt(0)
	v_perm_b32 v19, v204, v19, s91
	v_cvt_f32_f16_sdwa v195, v73 dst_sel:DWORD dst_unused:UNUSED_PAD src0_sel:WORD_1
	ds_read_u16 v198, v140 offset:7680
	ds_read_u16 v199, v141 offset:240
	;; [unrolled: 1-line block ×4, first 2 shown]
	v_mfma_f32_16x16x16f16 v[192:195], v[18:19], v[16:17], v[192:195]
	s_nop 7
	s_nop 2
	v_cvt_f16_f32_e32 v18, v192
	v_cvt_f16_f32_e32 v19, v193
	;; [unrolled: 1-line block ×4, first 2 shown]
	v_cvt_f32_f16_e32 v192, v18
	v_cvt_f32_f16_e32 v193, v19
	s_waitcnt lgkmcnt(0)
	v_perm_b32 v19, v249, v204, s91
	v_perm_b32 v18, v199, v198, s91
	v_cvt_f32_f16_e32 v194, v73
	v_cvt_f32_f16_e32 v195, v75
	s_nop 1
	v_mfma_f32_16x16x16f16 v[192:195], v[18:19], v[14:15], v[192:195]
	s_nop 7
	s_nop 2
	v_cvt_f16_f32_e32 v18, v192
	v_cvt_f16_f32_e32 v19, v193
	;; [unrolled: 1-line block ×4, first 2 shown]
	v_cvt_f32_f16_sdwa v193, v79 dst_sel:DWORD dst_unused:UNUSED_PAD src0_sel:WORD_1
	v_pack_b32_f16 v75, v18, v19
	ds_read_u16 v18, v135 offset:64
	ds_read_u16 v198, v143 offset:240
	;; [unrolled: 1-line block ×4, first 2 shown]
	v_pack_b32_f16 v73, v73, v192
	v_cvt_f32_f16_e32 v192, v79
	s_waitcnt lgkmcnt(2)
	v_perm_b32 v18, v198, v18, s91
	v_cvt_f32_f16_e32 v194, v77
	s_waitcnt lgkmcnt(0)
	v_perm_b32 v19, v199, v19, s91
	v_cvt_f32_f16_sdwa v195, v77 dst_sel:DWORD dst_unused:UNUSED_PAD src0_sel:WORD_1
	ds_read_u16 v198, v144 offset:7680
	ds_read_u16 v199, v145 offset:240
	;; [unrolled: 1-line block ×4, first 2 shown]
	v_mfma_f32_16x16x16f16 v[192:195], v[18:19], v[16:17], v[192:195]
	s_nop 7
	s_nop 2
	v_cvt_f16_f32_e32 v18, v192
	v_cvt_f16_f32_e32 v19, v193
	;; [unrolled: 1-line block ×4, first 2 shown]
	v_cvt_f32_f16_e32 v192, v18
	v_cvt_f32_f16_e32 v193, v19
	s_waitcnt lgkmcnt(0)
	v_perm_b32 v19, v249, v204, s91
	v_perm_b32 v18, v199, v198, s91
	v_cvt_f32_f16_e32 v194, v77
	v_cvt_f32_f16_e32 v195, v79
	s_nop 1
	v_mfma_f32_16x16x16f16 v[192:195], v[18:19], v[14:15], v[192:195]
	s_nop 7
	s_nop 2
	v_cvt_f16_f32_e32 v18, v192
	v_cvt_f16_f32_e32 v19, v193
	;; [unrolled: 1-line block ×4, first 2 shown]
	v_cvt_f32_f16_sdwa v193, v245 dst_sel:DWORD dst_unused:UNUSED_PAD src0_sel:WORD_1
	v_pack_b32_f16 v79, v18, v19
	ds_read_u16 v18, v135 offset:96
	ds_read_u16 v198, v147 offset:240
	;; [unrolled: 1-line block ×4, first 2 shown]
	v_pack_b32_f16 v77, v77, v192
	v_cvt_f32_f16_e32 v192, v245
	s_waitcnt lgkmcnt(2)
	v_perm_b32 v18, v198, v18, s91
	v_cvt_f32_f16_e32 v194, v244
	s_waitcnt lgkmcnt(0)
	v_perm_b32 v19, v199, v19, s91
	v_cvt_f32_f16_sdwa v195, v244 dst_sel:DWORD dst_unused:UNUSED_PAD src0_sel:WORD_1
	ds_read_u16 v198, v148 offset:7680
	ds_read_u16 v199, v149 offset:240
	ds_read_u16 v204, v149 offset:480
	ds_read_u16 v244, v150 offset:7680
	v_mfma_f32_16x16x16f16 v[192:195], v[18:19], v[16:17], v[192:195]
	s_nop 7
	s_nop 2
	v_cvt_f16_f32_e32 v18, v192
	v_cvt_f16_f32_e32 v19, v193
	v_cvt_f16_f32_e32 v194, v194
	v_cvt_f16_f32_e32 v195, v195
	v_cvt_f32_f16_e32 v192, v18
	v_cvt_f32_f16_e32 v193, v19
	s_waitcnt lgkmcnt(0)
	v_perm_b32 v19, v244, v204, s91
	v_perm_b32 v18, v199, v198, s91
	v_cvt_f32_f16_e32 v194, v194
	v_cvt_f32_f16_e32 v195, v195
	s_nop 1
	v_mfma_f32_16x16x16f16 v[192:195], v[18:19], v[14:15], v[192:195]
	s_nop 7
	s_nop 2
	v_cvt_f16_f32_e32 v18, v192
	v_cvt_f16_f32_e32 v19, v193
	v_cvt_f16_f32_e32 v192, v194
	v_cvt_f16_f32_e32 v193, v195
	v_cvt_f32_f16_e32 v194, v246
	v_pack_b32_f16 v245, v18, v19
	ds_read_u16 v18, v135 offset:128
	ds_read_u16 v198, v151 offset:240
	ds_read_u16 v19, v151 offset:480
	ds_read_u16 v199, v137 offset:128
	v_pack_b32_f16 v244, v192, v193
	v_cvt_f32_f16_e32 v192, v247
	s_waitcnt lgkmcnt(2)
	v_perm_b32 v18, v198, v18, s91
	v_cvt_f32_f16_sdwa v193, v247 dst_sel:DWORD dst_unused:UNUSED_PAD src0_sel:WORD_1
	s_waitcnt lgkmcnt(0)
	v_perm_b32 v19, v199, v19, s91
	v_cvt_f32_f16_sdwa v195, v246 dst_sel:DWORD dst_unused:UNUSED_PAD src0_sel:WORD_1
	ds_read_u16 v198, v152 offset:7680
	ds_read_u16 v199, v153 offset:240
	ds_read_u16 v204, v153 offset:480
	ds_read_u16 v246, v154 offset:7680
	v_mfma_f32_16x16x16f16 v[192:195], v[18:19], v[16:17], v[192:195]
	s_nop 7
	s_nop 2
	v_cvt_f16_f32_e32 v18, v192
	v_cvt_f16_f32_e32 v19, v193
	v_cvt_f16_f32_e32 v194, v194
	v_cvt_f16_f32_e32 v195, v195
	v_cvt_f32_f16_e32 v192, v18
	v_cvt_f32_f16_e32 v193, v19
	s_waitcnt lgkmcnt(0)
	v_perm_b32 v19, v246, v204, s91
	v_perm_b32 v18, v199, v198, s91
	v_cvt_f32_f16_e32 v194, v194
	v_cvt_f32_f16_e32 v195, v195
	s_nop 1
	v_mfma_f32_16x16x16f16 v[192:195], v[18:19], v[14:15], v[192:195]
	s_nop 7
	s_nop 2
	v_cvt_f16_f32_e32 v18, v192
	v_cvt_f16_f32_e32 v19, v193
	v_cvt_f16_f32_e32 v192, v194
	v_cvt_f16_f32_e32 v193, v195
	v_cvt_f32_f16_e32 v194, v248
	v_pack_b32_f16 v247, v18, v19
	ds_read_u16 v18, v135 offset:160
	ds_read_u16 v198, v155 offset:240
	ds_read_u16 v19, v155 offset:480
	ds_read_u16 v199, v137 offset:160
	v_pack_b32_f16 v246, v192, v193
	v_cvt_f32_f16_e32 v192, v251
	s_waitcnt lgkmcnt(2)
	v_perm_b32 v18, v198, v18, s91
	v_cvt_f32_f16_sdwa v193, v251 dst_sel:DWORD dst_unused:UNUSED_PAD src0_sel:WORD_1
	;; [unrolled: 40-line block ×3, first 2 shown]
	s_waitcnt lgkmcnt(0)
	v_perm_b32 v19, v199, v19, s91
	v_cvt_f32_f16_sdwa v195, v21 dst_sel:DWORD dst_unused:UNUSED_PAD src0_sel:WORD_1
	s_nop 1
	v_mfma_f32_16x16x16f16 v[16:19], v[18:19], v[16:17], v[192:195]
	ds_read_u16 v21, v160 offset:7680
	s_nop 5
	ds_read_u16 v192, v161 offset:240
	ds_read_u16 v193, v161 offset:480
	;; [unrolled: 1-line block ×3, first 2 shown]
	s_waitcnt lgkmcnt(0)
	s_barrier
	v_perm_b32 v192, v192, v21, s91
	v_perm_b32 v193, v194, v193, s91
	v_cvt_f16_f32_e32 v16, v16
	v_cvt_f16_f32_e32 v17, v17
	;; [unrolled: 1-line block ×4, first 2 shown]
	v_cvt_f32_f16_e32 v16, v16
	v_cvt_f32_f16_e32 v17, v17
	v_cvt_f32_f16_e32 v18, v18
	v_cvt_f32_f16_e32 v19, v19
	s_nop 1
	v_mfma_f32_16x16x16f16 v[14:17], v[192:193], v[14:15], v[16:19]
	s_nop 7
	s_nop 2
	v_cvt_f16_f32_e32 v14, v14
	v_cvt_f16_f32_e32 v15, v15
	;; [unrolled: 1-line block ×4, first 2 shown]
	v_pack_b32_f16 v250, v14, v15
	v_mov_b32_e32 v14, s39
	v_addc_co_u32_e32 v1, vcc, v1, v14, vcc
	v_add_co_u32_e32 v66, vcc, s38, v66
	v_addc_co_u32_e32 v23, vcc, v23, v14, vcc
	v_add_co_u32_e32 v68, vcc, s38, v68
	;; [unrolled: 2-line block ×4, first 2 shown]
	v_mov_b32_e32 v14, s37
	v_addc_co_u32_e32 v29, vcc, v29, v14, vcc
	v_add_co_u32_e32 v74, vcc, s36, v74
	v_addc_co_u32_e32 v31, vcc, v31, v14, vcc
	v_add_co_u32_e32 v76, vcc, s36, v76
	;; [unrolled: 2-line block ×11, first 2 shown]
	v_pack_b32_f16 v252, v16, v17
	v_addc_co_u32_e32 v95, vcc, 0, v95, vcc
	s_cbranch_scc0 .LBB19_199
; %bb.198:                              ;   in Loop: Header=BB19_191 Depth=2
	v_mov_b32_e32 v251, v20
	v_mov_b32_e32 v253, v57
	v_cndmask_b32_e64 v14, 0, 1, s[40:41]
	v_cmp_ne_u32_e64 s[42:43], 1, v14
	s_andn2_b64 vcc, exec, s[40:41]
	s_cbranch_vccz .LBB19_186
	s_branch .LBB19_191
.LBB19_199:                             ;   in Loop: Header=BB19_14 Depth=1
	s_lshl_b32 s88, s46, 6
	v_readlane_b32 s40, v254, 4
	v_cmp_eq_u64_e32 vcc, 0, v[58:59]
	s_sub_i32 s65, s40, s88
	v_cmp_ne_u64_e64 s[46:47], 0, v[58:59]
	v_readlane_b32 s41, v254, 5
	s_cbranch_vccnz .LBB19_209
; %bb.200:                              ;   in Loop: Header=BB19_14 Depth=1
	v_cmp_le_i32_e32 vcc, s65, v22
                                        ; implicit-def: $sgpr44
	s_and_saveexec_b64 s[40:41], vcc
	s_xor_b64 s[40:41], exec, s[40:41]
	s_cbranch_execz .LBB19_202
; %bb.201:                              ;   in Loop: Header=BB19_14 Depth=1
	ds_write_b16 v109, v102 offset:15360
	ds_write_b16 v111, v102 offset:15360
	s_mov_b32 s44, 0
.LBB19_202:                             ;   in Loop: Header=BB19_14 Depth=1
	s_or_saveexec_b64 s[42:43], s[40:41]
	s_lshl_b64 s[40:41], s[88:89], 1
	v_mov_b32_e32 v1, s41
	v_add_co_u32_e64 v14, s[40:41], s40, v58
	v_addc_co_u32_e64 v15, s[40:41], v59, v1, s[40:41]
	v_lshlrev_b32_e32 v1, 1, v22
	v_add_co_u32_e64 v1, s[40:41], v14, v1
	v_addc_co_u32_e64 v14, s[40:41], 0, v15, s[40:41]
	v_mov_b32_e32 v15, s44
	v_mov_b32_e32 v16, s44
	s_xor_b64 exec, exec, s[42:43]
	s_cbranch_execz .LBB19_204
; %bb.203:                              ;   in Loop: Header=BB19_14 Depth=1
	v_add_u32_e32 v15, s68, v98
	v_readlane_b32 s44, v254, 10
	v_mul_hi_u32 v16, s44, v15
	v_readlane_b32 s45, v254, 11
	v_add_u32_e32 v16, v15, v16
	v_lshrrev_b32_e32 v16, s45, v16
	v_mul_lo_u32 v16, v16, s76
	v_sub_u32_e32 v15, v15, v16
	v_mad_i64_i32 v[16:17], s[40:41], v15, s70, 0
	v_lshlrev_b64 v[16:17], 1, v[16:17]
	v_add_co_u32_e64 v16, s[40:41], v1, v16
	v_addc_co_u32_e64 v17, s[40:41], v14, v17, s[40:41]
	flat_load_ushort v15, v[16:17]
	v_add_u32_e32 v16, s68, v110
	v_mul_hi_u32 v17, s44, v16
	v_add_u32_e32 v17, v16, v17
	v_lshrrev_b32_e32 v17, s45, v17
	v_mul_lo_u32 v17, v17, s76
	v_sub_u32_e32 v16, v16, v17
	v_mad_i64_i32 v[16:17], s[40:41], v16, s70, 0
	v_lshlrev_b64 v[16:17], 1, v[16:17]
	v_add_co_u32_e64 v16, s[40:41], v1, v16
	v_addc_co_u32_e64 v17, s[40:41], v14, v17, s[40:41]
	flat_load_ushort v16, v[16:17]
	s_waitcnt vmcnt(0) lgkmcnt(0)
	ds_write_b16 v109, v15 offset:15360
	ds_write_b16 v111, v16 offset:15360
	v_add_u32_e32 v15, s68, v112
	v_mul_hi_u32 v16, s44, v15
	v_add_u32_e32 v16, v15, v16
	v_lshrrev_b32_e32 v16, s45, v16
	v_mul_lo_u32 v16, v16, s76
	v_sub_u32_e32 v15, v15, v16
	v_mad_i64_i32 v[16:17], s[40:41], v15, s70, 0
	v_lshlrev_b64 v[16:17], 1, v[16:17]
	v_add_co_u32_e64 v16, s[40:41], v1, v16
	v_addc_co_u32_e64 v17, s[40:41], v14, v17, s[40:41]
	flat_load_ushort v15, v[16:17]
	v_add_u32_e32 v16, s68, v114
	v_mul_hi_u32 v17, s44, v16
	v_add_u32_e32 v17, v16, v17
	v_lshrrev_b32_e32 v17, s45, v17
	v_mul_lo_u32 v17, v17, s76
	v_sub_u32_e32 v16, v16, v17
	v_mad_i64_i32 v[16:17], s[40:41], v16, s70, 0
	v_lshlrev_b64 v[16:17], 1, v[16:17]
	v_add_co_u32_e64 v16, s[40:41], v1, v16
	v_addc_co_u32_e64 v17, s[40:41], v14, v17, s[40:41]
	flat_load_ushort v16, v[16:17]
.LBB19_204:                             ;   in Loop: Header=BB19_14 Depth=1
	s_or_b64 exec, exec, s[42:43]
	s_waitcnt vmcnt(0) lgkmcnt(0)
	ds_write_b16 v113, v15 offset:15360
	ds_write_b16 v115, v16 offset:15360
                                        ; implicit-def: $sgpr42
	s_and_saveexec_b64 s[40:41], vcc
	s_xor_b64 s[40:41], exec, s[40:41]
	s_cbranch_execz .LBB19_206
; %bb.205:                              ;   in Loop: Header=BB19_14 Depth=1
	ds_write_b16 v117, v102 offset:15360
	ds_write_b16 v119, v102 offset:15360
	s_mov_b32 s42, 0
                                        ; implicit-def: $vgpr1
                                        ; implicit-def: $vgpr14
.LBB19_206:                             ;   in Loop: Header=BB19_14 Depth=1
	s_or_saveexec_b64 s[40:41], s[40:41]
	v_mov_b32_e32 v15, s42
	v_mov_b32_e32 v16, s42
	s_xor_b64 exec, exec, s[40:41]
	s_cbranch_execz .LBB19_208
; %bb.207:                              ;   in Loop: Header=BB19_14 Depth=1
	v_add_u32_e32 v15, s68, v116
	v_readlane_b32 s44, v254, 10
	v_mul_hi_u32 v16, s44, v15
	v_readlane_b32 s45, v254, 11
	v_add_u32_e32 v16, v15, v16
	v_lshrrev_b32_e32 v16, s45, v16
	v_mul_lo_u32 v16, v16, s76
	v_sub_u32_e32 v15, v15, v16
	v_mad_i64_i32 v[16:17], s[42:43], v15, s70, 0
	v_lshlrev_b64 v[16:17], 1, v[16:17]
	v_add_co_u32_e32 v16, vcc, v1, v16
	v_addc_co_u32_e32 v17, vcc, v14, v17, vcc
	flat_load_ushort v15, v[16:17]
	v_add_u32_e32 v16, s68, v118
	v_mul_hi_u32 v17, s44, v16
	v_add_u32_e32 v17, v16, v17
	v_lshrrev_b32_e32 v17, s45, v17
	v_mul_lo_u32 v17, v17, s76
	v_sub_u32_e32 v16, v16, v17
	v_mad_i64_i32 v[16:17], s[42:43], v16, s70, 0
	v_lshlrev_b64 v[16:17], 1, v[16:17]
	v_add_co_u32_e32 v16, vcc, v1, v16
	v_addc_co_u32_e32 v17, vcc, v14, v17, vcc
	flat_load_ushort v16, v[16:17]
	s_waitcnt vmcnt(0) lgkmcnt(0)
	ds_write_b16 v117, v15 offset:15360
	ds_write_b16 v119, v16 offset:15360
	v_add_u32_e32 v15, s68, v120
	v_mul_hi_u32 v16, s44, v15
	v_add_u32_e32 v16, v15, v16
	v_lshrrev_b32_e32 v16, s45, v16
	v_mul_lo_u32 v16, v16, s76
	v_sub_u32_e32 v15, v15, v16
	v_mad_i64_i32 v[16:17], s[42:43], v15, s70, 0
	v_lshlrev_b64 v[16:17], 1, v[16:17]
	v_add_co_u32_e32 v16, vcc, v1, v16
	v_addc_co_u32_e32 v17, vcc, v14, v17, vcc
	flat_load_ushort v15, v[16:17]
	v_add_u32_e32 v16, s68, v122
	v_mul_hi_u32 v17, s44, v16
	v_add_u32_e32 v17, v16, v17
	v_lshrrev_b32_e32 v17, s45, v17
	v_mul_lo_u32 v17, v17, s76
	v_sub_u32_e32 v16, v16, v17
	v_mad_i64_i32 v[16:17], s[42:43], v16, s70, 0
	v_lshlrev_b64 v[16:17], 1, v[16:17]
	v_add_co_u32_e32 v16, vcc, v1, v16
	v_addc_co_u32_e32 v17, vcc, v14, v17, vcc
	flat_load_ushort v16, v[16:17]
.LBB19_208:                             ;   in Loop: Header=BB19_14 Depth=1
	s_or_b64 exec, exec, s[40:41]
	s_waitcnt vmcnt(0) lgkmcnt(0)
	ds_write_b16 v121, v15 offset:15360
	ds_write_b16 v123, v16 offset:15360
.LBB19_209:                             ;   in Loop: Header=BB19_14 Depth=1
	s_mul_i32 s40, s88, s95
	s_mul_hi_u32 s41, s88, s94
	s_add_i32 s41, s41, s40
	s_mul_i32 s40, s88, s94
	s_lshl_b64 s[40:41], s[40:41], 2
	s_add_u32 s48, s84, s40
	s_addc_u32 s49, s98, s41
	buffer_store_dword v102, off, s[0:3], 0
	buffer_store_dword v102, off, s[0:3], 0 offset:4
	buffer_store_dword v102, off, s[0:3], 0 offset:8
	;; [unrolled: 1-line block ×3, first 2 shown]
	s_and_saveexec_b64 s[40:41], s[6:7]
	s_cbranch_execz .LBB19_211
; %bb.210:                              ;   in Loop: Header=BB19_14 Depth=1
	v_mov_b32_e32 v1, s49
	v_add_co_u32_e32 v14, vcc, s48, v48
	v_addc_co_u32_e32 v1, vcc, v1, v49, vcc
	v_lshlrev_b32_e32 v15, 2, v32
	v_add_co_u32_e32 v14, vcc, v14, v15
	v_addc_co_u32_e32 v1, vcc, 0, v1, vcc
	v_add_co_u32_e32 v14, vcc, 0xc0, v14
	v_addc_co_u32_e32 v1, vcc, 0, v1, vcc
	v_mov_b32_e32 v15, s35
	v_cmp_gt_i32_e32 vcc, s65, v124
	v_cndmask_b32_e32 v15, v15, v1, vcc
	v_mov_b32_e32 v1, s34
	v_cndmask_b32_e32 v14, v1, v14, vcc
	flat_load_dwordx4 v[14:17], v[14:15]
	s_waitcnt vmcnt(0) lgkmcnt(0)
	ds_write_b128 v125, v[14:17]
.LBB19_211:                             ;   in Loop: Header=BB19_14 Depth=1
	s_or_b64 exec, exec, s[40:41]
	v_mov_b32_e32 v1, s49
	v_add_co_u32_e32 v14, vcc, s48, v50
	v_addc_co_u32_e32 v1, vcc, v1, v51, vcc
	v_lshlrev_b32_e32 v31, 2, v34
	v_add_co_u32_e32 v14, vcc, v14, v31
	v_addc_co_u32_e32 v1, vcc, 0, v1, vcc
	v_add_co_u32_e32 v14, vcc, 0x80, v14
	v_addc_co_u32_e32 v1, vcc, 0, v1, vcc
	v_mov_b32_e32 v21, s35
	v_cmp_gt_i32_e64 s[44:45], s65, v126
	v_cndmask_b32_e64 v15, v21, v1, s[44:45]
	v_mov_b32_e32 v1, s34
	v_cndmask_b32_e64 v14, v1, v14, s[44:45]
	flat_load_dwordx4 v[14:17], v[14:15]
	v_mov_b32_e32 v18, s49
	v_add_co_u32_e32 v19, vcc, s48, v52
	v_lshlrev_b32_e32 v29, 2, v36
	v_addc_co_u32_e32 v18, vcc, v18, v53, vcc
	v_add_co_u32_e32 v23, vcc, v19, v29
	v_addc_co_u32_e32 v18, vcc, 0, v18, vcc
	v_cmp_gt_i32_e64 s[42:43], s65, v105
	v_cndmask_b32_e64 v19, v21, v18, s[42:43]
	v_cndmask_b32_e64 v18, v1, v23, s[42:43]
	v_cmp_gt_i32_e64 s[40:41], s65, v127
	s_waitcnt vmcnt(0) lgkmcnt(0)
	ds_write_b128 v163, v[14:17]
	flat_load_dwordx4 v[14:17], v[18:19]
	v_mov_b32_e32 v18, s49
	v_add_co_u32_e32 v19, vcc, s48, v54
	v_addc_co_u32_e32 v18, vcc, v18, v55, vcc
	v_add_co_u32_e32 v23, vcc, v19, v29
	v_addc_co_u32_e32 v18, vcc, 0, v18, vcc
	v_cndmask_b32_e64 v19, v21, v18, s[40:41]
	v_cndmask_b32_e64 v18, v1, v23, s[40:41]
	v_add_u32_e32 v1, v107, v128
	s_andn2_b64 vcc, exec, s[46:47]
	s_waitcnt vmcnt(0) lgkmcnt(0)
	ds_write_b128 v164, v[14:17]
	flat_load_dwordx4 v[14:17], v[18:19]
	v_add_u32_e32 v18, 0x1800, v1
	s_waitcnt vmcnt(0) lgkmcnt(0)
	ds_write_b128 v165, v[14:17]
	s_waitcnt lgkmcnt(0)
	s_barrier
	ds_read2_b64 v[14:17], v1 offset1:4
	ds_read2_b64 v[80:83], v18 offset0:192 offset1:196
	s_waitcnt lgkmcnt(1)
	v_mfma_f32_16x16x16f16 v[62:65], v[14:15], v[10:11], 0
	s_waitcnt lgkmcnt(0)
	v_mfma_f32_16x16x16f16 v[84:87], v[80:81], v[10:11], 0
	v_mfma_f32_16x16x16f16 v[14:17], v[16:17], v[12:13], v[62:65]
	;; [unrolled: 1-line block ×3, first 2 shown]
	s_nop 6
	ds_read2_b64 v[62:65], v1 offset0:8 offset1:12
	ds_read2_b64 v[80:83], v18 offset0:200 offset1:204
	s_waitcnt lgkmcnt(1)
	v_mfma_f32_16x16x16f16 v[14:17], v[62:63], v[6:7], v[14:17]
	s_waitcnt lgkmcnt(0)
	v_mfma_f32_16x16x16f16 v[10:13], v[80:81], v[6:7], v[10:13]
	v_mfma_f32_16x16x16f16 v[14:17], v[64:65], v[8:9], v[14:17]
	ds_read2_b64 v[62:65], v18 offset0:208 offset1:212
	v_mfma_f32_16x16x16f16 v[6:9], v[82:83], v[8:9], v[10:13]
	s_nop 7
	ds_read2_b64 v[10:13], v1 offset0:16 offset1:20
	s_waitcnt lgkmcnt(0)
	v_mfma_f32_16x16x16f16 v[14:17], v[10:11], v[2:3], v[14:17]
	v_mfma_f32_16x16x16f16 v[6:9], v[62:63], v[2:3], v[6:9]
	;; [unrolled: 1-line block ×4, first 2 shown]
	s_nop 7
	s_nop 0
	ds_read_b64 v[6:7], v1 offset:192
	ds_read_b64 v[14:15], v1 offset:7872
	s_waitcnt lgkmcnt(0)
	s_barrier
	v_mfma_f32_16x16x16f16 v[6:9], v[6:7], v[60:61], v[10:13]
	v_mfma_f32_16x16x16f16 v[2:5], v[14:15], v[60:61], v[2:5]
	s_cbranch_vccnz .LBB19_213
; %bb.212:                              ;   in Loop: Header=BB19_14 Depth=1
	v_add_u32_e32 v1, 0x3c00, v130
	s_nop 3
	ds_read2_b32 v[10:11], v1 offset1:1
	ds_read_b32 v1, v132 offset:15360
	s_waitcnt lgkmcnt(1)
	v_cvt_f32_f16_e32 v12, v10
	v_cvt_f32_f16_sdwa v13, v10 dst_sel:DWORD dst_unused:UNUSED_PAD src0_sel:WORD_1
	v_cvt_f32_f16_e32 v10, v11
	v_cvt_f32_f16_sdwa v11, v11 dst_sel:DWORD dst_unused:UNUSED_PAD src0_sel:WORD_1
	v_pk_fma_f32 v[6:7], v[56:57], v[12:13], v[6:7] op_sel_hi:[0,1,1]
	v_pk_fma_f32 v[8:9], v[56:57], v[10:11], v[8:9] op_sel_hi:[0,1,1]
	s_waitcnt lgkmcnt(0)
	v_cvt_f32_f16_sdwa v11, v1 dst_sel:DWORD dst_unused:UNUSED_PAD src0_sel:WORD_1
	v_cvt_f32_f16_e32 v10, v1
	ds_read_b32 v1, v134 offset:15360
	v_pk_fma_f32 v[2:3], v[56:57], v[10:11], v[2:3] op_sel_hi:[0,1,1]
	s_waitcnt lgkmcnt(0)
	v_cvt_f32_f16_sdwa v13, v1 dst_sel:DWORD dst_unused:UNUSED_PAD src0_sel:WORD_1
	v_cvt_f32_f16_e32 v12, v1
	v_pk_fma_f32 v[4:5], v[56:57], v[12:13], v[4:5] op_sel_hi:[0,1,1]
.LBB19_213:                             ;   in Loop: Header=BB19_14 Depth=1
	s_nop 7
	s_nop 0
	v_add_f32_e32 v1, 0x40051340, v6
	v_max_f32_e32 v10, v57, v57
	v_max_f32_e32 v1, v10, v1
	v_cmp_gt_u32_e64 s[60:61], s65, v129
	v_cndmask_b32_e64 v1, v57, v1, s[60:61]
	v_add_f32_e32 v10, 0x40051340, v7
	v_max_f32_e32 v11, v1, v1
	v_max_f32_e32 v10, v11, v10
	v_cmp_gt_u32_e64 s[58:59], s65, v166
	v_cndmask_b32_e64 v1, v1, v10, s[58:59]
	;; [unrolled: 5-line block ×8, first 2 shown]
	v_and_b32_e32 v10, 64, v243
	v_add_u32_e32 v10, 64, v10
	v_xor_b32_e32 v11, 32, v243
	v_cmp_lt_i32_e32 vcc, v11, v10
	v_cndmask_b32_e32 v11, v243, v11, vcc
	v_lshlrev_b32_e32 v11, 2, v11
	ds_bpermute_b32 v12, v11, v1
	v_max_f32_e32 v1, v1, v1
	s_mul_i32 s64, s88, s97
	s_mul_hi_u32 s66, s88, s96
	s_add_i32 s67, s66, s64
	s_waitcnt lgkmcnt(0)
	v_max_f32_e32 v12, v12, v12
	v_max_f32_e32 v1, v1, v12
	v_xor_b32_e32 v12, 16, v243
	v_cmp_lt_i32_e32 vcc, v12, v10
	v_cndmask_b32_e32 v10, v243, v12, vcc
	v_lshlrev_b32_e32 v19, 2, v10
	ds_bpermute_b32 v10, v19, v1
	s_mul_i32 s66, s88, s96
	s_lshl_b64 s[66:67], s[66:67], 2
	s_add_u32 s64, s72, s66
	s_addc_u32 s31, s31, s67
	buffer_store_dword v102, off, s[0:3], 0
	buffer_store_dword v102, off, s[0:3], 0 offset:4
	buffer_store_dword v102, off, s[0:3], 0 offset:8
	;; [unrolled: 1-line block ×3, first 2 shown]
	s_and_saveexec_b64 s[92:93], s[6:7]
	s_cbranch_execz .LBB19_215
; %bb.214:                              ;   in Loop: Header=BB19_14 Depth=1
	v_mov_b32_e32 v12, s31
	v_add_co_u32_e32 v13, vcc, s64, v40
	v_addc_co_u32_e32 v12, vcc, v12, v41, vcc
	v_lshlrev_b32_e32 v14, 2, v32
	v_add_co_u32_e32 v13, vcc, v13, v14
	v_addc_co_u32_e32 v12, vcc, 0, v12, vcc
	v_add_co_u32_e32 v14, vcc, 0xc0, v13
	v_addc_co_u32_e32 v12, vcc, 0, v12, vcc
	v_mov_b32_e32 v13, s35
	v_cmp_gt_i32_e32 vcc, s65, v124
	v_cndmask_b32_e32 v13, v13, v12, vcc
	v_mov_b32_e32 v12, s34
	v_cndmask_b32_e32 v12, v12, v14, vcc
	flat_load_dwordx4 v[12:15], v[12:13]
	s_waitcnt vmcnt(0) lgkmcnt(0)
	ds_write_b128 v125, v[12:15]
.LBB19_215:                             ;   in Loop: Header=BB19_14 Depth=1
	s_or_b64 exec, exec, s[92:93]
	s_waitcnt lgkmcnt(0)
	v_max_f32_e32 v10, v10, v10
	v_max_f32_e32 v1, v1, v1
	;; [unrolled: 1-line block ×3, first 2 shown]
	v_sub_f32_e32 v1, v6, v10
	v_mul_f32_e32 v6, 0x3fb8aa3b, v1
	v_fma_f32 v12, v1, s85, -v6
	v_rndne_f32_e32 v13, v6
	v_fmac_f32_e32 v12, 0x32a5705f, v1
	v_sub_f32_e32 v6, v6, v13
	v_add_f32_e32 v6, v6, v12
	v_exp_f32_e32 v6, v6
	v_cvt_i32_f32_e32 v12, v13
	v_cmp_ngt_f32_e32 vcc, s30, v1
	v_cndmask_b32_e64 v8, v8, v8, s[58:59]
	v_sub_f32_e32 v8, v8, v10
	v_ldexp_f32 v6, v6, v12
	v_cndmask_b32_e32 v6, 0, v6, vcc
	v_cmp_nlt_f32_e32 vcc, s99, v1
	v_cndmask_b32_e32 v1, v241, v6, vcc
	v_cndmask_b32_e64 v6, 0, v1, s[60:61]
	v_sub_f32_e32 v1, v7, v10
	v_mul_f32_e32 v7, 0x3fb8aa3b, v1
	v_fma_f32 v12, v1, s85, -v7
	v_rndne_f32_e32 v13, v7
	v_fmac_f32_e32 v12, 0x32a5705f, v1
	v_sub_f32_e32 v7, v7, v13
	v_add_f32_e32 v7, v7, v12
	v_exp_f32_e32 v7, v7
	v_cvt_i32_f32_e32 v12, v13
	v_cmp_ngt_f32_e32 vcc, s30, v1
	v_cndmask_b32_e64 v9, v9, v9, s[58:59]
	v_sub_f32_e32 v2, v2, v10
	v_ldexp_f32 v7, v7, v12
	v_cndmask_b32_e32 v7, 0, v7, vcc
	v_cmp_nlt_f32_e32 vcc, s99, v1
	v_cndmask_b32_e32 v7, v241, v7, vcc
	v_add_f32_e32 v12, v7, v6
	v_mov_b32_e32 v1, s89
	v_cndmask_b32_e64 v7, v1, v7, s[58:59]
	v_cndmask_b32_e64 v1, v6, v12, s[58:59]
	v_mul_f32_e32 v12, 0x3fb8aa3b, v8
	v_fma_f32 v13, v8, s85, -v12
	v_rndne_f32_e32 v14, v12
	v_fmac_f32_e32 v13, 0x32a5705f, v8
	v_sub_f32_e32 v12, v12, v14
	v_add_f32_e32 v12, v12, v13
	v_exp_f32_e32 v12, v12
	v_cvt_i32_f32_e32 v13, v14
	v_cmp_ngt_f32_e32 vcc, s30, v8
	v_cndmask_b32_e64 v3, v3, v3, s[54:55]
	v_cndmask_b32_e64 v4, v4, v4, s[54:55]
	v_ldexp_f32 v12, v12, v13
	v_cndmask_b32_e32 v12, 0, v12, vcc
	v_cmp_nlt_f32_e32 vcc, s99, v8
	v_cndmask_b32_e32 v12, v241, v12, vcc
	v_mov_b32_e32 v8, s89
	v_cndmask_b32_e64 v33, v8, v12, s[56:57]
	v_sub_f32_e32 v8, v9, v10
	v_add_f32_e32 v13, v1, v12
	v_mul_f32_e32 v9, 0x3fb8aa3b, v8
	v_cndmask_b32_e64 v1, v1, v13, s[56:57]
	v_fma_f32 v12, v8, s85, -v9
	v_rndne_f32_e32 v13, v9
	v_fmac_f32_e32 v12, 0x32a5705f, v8
	v_sub_f32_e32 v9, v9, v13
	v_add_f32_e32 v9, v9, v12
	v_exp_f32_e32 v9, v9
	v_cvt_i32_f32_e32 v12, v13
	v_cmp_ngt_f32_e32 vcc, s30, v8
	v_cndmask_b32_e64 v5, v5, v5, s[54:55]
	s_cmp_eq_u64 s[8:9], 0
	v_ldexp_f32 v9, v9, v12
	v_cndmask_b32_e32 v9, 0, v9, vcc
	v_cmp_nlt_f32_e32 vcc, s99, v8
	v_cndmask_b32_e32 v35, v241, v9, vcc
	v_add_f32_e32 v8, v1, v35
	v_cndmask_b32_e64 v1, v1, v8, s[46:47]
	v_mul_f32_e32 v8, 0x3fb8aa3b, v2
	v_fma_f32 v9, v2, s85, -v8
	v_rndne_f32_e32 v12, v8
	v_fmac_f32_e32 v9, 0x32a5705f, v2
	v_sub_f32_e32 v8, v8, v12
	v_add_f32_e32 v8, v8, v9
	v_exp_f32_e32 v8, v8
	v_cvt_i32_f32_e32 v9, v12
	v_cmp_ngt_f32_e32 vcc, s30, v2
	v_ldexp_f32 v8, v8, v9
	v_cndmask_b32_e32 v8, 0, v8, vcc
	v_cmp_nlt_f32_e32 vcc, s99, v2
	v_cndmask_b32_e32 v8, v241, v8, vcc
	v_add_f32_e32 v9, v8, v1
	v_mov_b32_e32 v2, s89
	v_cndmask_b32_e64 v56, v2, v8, s[54:55]
	v_cndmask_b32_e64 v2, v1, v9, s[54:55]
	v_sub_f32_e32 v1, v3, v10
	v_mul_f32_e32 v3, 0x3fb8aa3b, v1
	v_fma_f32 v8, v1, s85, -v3
	v_rndne_f32_e32 v9, v3
	v_fmac_f32_e32 v8, 0x32a5705f, v1
	v_sub_f32_e32 v3, v3, v9
	v_add_f32_e32 v3, v3, v8
	v_exp_f32_e32 v3, v3
	v_cvt_i32_f32_e32 v8, v9
	v_cmp_ngt_f32_e32 vcc, s30, v1
	v_ldexp_f32 v3, v3, v8
	v_cndmask_b32_e32 v3, 0, v3, vcc
	v_cmp_nlt_f32_e32 vcc, s99, v1
	v_cndmask_b32_e32 v3, v241, v3, vcc
	v_add_f32_e32 v8, v3, v2
	v_mov_b32_e32 v1, s89
	v_cndmask_b32_e64 v58, v1, v3, s[52:53]
	v_cndmask_b32_e64 v1, v2, v8, s[52:53]
	v_sub_f32_e32 v2, v4, v10
	v_mul_f32_e32 v3, 0x3fb8aa3b, v2
	v_fma_f32 v4, v2, s85, -v3
	v_rndne_f32_e32 v8, v3
	v_fmac_f32_e32 v4, 0x32a5705f, v2
	v_sub_f32_e32 v3, v3, v8
	v_add_f32_e32 v3, v3, v4
	v_exp_f32_e32 v3, v3
	v_cvt_i32_f32_e32 v4, v8
	v_cmp_ngt_f32_e32 vcc, s30, v2
	v_ldexp_f32 v3, v3, v4
	v_cndmask_b32_e32 v3, 0, v3, vcc
	v_cmp_nlt_f32_e32 vcc, s99, v2
	v_cndmask_b32_e32 v3, v241, v3, vcc
	v_mov_b32_e32 v2, s89
	v_cndmask_b32_e64 v59, v2, v3, s[50:51]
	v_sub_f32_e32 v2, v5, v10
	v_add_f32_e32 v4, v3, v1
	v_mul_f32_e32 v3, 0x3fb8aa3b, v2
	v_cndmask_b32_e64 v1, v1, v4, s[50:51]
	v_fma_f32 v4, v2, s85, -v3
	v_rndne_f32_e32 v5, v3
	v_fmac_f32_e32 v4, 0x32a5705f, v2
	v_sub_f32_e32 v3, v3, v5
	v_add_f32_e32 v3, v3, v4
	v_exp_f32_e32 v3, v3
	v_cvt_i32_f32_e32 v4, v5
	v_cmp_ngt_f32_e32 vcc, s30, v2
	v_ldexp_f32 v3, v3, v4
	v_cndmask_b32_e32 v3, 0, v3, vcc
	v_cmp_nlt_f32_e32 vcc, s99, v2
	v_cndmask_b32_e32 v2, v241, v3, vcc
	v_add_f32_e32 v3, v2, v1
	v_cndmask_b32_e64 v21, v1, v3, s[48:49]
	v_sub_f32_e32 v1, v57, v10
	v_mul_f32_e32 v3, 0x3fb8aa3b, v1
	v_fma_f32 v4, v1, s85, -v3
	v_rndne_f32_e32 v5, v3
	v_fmac_f32_e32 v4, 0x32a5705f, v1
	v_sub_f32_e32 v3, v3, v5
	v_add_f32_e32 v3, v3, v4
	v_exp_f32_e32 v3, v3
	v_cvt_i32_f32_e32 v4, v5
	v_cmp_ngt_f32_e32 vcc, s30, v1
	v_ldexp_f32 v3, v3, v4
	v_cndmask_b32_e32 v3, 0, v3, vcc
	v_cmp_nlt_f32_e32 vcc, s99, v1
	v_cndmask_b32_e32 v3, v241, v3, vcc
	v_cmp_le_f32_e32 vcc, s87, v1
	v_cndmask_b32_e32 v1, 0, v3, vcc
	v_cvt_f16_f32_e32 v3, v1
	v_fmac_f32_e32 v21, v20, v1
	v_pk_mul_f16 v27, v3, v71 op_sel_hi:[0,1]
	v_pk_mul_f16 v1, v3, v69 op_sel_hi:[0,1]
	v_pk_mul_f16 v25, v3, v75 op_sel_hi:[0,1]
	v_pk_mul_f16 v8, v3, v73 op_sel_hi:[0,1]
	v_pk_mul_f16 v12, v3, v79 op_sel_hi:[0,1]
	v_pk_mul_f16 v9, v3, v77 op_sel_hi:[0,1]
	v_pk_mul_f16 v14, v3, v245 op_sel_hi:[0,1]
	v_pk_mul_f16 v13, v3, v244 op_sel_hi:[0,1]
	v_pk_mul_f16 v16, v3, v247 op_sel_hi:[0,1]
	v_pk_mul_f16 v15, v3, v246 op_sel_hi:[0,1]
	v_pk_mul_f16 v18, v3, v248 op_sel_hi:[0,1]
	v_pk_mul_f16 v17, v3, v249 op_sel_hi:[0,1]
	v_pk_mul_f16 v23, v3, v250 op_sel_hi:[0,1]
	v_pk_mul_f16 v20, v3, v252 op_sel_hi:[0,1]
	v_mov_b32_e32 v3, s89
	v_cndmask_b32_e64 v4, v3, v2, s[48:49]
	v_cndmask_b32_e64 v5, v3, v35, s[46:47]
	v_cvt_f16_f32_e32 v2, v56
	v_cvt_f16_f32_e32 v3, v58
	;; [unrolled: 1-line block ×4, first 2 shown]
	v_readlane_b32 s46, v254, 61
	v_pack_b32_f16 v2, v2, v3
	v_cvt_f16_f32_e32 v3, v59
	v_readlane_b32 s47, v254, 62
	v_pack_b32_f16 v3, v3, v4
	v_cvt_f16_f32_e32 v4, v6
	v_cvt_f16_f32_e32 v6, v7
	v_mov_b32_e32 v7, s31
	v_pack_b32_f16 v4, v4, v6
	v_cvt_f16_f32_e32 v6, v33
	v_mov_b32_e32 v33, s34
	v_pack_b32_f16 v5, v6, v5
	v_add_co_u32_e32 v6, vcc, s64, v42
	v_addc_co_u32_e32 v7, vcc, v7, v43, vcc
	v_add_co_u32_e32 v6, vcc, v6, v31
	v_addc_co_u32_e32 v7, vcc, 0, v7, vcc
	;; [unrolled: 2-line block ×3, first 2 shown]
	v_mov_b32_e32 v31, s35
	v_cndmask_b32_e64 v7, v31, v7, s[44:45]
	v_cndmask_b32_e64 v6, v33, v6, s[44:45]
	flat_load_dwordx4 v[56:59], v[6:7]
	v_add_co_u32_e32 v6, vcc, s64, v44
	v_mov_b32_e32 v7, s31
	v_addc_co_u32_e32 v7, vcc, v7, v45, vcc
	v_add_co_u32_e32 v6, vcc, v6, v29
	v_addc_co_u32_e32 v7, vcc, 0, v7, vcc
	v_cndmask_b32_e64 v7, v31, v7, s[42:43]
	v_cndmask_b32_e64 v6, v33, v6, s[42:43]
	s_waitcnt vmcnt(0) lgkmcnt(0)
	ds_write_b128 v163, v[56:59]
	flat_load_dwordx4 v[56:59], v[6:7]
	v_add_co_u32_e32 v6, vcc, s64, v46
	v_mov_b32_e32 v7, s31
	v_addc_co_u32_e32 v7, vcc, v7, v47, vcc
	v_add_co_u32_e32 v6, vcc, v6, v29
	v_addc_co_u32_e32 v7, vcc, 0, v7, vcc
	v_cndmask_b32_e64 v7, v31, v7, s[40:41]
	v_cndmask_b32_e64 v6, v33, v6, s[40:41]
	s_cselect_b64 s[40:41], -1, 0
	s_xor_b64 s[42:43], s[46:47], -1
	s_or_b64 s[40:41], s[42:43], s[40:41]
	s_waitcnt vmcnt(0) lgkmcnt(0)
	ds_write_b128 v164, v[56:59]
	flat_load_dwordx4 v[56:59], v[6:7]
	s_waitcnt vmcnt(0) lgkmcnt(0)
	ds_write_b128 v165, v[56:59]
	s_waitcnt lgkmcnt(0)
	s_barrier
	ds_read_u16 v6, v136 offset:240
	ds_read_u16 v7, v136 offset:480
	v_cvt_f32_f16_e32 v56, v27
	v_cvt_f32_f16_sdwa v57, v27 dst_sel:DWORD dst_unused:UNUSED_PAD src0_sel:WORD_1
	v_cvt_f32_f16_e32 v58, v1
	v_cvt_f32_f16_sdwa v59, v1 dst_sel:DWORD dst_unused:UNUSED_PAD src0_sel:WORD_1
	ds_read_u16 v1, v137
	ds_read_u16 v27, v137 offset:32
	s_waitcnt lgkmcnt(1)
	v_perm_b32 v7, v1, v7, s91
	ds_read_u16 v1, v135
	ds_read_u16 v29, v135 offset:32
	ds_read_u16 v33, v135 offset:7680
	;; [unrolled: 1-line block ×5, first 2 shown]
	s_waitcnt lgkmcnt(5)
	v_perm_b32 v6, v6, v1, s91
	s_nop 1
	v_mfma_f32_16x16x16f16 v[56:59], v[6:7], v[4:5], v[56:59]
	s_nop 7
	s_nop 2
	v_cvt_f16_f32_e32 v6, v57
	v_cvt_f16_f32_e32 v7, v58
	;; [unrolled: 1-line block ×4, first 2 shown]
	v_cvt_f32_f16_e32 v57, v6
	v_cvt_f32_f16_e32 v58, v7
	s_waitcnt lgkmcnt(0)
	v_perm_b32 v7, v61, v60, s91
	v_perm_b32 v6, v35, v33, s91
	v_cvt_f32_f16_e32 v56, v1
	v_cvt_f32_f16_e32 v59, v31
	s_nop 1
	v_mfma_f32_16x16x16f16 v[56:59], v[6:7], v[2:3], v[56:59]
	s_nop 7
	s_nop 2
	v_cvt_f16_f32_e32 v1, v56
	v_cvt_f16_f32_e32 v6, v57
	;; [unrolled: 1-line block ×4, first 2 shown]
	v_cvt_f32_f16_e32 v56, v25
	v_pack_b32_f16 v6, v1, v6
	v_cvt_f32_f16_sdwa v57, v25 dst_sel:DWORD dst_unused:UNUSED_PAD src0_sel:WORD_1
	v_pack_b32_f16 v1, v7, v31
	ds_read_u16 v7, v139 offset:240
	ds_read_u16 v31, v139 offset:480
	v_cvt_f32_f16_e32 v58, v8
	v_cvt_f32_f16_sdwa v59, v8 dst_sel:DWORD dst_unused:UNUSED_PAD src0_sel:WORD_1
	s_waitcnt lgkmcnt(1)
	v_perm_b32 v60, v7, v29, s91
	s_waitcnt lgkmcnt(0)
	v_perm_b32 v61, v27, v31, s91
	ds_read_u16 v29, v140 offset:7680
	ds_read_u16 v31, v141 offset:240
	ds_read_u16 v33, v141 offset:480
	ds_read_u16 v35, v142 offset:7680
	v_mfma_f32_16x16x16f16 v[56:59], v[60:61], v[4:5], v[56:59]
	s_waitcnt lgkmcnt(0)
	v_perm_b32 v61, v35, v33, s91
	v_perm_b32 v60, v31, v29, s91
	s_nop 7
	v_cvt_f16_f32_e32 v7, v56
	v_cvt_f16_f32_e32 v8, v57
	v_cvt_f16_f32_e32 v25, v58
	v_cvt_f16_f32_e32 v27, v59
	v_cvt_f32_f16_e32 v56, v7
	v_cvt_f32_f16_e32 v57, v8
	v_cvt_f32_f16_e32 v58, v25
	v_cvt_f32_f16_e32 v59, v27
	s_nop 1
	v_mfma_f32_16x16x16f16 v[56:59], v[60:61], v[2:3], v[56:59]
	s_nop 7
	s_nop 2
	v_cvt_f16_f32_e32 v7, v56
	v_cvt_f16_f32_e32 v8, v57
	v_cvt_f16_f32_e32 v25, v58
	v_cvt_f16_f32_e32 v27, v59
	v_cvt_f32_f16_e32 v56, v12
	v_pack_b32_f16 v8, v7, v8
	v_cvt_f32_f16_sdwa v57, v12 dst_sel:DWORD dst_unused:UNUSED_PAD src0_sel:WORD_1
	v_pack_b32_f16 v7, v25, v27
	ds_read_u16 v25, v135 offset:64
	ds_read_u16 v27, v143 offset:240
	ds_read_u16 v29, v143 offset:480
	ds_read_u16 v31, v137 offset:64
	v_cvt_f32_f16_e32 v58, v9
	v_cvt_f32_f16_sdwa v59, v9 dst_sel:DWORD dst_unused:UNUSED_PAD src0_sel:WORD_1
	s_waitcnt lgkmcnt(2)
	v_perm_b32 v60, v27, v25, s91
	s_waitcnt lgkmcnt(0)
	v_perm_b32 v61, v31, v29, s91
	ds_read_u16 v29, v144 offset:7680
	ds_read_u16 v31, v145 offset:240
	ds_read_u16 v33, v145 offset:480
	ds_read_u16 v35, v146 offset:7680
	v_mfma_f32_16x16x16f16 v[56:59], v[60:61], v[4:5], v[56:59]
	s_waitcnt lgkmcnt(0)
	v_perm_b32 v61, v35, v33, s91
	v_perm_b32 v60, v31, v29, s91
	s_nop 7
	v_cvt_f16_f32_e32 v9, v56
	v_cvt_f16_f32_e32 v12, v57
	v_cvt_f16_f32_e32 v25, v58
	v_cvt_f16_f32_e32 v27, v59
	v_cvt_f32_f16_e32 v56, v9
	v_cvt_f32_f16_e32 v57, v12
	v_cvt_f32_f16_e32 v58, v25
	v_cvt_f32_f16_e32 v59, v27
	s_nop 1
	v_mfma_f32_16x16x16f16 v[56:59], v[60:61], v[2:3], v[56:59]
	s_nop 7
	s_nop 2
	v_cvt_f16_f32_e32 v9, v56
	v_cvt_f16_f32_e32 v12, v57
	v_cvt_f16_f32_e32 v25, v58
	v_cvt_f16_f32_e32 v27, v59
	v_cvt_f32_f16_e32 v56, v14
	v_pack_b32_f16 v12, v9, v12
	v_cvt_f32_f16_sdwa v57, v14 dst_sel:DWORD dst_unused:UNUSED_PAD src0_sel:WORD_1
	v_pack_b32_f16 v9, v25, v27
	ds_read_u16 v25, v135 offset:96
	ds_read_u16 v27, v147 offset:240
	;; [unrolled: 39-line block ×5, first 2 shown]
	ds_read_u16 v29, v159 offset:480
	ds_read_u16 v31, v137 offset:192
	v_cvt_f32_f16_e32 v58, v20
	v_cvt_f32_f16_sdwa v59, v20 dst_sel:DWORD dst_unused:UNUSED_PAD src0_sel:WORD_1
	s_waitcnt lgkmcnt(2)
	v_perm_b32 v60, v27, v25, s91
	s_waitcnt lgkmcnt(0)
	v_perm_b32 v61, v31, v29, s91
	ds_read_u16 v25, v160 offset:7680
	ds_read_u16 v27, v161 offset:240
	;; [unrolled: 1-line block ×4, first 2 shown]
	v_mfma_f32_16x16x16f16 v[56:59], v[60:61], v[4:5], v[56:59]
	s_waitcnt lgkmcnt(0)
	s_barrier
	s_nop 7
	s_nop 0
	v_cvt_f16_f32_e32 v4, v56
	v_cvt_f16_f32_e32 v5, v57
	;; [unrolled: 1-line block ×4, first 2 shown]
	v_cvt_f32_f16_e32 v56, v4
	v_cvt_f32_f16_e32 v57, v5
	v_perm_b32 v5, v31, v29, s91
	v_perm_b32 v4, v27, v25, s91
	v_cvt_f32_f16_e32 v58, v20
	v_cvt_f32_f16_e32 v59, v23
	s_nop 1
	v_mfma_f32_16x16x16f16 v[2:5], v[4:5], v[2:3], v[56:59]
	s_nop 7
	s_nop 2
	v_cvt_f16_f32_e32 v2, v2
	v_cvt_f16_f32_e32 v3, v3
	;; [unrolled: 1-line block ×4, first 2 shown]
	v_pack_b32_f16 v2, v2, v3
	v_pack_b32_f16 v3, v4, v5
	ds_bpermute_b32 v4, v11, v21
	s_waitcnt lgkmcnt(0)
	v_add_f32_e32 v4, v21, v4
	ds_bpermute_b32 v5, v19, v4
	s_waitcnt lgkmcnt(0)
	v_add_f32_e32 v11, v4, v5
	s_and_saveexec_b64 s[42:43], s[40:41]
	s_xor_b64 s[40:41], exec, s[42:43]
	s_andn2_saveexec_b64 s[40:41], s[40:41]
	s_cbranch_execz .LBB19_217
; %bb.216:                              ;   in Loop: Header=BB19_14 Depth=1
	global_load_dword v5, v102, s[8:9]
	v_max_f32_e32 v20, v10, v10
	s_waitcnt vmcnt(0)
	v_max_f32_e32 v4, v5, v5
	v_max_f32_e32 v4, v20, v4
	v_sub_f32_e32 v10, v10, v4
	v_mul_f32_e32 v20, 0x3fb8aa3b, v10
	v_fma_f32 v21, v10, s85, -v20
	v_rndne_f32_e32 v23, v20
	v_fmac_f32_e32 v21, 0x32a5705f, v10
	v_sub_f32_e32 v20, v20, v23
	v_add_f32_e32 v20, v20, v21
	v_exp_f32_e32 v20, v20
	v_cvt_i32_f32_e32 v21, v23
	v_cmp_ngt_f32_e32 vcc, s30, v10
	v_sub_f32_e32 v5, v5, v4
	v_ldexp_f32 v20, v20, v21
	v_cndmask_b32_e32 v20, 0, v20, vcc
	v_cmp_nlt_f32_e32 vcc, s99, v10
	v_cndmask_b32_e32 v20, v241, v20, vcc
	v_cmp_le_f32_e32 vcc, s87, v10
	v_cndmask_b32_e32 v10, 0, v20, vcc
	v_cvt_f16_f32_e32 v20, v10
	v_cmp_ngt_f32_e32 vcc, s30, v5
	v_pk_mul_f16 v6, v20, v6 op_sel_hi:[0,1]
	v_pk_mul_f16 v1, v20, v1 op_sel_hi:[0,1]
	;; [unrolled: 1-line block ×14, first 2 shown]
	v_mul_f32_e32 v20, 0x3fb8aa3b, v5
	v_fma_f32 v21, v5, s85, -v20
	v_rndne_f32_e32 v23, v20
	v_fmac_f32_e32 v21, 0x32a5705f, v5
	v_sub_f32_e32 v20, v20, v23
	v_add_f32_e32 v20, v20, v21
	v_exp_f32_e32 v20, v20
	v_cvt_i32_f32_e32 v21, v23
	v_ldexp_f32 v20, v20, v21
	v_cndmask_b32_e32 v20, 0, v20, vcc
	v_cmp_nlt_f32_e32 vcc, s99, v5
	v_cndmask_b32_e32 v5, v241, v20, vcc
	v_fmac_f32_e32 v5, v11, v10
	v_pk_mov_b32 v[10:11], v[4:5], v[4:5] op_sel:[0,1]
.LBB19_217:                             ;   in Loop: Header=BB19_14 Depth=1
	s_or_b64 exec, exec, s[40:41]
	s_mov_b64 s[8:9], exec
	v_readlane_b32 s40, v255, 1
	v_readlane_b32 s41, v255, 2
	s_and_b64 s[40:41], s[8:9], s[40:41]
	s_mov_b64 exec, s[40:41]
	s_cbranch_execz .LBB19_219
; %bb.218:                              ;   in Loop: Header=BB19_14 Depth=1
	v_add_u32_e32 v4, 0, v171
	ds_write2_b32 v4, v10, v11 offset0:56 offset1:57
.LBB19_219:                             ;   in Loop: Header=BB19_14 Depth=1
	s_or_b64 exec, exec, s[8:9]
	s_waitcnt lgkmcnt(0)
	s_barrier
	s_mov_b64 s[8:9], exec
	v_readlane_b32 s40, v254, 63
	v_readlane_b32 s41, v255, 0
	s_and_b64 s[40:41], s[8:9], s[40:41]
	s_xor_b64 s[8:9], s[40:41], s[8:9]
	s_mov_b64 exec, s[40:41]
	s_cbranch_execz .LBB19_221
; %bb.220:                              ;   in Loop: Header=BB19_14 Depth=1
	s_barrier
	s_waitcnt lgkmcnt(0)
                                        ; implicit-def: $vgpr19
.LBB19_221:                             ;   in Loop: Header=BB19_14 Depth=1
	s_andn2_saveexec_b64 s[8:9], s[8:9]
	s_cbranch_execz .LBB19_225
; %bb.222:                              ;   in Loop: Header=BB19_14 Depth=1
	v_add_u32_e32 v10, 0, v172
	ds_read_b64 v[4:5], v10 offset:224
	s_waitcnt lgkmcnt(0)
	s_barrier
	ds_bpermute_b32 v11, v19, v4
	v_max_f32_e32 v20, v4, v4
	s_waitcnt lgkmcnt(0)
	v_max_f32_e32 v11, v11, v11
	v_max_f32_e32 v11, v20, v11
	v_sub_f32_e32 v4, v4, v11
	v_mul_f32_e32 v11, 0x3fb8aa3b, v4
	v_fma_f32 v20, v4, s85, -v11
	v_rndne_f32_e32 v21, v11
	v_fmac_f32_e32 v20, 0x32a5705f, v4
	v_sub_f32_e32 v11, v11, v21
	v_add_f32_e32 v11, v11, v20
	v_cvt_i32_f32_e32 v21, v21
	v_exp_f32_e32 v11, v11
	v_cmp_ngt_f32_e32 vcc, s30, v4
	v_ldexp_f32 v11, v11, v21
	v_cndmask_b32_e32 v11, 0, v11, vcc
	v_cmp_nlt_f32_e32 vcc, s99, v4
	v_cndmask_b32_e32 v4, v241, v11, vcc
	v_mul_f32_e32 v5, v5, v4
	ds_bpermute_b32 v11, v19, v5
	s_mov_b64 s[40:41], exec
	v_readlane_b32 s42, v255, 3
	v_readlane_b32 s43, v255, 4
	s_and_b64 s[42:43], s[40:41], s[42:43]
	s_mov_b64 exec, s[42:43]
	s_cbranch_execz .LBB19_224
; %bb.223:                              ;   in Loop: Header=BB19_14 Depth=1
	s_waitcnt lgkmcnt(0)
	v_add_f32_e32 v5, v5, v11
	ds_write_b64 v10, v[4:5] offset:224
.LBB19_224:                             ;   in Loop: Header=BB19_14 Depth=1
	s_or_b64 exec, exec, s[40:41]
.LBB19_225:                             ;   in Loop: Header=BB19_14 Depth=1
	s_or_b64 exec, exec, s[8:9]
	ds_write2_b32 v173, v6, v1 offset1:1
	ds_write2_b32 v173, v8, v7 offset0:8 offset1:9
	ds_write2_b32 v173, v12, v9 offset0:16 offset1:17
	;; [unrolled: 1-line block ×6, first 2 shown]
	s_waitcnt lgkmcnt(0)
	s_barrier
	s_and_saveexec_b64 s[8:9], s[46:47]
	s_cbranch_execz .LBB19_12
; %bb.226:                              ;   in Loop: Header=BB19_14 Depth=1
	v_add_u32_e32 v2, s68, v174
	v_cmp_gt_i32_e32 vcc, s76, v2
	v_mov_b32_e32 v1, 0x47
	s_and_saveexec_b64 s[40:41], vcc
	s_cbranch_execz .LBB19_228
; %bb.227:                              ;   in Loop: Header=BB19_14 Depth=1
	v_add_u32_e32 v1, 0, v183
	ds_read2_b32 v[4:5], v1 offset0:56 offset1:57
	ds_read2st64_b32 v[6:7], v184 offset1:15
	ds_read_b32 v8, v1 offset:4064
	v_readlane_b32 s31, v255, 6
	v_mad_u64_u32 v[2:3], s[42:43], v2, s31, v[24:25]
	s_waitcnt lgkmcnt(1)
	v_cvt_f32_f16_sdwa v11, v6 dst_sel:DWORD dst_unused:UNUSED_PAD src0_sel:WORD_1
	v_cvt_f32_f16_e32 v10, v6
	v_cvt_f32_f16_sdwa v13, v7 dst_sel:DWORD dst_unused:UNUSED_PAD src0_sel:WORD_1
	v_cvt_f32_f16_e32 v12, v7
	v_ashrrev_i32_e32 v3, 31, v2
	v_lshlrev_b64 v[2:3], 3, v[2:3]
	v_pk_fma_f32 v[10:11], v[4:5], v[10:11], 0 op_sel_hi:[0,1,0]
	v_add_co_u32_e32 v2, vcc, s82, v2
	v_mov_b32_e32 v1, s83
	s_waitcnt lgkmcnt(0)
	v_pk_fma_f32 v[6:7], v[8:9], v[12:13], v[10:11] op_sel_hi:[0,1,1]
	v_addc_co_u32_e32 v3, vcc, v1, v3, vcc
	v_div_scale_f32 v1, s[42:43], v5, v5, v7
	v_rcp_f32_e32 v4, v1
	v_fma_f32 v8, -v1, v4, 1.0
	v_fmac_f32_e32 v4, v8, v4
	v_div_scale_f32 v8, vcc, v7, v5, v7
	v_mul_f32_e32 v9, v8, v4
	v_fma_f32 v10, -v1, v9, v8
	v_fmac_f32_e32 v9, v10, v4
	v_fma_f32 v1, -v1, v9, v8
	v_div_fmas_f32 v1, v1, v4, v9
	v_div_fixup_f32 v7, v1, v5, v7
	v_div_scale_f32 v1, s[42:43], v5, v5, v6
	v_rcp_f32_e32 v4, v1
	v_fma_f32 v8, -v1, v4, 1.0
	v_fmac_f32_e32 v4, v8, v4
	v_div_scale_f32 v8, vcc, v6, v5, v6
	v_mul_f32_e32 v9, v8, v4
	v_fma_f32 v10, -v1, v9, v8
	v_fmac_f32_e32 v9, v10, v4
	v_fma_f32 v1, -v1, v9, v8
	v_div_fmas_f32 v1, v1, v4, v9
	v_div_fixup_f32 v6, v1, v5, v6
	v_mov_b32_e32 v1, 0
	global_store_dwordx2 v[2:3], v[6:7], off
.LBB19_228:                             ;   in Loop: Header=BB19_14 Depth=1
	s_or_b64 exec, exec, s[40:41]
	s_movk_i32 s31, 0x47
	v_cmp_gt_i32_e32 vcc, s31, v1
	s_mov_b64 s[42:43], -1
	s_and_saveexec_b64 s[40:41], vcc
; %bb.229:                              ;   in Loop: Header=BB19_14 Depth=1
	v_cmp_eq_u32_e32 vcc, 0, v1
	s_orn2_b64 s[42:43], vcc, exec
; %bb.230:                              ;   in Loop: Header=BB19_14 Depth=1
	s_or_b64 exec, exec, s[40:41]
	s_and_saveexec_b64 s[40:41], s[42:43]
	s_cbranch_execz .LBB19_263
; %bb.231:                              ;   in Loop: Header=BB19_14 Depth=1
	v_add_u32_e32 v2, s68, v185
	v_cmp_gt_i32_e32 vcc, s76, v2
	v_mov_b32_e32 v1, 0x47
	s_and_saveexec_b64 s[42:43], vcc
	s_cbranch_execz .LBB19_233
; %bb.232:                              ;   in Loop: Header=BB19_14 Depth=1
	v_add_u32_e32 v1, 0, v186
	ds_read2_b32 v[4:5], v1 offset0:56 offset1:57
	ds_read2st64_b32 v[6:7], v187 offset1:15
	ds_read_b32 v8, v1 offset:4064
	v_readlane_b32 s31, v255, 6
	v_mad_u64_u32 v[2:3], s[44:45], v2, s31, v[24:25]
	s_waitcnt lgkmcnt(1)
	v_cvt_f32_f16_sdwa v11, v6 dst_sel:DWORD dst_unused:UNUSED_PAD src0_sel:WORD_1
	v_cvt_f32_f16_e32 v10, v6
	v_cvt_f32_f16_sdwa v13, v7 dst_sel:DWORD dst_unused:UNUSED_PAD src0_sel:WORD_1
	v_cvt_f32_f16_e32 v12, v7
	v_ashrrev_i32_e32 v3, 31, v2
	v_lshlrev_b64 v[2:3], 3, v[2:3]
	v_pk_fma_f32 v[10:11], v[4:5], v[10:11], 0 op_sel_hi:[0,1,0]
	v_add_co_u32_e32 v2, vcc, s82, v2
	v_mov_b32_e32 v1, s83
	s_waitcnt lgkmcnt(0)
	v_pk_fma_f32 v[6:7], v[8:9], v[12:13], v[10:11] op_sel_hi:[0,1,1]
	v_addc_co_u32_e32 v3, vcc, v1, v3, vcc
	v_div_scale_f32 v1, s[44:45], v5, v5, v7
	v_rcp_f32_e32 v4, v1
	v_fma_f32 v8, -v1, v4, 1.0
	v_fmac_f32_e32 v4, v8, v4
	v_div_scale_f32 v8, vcc, v7, v5, v7
	v_mul_f32_e32 v9, v8, v4
	v_fma_f32 v10, -v1, v9, v8
	v_fmac_f32_e32 v9, v10, v4
	v_fma_f32 v1, -v1, v9, v8
	v_div_fmas_f32 v1, v1, v4, v9
	v_div_fixup_f32 v7, v1, v5, v7
	v_div_scale_f32 v1, s[44:45], v5, v5, v6
	v_rcp_f32_e32 v4, v1
	v_fma_f32 v8, -v1, v4, 1.0
	v_fmac_f32_e32 v4, v8, v4
	v_div_scale_f32 v8, vcc, v6, v5, v6
	v_mul_f32_e32 v9, v8, v4
	v_fma_f32 v10, -v1, v9, v8
	v_fmac_f32_e32 v9, v10, v4
	v_fma_f32 v1, -v1, v9, v8
	v_div_fmas_f32 v1, v1, v4, v9
	v_div_fixup_f32 v6, v1, v5, v6
	v_mov_b32_e32 v1, 0
	global_store_dwordx2 v[2:3], v[6:7], off
.LBB19_233:                             ;   in Loop: Header=BB19_14 Depth=1
	s_or_b64 exec, exec, s[42:43]
	s_movk_i32 s31, 0x47
	v_cmp_gt_i32_e32 vcc, s31, v1
	s_mov_b64 s[42:43], -1
	s_and_saveexec_b64 s[44:45], vcc
; %bb.234:                              ;   in Loop: Header=BB19_14 Depth=1
	v_cmp_eq_u32_e32 vcc, 0, v1
	s_orn2_b64 s[42:43], vcc, exec
; %bb.235:                              ;   in Loop: Header=BB19_14 Depth=1
	s_or_b64 exec, exec, s[44:45]
	s_and_b64 exec, exec, s[42:43]
	s_cbranch_execz .LBB19_263
; %bb.236:                              ;   in Loop: Header=BB19_14 Depth=1
	v_add_u32_e32 v2, s68, v188
	v_cmp_gt_i32_e32 vcc, s76, v2
	v_mov_b32_e32 v1, 0x47
	s_and_saveexec_b64 s[42:43], vcc
	s_cbranch_execz .LBB19_238
; %bb.237:                              ;   in Loop: Header=BB19_14 Depth=1
	v_add_u32_e32 v1, 0, v189
	ds_read2_b32 v[4:5], v1 offset0:56 offset1:57
	ds_read2st64_b32 v[6:7], v190 offset1:15
	ds_read_b32 v8, v1 offset:4064
	v_readlane_b32 s31, v255, 6
	v_mad_u64_u32 v[2:3], s[44:45], v2, s31, v[24:25]
	s_waitcnt lgkmcnt(1)
	v_cvt_f32_f16_sdwa v11, v6 dst_sel:DWORD dst_unused:UNUSED_PAD src0_sel:WORD_1
	v_cvt_f32_f16_e32 v10, v6
	v_cvt_f32_f16_sdwa v13, v7 dst_sel:DWORD dst_unused:UNUSED_PAD src0_sel:WORD_1
	v_cvt_f32_f16_e32 v12, v7
	v_ashrrev_i32_e32 v3, 31, v2
	v_lshlrev_b64 v[2:3], 3, v[2:3]
	v_pk_fma_f32 v[10:11], v[4:5], v[10:11], 0 op_sel_hi:[0,1,0]
	v_add_co_u32_e32 v2, vcc, s82, v2
	v_mov_b32_e32 v1, s83
	s_waitcnt lgkmcnt(0)
	v_pk_fma_f32 v[6:7], v[8:9], v[12:13], v[10:11] op_sel_hi:[0,1,1]
	v_addc_co_u32_e32 v3, vcc, v1, v3, vcc
	v_div_scale_f32 v1, s[44:45], v5, v5, v7
	v_rcp_f32_e32 v4, v1
	v_fma_f32 v8, -v1, v4, 1.0
	v_fmac_f32_e32 v4, v8, v4
	v_div_scale_f32 v8, vcc, v7, v5, v7
	v_mul_f32_e32 v9, v8, v4
	v_fma_f32 v10, -v1, v9, v8
	v_fmac_f32_e32 v9, v10, v4
	v_fma_f32 v1, -v1, v9, v8
	v_div_fmas_f32 v1, v1, v4, v9
	v_div_fixup_f32 v7, v1, v5, v7
	v_div_scale_f32 v1, s[44:45], v5, v5, v6
	v_rcp_f32_e32 v4, v1
	v_fma_f32 v8, -v1, v4, 1.0
	v_fmac_f32_e32 v4, v8, v4
	v_div_scale_f32 v8, vcc, v6, v5, v6
	v_mul_f32_e32 v9, v8, v4
	v_fma_f32 v10, -v1, v9, v8
	v_fmac_f32_e32 v9, v10, v4
	v_fma_f32 v1, -v1, v9, v8
	v_div_fmas_f32 v1, v1, v4, v9
	v_div_fixup_f32 v6, v1, v5, v6
	v_mov_b32_e32 v1, 0
	global_store_dwordx2 v[2:3], v[6:7], off
.LBB19_238:                             ;   in Loop: Header=BB19_14 Depth=1
	s_or_b64 exec, exec, s[42:43]
	s_movk_i32 s31, 0x47
	v_cmp_gt_i32_e32 vcc, s31, v1
	s_mov_b64 s[42:43], -1
	s_and_saveexec_b64 s[44:45], vcc
; %bb.239:                              ;   in Loop: Header=BB19_14 Depth=1
	v_cmp_eq_u32_e32 vcc, 0, v1
	s_orn2_b64 s[42:43], vcc, exec
; %bb.240:                              ;   in Loop: Header=BB19_14 Depth=1
	s_or_b64 exec, exec, s[44:45]
	s_and_b64 exec, exec, s[42:43]
	;; [unrolled: 63-line block ×3, first 2 shown]
	s_cbranch_execz .LBB19_263
; %bb.246:                              ;   in Loop: Header=BB19_14 Depth=1
	v_add_u32_e32 v2, s68, v202
	v_cmp_gt_i32_e32 vcc, s76, v2
	v_mov_b32_e32 v1, 0x47
	s_and_saveexec_b64 s[42:43], vcc
	s_cbranch_execz .LBB19_248
; %bb.247:                              ;   in Loop: Header=BB19_14 Depth=1
	buffer_load_dword v1, off, s[0:3], 0 offset:16 ; 4-byte Folded Reload
	v_readlane_b32 s31, v255, 6
	v_mad_u64_u32 v[2:3], s[44:45], v2, s31, v[24:25]
	v_ashrrev_i32_e32 v3, 31, v2
	v_lshlrev_b64 v[2:3], 3, v[2:3]
	v_add_co_u32_e32 v2, vcc, s82, v2
	s_waitcnt vmcnt(0)
	v_add_u32_e32 v1, 0, v1
	ds_read2_b32 v[4:5], v1 offset0:56 offset1:57
	ds_read2st64_b32 v[6:7], v196 offset1:15
	ds_read_b32 v8, v1 offset:4064
	v_mov_b32_e32 v1, s83
	v_addc_co_u32_e32 v3, vcc, v1, v3, vcc
	s_waitcnt lgkmcnt(1)
	v_cvt_f32_f16_sdwa v11, v6 dst_sel:DWORD dst_unused:UNUSED_PAD src0_sel:WORD_1
	v_cvt_f32_f16_e32 v10, v6
	v_cvt_f32_f16_sdwa v13, v7 dst_sel:DWORD dst_unused:UNUSED_PAD src0_sel:WORD_1
	v_cvt_f32_f16_e32 v12, v7
	v_pk_fma_f32 v[10:11], v[4:5], v[10:11], 0 op_sel_hi:[0,1,0]
	s_waitcnt lgkmcnt(0)
	v_pk_fma_f32 v[6:7], v[8:9], v[12:13], v[10:11] op_sel_hi:[0,1,1]
	v_div_scale_f32 v1, s[44:45], v5, v5, v7
	v_rcp_f32_e32 v4, v1
	v_fma_f32 v8, -v1, v4, 1.0
	v_fmac_f32_e32 v4, v8, v4
	v_div_scale_f32 v8, vcc, v7, v5, v7
	v_mul_f32_e32 v9, v8, v4
	v_fma_f32 v10, -v1, v9, v8
	v_fmac_f32_e32 v9, v10, v4
	v_fma_f32 v1, -v1, v9, v8
	v_div_fmas_f32 v1, v1, v4, v9
	v_div_fixup_f32 v7, v1, v5, v7
	v_div_scale_f32 v1, s[44:45], v5, v5, v6
	v_rcp_f32_e32 v4, v1
	v_fma_f32 v8, -v1, v4, 1.0
	v_fmac_f32_e32 v4, v8, v4
	v_div_scale_f32 v8, vcc, v6, v5, v6
	v_mul_f32_e32 v9, v8, v4
	v_fma_f32 v10, -v1, v9, v8
	v_fmac_f32_e32 v9, v10, v4
	v_fma_f32 v1, -v1, v9, v8
	v_div_fmas_f32 v1, v1, v4, v9
	v_div_fixup_f32 v6, v1, v5, v6
	v_mov_b32_e32 v1, 0
	global_store_dwordx2 v[2:3], v[6:7], off
.LBB19_248:                             ;   in Loop: Header=BB19_14 Depth=1
	s_or_b64 exec, exec, s[42:43]
	s_movk_i32 s31, 0x47
	v_cmp_gt_i32_e32 vcc, s31, v1
	s_mov_b64 s[42:43], -1
	s_and_saveexec_b64 s[44:45], vcc
; %bb.249:                              ;   in Loop: Header=BB19_14 Depth=1
	v_cmp_eq_u32_e32 vcc, 0, v1
	s_orn2_b64 s[42:43], vcc, exec
; %bb.250:                              ;   in Loop: Header=BB19_14 Depth=1
	s_or_b64 exec, exec, s[44:45]
	s_and_b64 exec, exec, s[42:43]
	s_cbranch_execz .LBB19_263
; %bb.251:                              ;   in Loop: Header=BB19_14 Depth=1
	v_add_u32_e32 v2, s68, v197
	v_cmp_gt_i32_e32 vcc, s76, v2
	v_mov_b32_e32 v1, 0x47
	s_and_saveexec_b64 s[42:43], vcc
	s_cbranch_execz .LBB19_253
; %bb.252:                              ;   in Loop: Header=BB19_14 Depth=1
	buffer_load_dword v1, off, s[0:3], 0 offset:20 ; 4-byte Folded Reload
	buffer_load_dword v3, off, s[0:3], 0 offset:24 ; 4-byte Folded Reload
	v_readlane_b32 s31, v255, 6
	s_waitcnt vmcnt(1)
	v_add_u32_e32 v1, 0, v1
	ds_read2_b32 v[4:5], v1 offset0:56 offset1:57
	s_waitcnt vmcnt(0)
	ds_read2st64_b32 v[6:7], v3 offset1:15
	ds_read_b32 v8, v1 offset:4064
	v_mad_u64_u32 v[2:3], s[44:45], v2, s31, v[24:25]
	v_ashrrev_i32_e32 v3, 31, v2
	s_waitcnt lgkmcnt(1)
	v_cvt_f32_f16_sdwa v11, v6 dst_sel:DWORD dst_unused:UNUSED_PAD src0_sel:WORD_1
	v_cvt_f32_f16_e32 v10, v6
	v_cvt_f32_f16_sdwa v13, v7 dst_sel:DWORD dst_unused:UNUSED_PAD src0_sel:WORD_1
	v_cvt_f32_f16_e32 v12, v7
	v_lshlrev_b64 v[2:3], 3, v[2:3]
	v_pk_fma_f32 v[10:11], v[4:5], v[10:11], 0 op_sel_hi:[0,1,0]
	v_add_co_u32_e32 v2, vcc, s82, v2
	v_mov_b32_e32 v1, s83
	s_waitcnt lgkmcnt(0)
	v_pk_fma_f32 v[6:7], v[8:9], v[12:13], v[10:11] op_sel_hi:[0,1,1]
	v_addc_co_u32_e32 v3, vcc, v1, v3, vcc
	v_div_scale_f32 v1, s[44:45], v5, v5, v7
	v_rcp_f32_e32 v4, v1
	v_fma_f32 v8, -v1, v4, 1.0
	v_fmac_f32_e32 v4, v8, v4
	v_div_scale_f32 v8, vcc, v7, v5, v7
	v_mul_f32_e32 v9, v8, v4
	v_fma_f32 v10, -v1, v9, v8
	v_fmac_f32_e32 v9, v10, v4
	v_fma_f32 v1, -v1, v9, v8
	v_div_fmas_f32 v1, v1, v4, v9
	v_div_fixup_f32 v7, v1, v5, v7
	v_div_scale_f32 v1, s[44:45], v5, v5, v6
	v_rcp_f32_e32 v4, v1
	v_fma_f32 v8, -v1, v4, 1.0
	v_fmac_f32_e32 v4, v8, v4
	v_div_scale_f32 v8, vcc, v6, v5, v6
	v_mul_f32_e32 v9, v8, v4
	v_fma_f32 v10, -v1, v9, v8
	v_fmac_f32_e32 v9, v10, v4
	v_fma_f32 v1, -v1, v9, v8
	v_div_fmas_f32 v1, v1, v4, v9
	v_div_fixup_f32 v6, v1, v5, v6
	v_mov_b32_e32 v1, 0
	global_store_dwordx2 v[2:3], v[6:7], off
.LBB19_253:                             ;   in Loop: Header=BB19_14 Depth=1
	s_or_b64 exec, exec, s[42:43]
	s_movk_i32 s31, 0x47
	v_cmp_gt_i32_e32 vcc, s31, v1
	s_mov_b64 s[42:43], -1
	s_and_saveexec_b64 s[44:45], vcc
; %bb.254:                              ;   in Loop: Header=BB19_14 Depth=1
	v_cmp_eq_u32_e32 vcc, 0, v1
	s_orn2_b64 s[42:43], vcc, exec
; %bb.255:                              ;   in Loop: Header=BB19_14 Depth=1
	s_or_b64 exec, exec, s[44:45]
	s_and_b64 exec, exec, s[42:43]
	s_cbranch_execz .LBB19_263
; %bb.256:                              ;   in Loop: Header=BB19_14 Depth=1
	v_add_u32_e32 v2, s68, v200
	v_cmp_gt_i32_e32 vcc, s76, v2
	v_mov_b32_e32 v1, 0x47
	s_and_saveexec_b64 s[42:43], vcc
	s_cbranch_execz .LBB19_258
; %bb.257:                              ;   in Loop: Header=BB19_14 Depth=1
	buffer_load_dword v1, off, s[0:3], 0 offset:28 ; 4-byte Folded Reload
	buffer_load_dword v3, off, s[0:3], 0 offset:32 ; 4-byte Folded Reload
	v_readlane_b32 s31, v255, 6
	s_waitcnt vmcnt(1)
	v_add_u32_e32 v1, 0, v1
	ds_read2_b32 v[4:5], v1 offset0:56 offset1:57
	s_waitcnt vmcnt(0)
	ds_read2st64_b32 v[6:7], v3 offset1:15
	ds_read_b32 v8, v1 offset:4064
	v_mad_u64_u32 v[2:3], s[44:45], v2, s31, v[24:25]
	v_ashrrev_i32_e32 v3, 31, v2
	s_waitcnt lgkmcnt(1)
	v_cvt_f32_f16_sdwa v11, v6 dst_sel:DWORD dst_unused:UNUSED_PAD src0_sel:WORD_1
	v_cvt_f32_f16_e32 v10, v6
	v_cvt_f32_f16_sdwa v13, v7 dst_sel:DWORD dst_unused:UNUSED_PAD src0_sel:WORD_1
	v_cvt_f32_f16_e32 v12, v7
	v_lshlrev_b64 v[2:3], 3, v[2:3]
	v_pk_fma_f32 v[10:11], v[4:5], v[10:11], 0 op_sel_hi:[0,1,0]
	v_add_co_u32_e32 v2, vcc, s82, v2
	v_mov_b32_e32 v1, s83
	s_waitcnt lgkmcnt(0)
	v_pk_fma_f32 v[6:7], v[8:9], v[12:13], v[10:11] op_sel_hi:[0,1,1]
	v_addc_co_u32_e32 v3, vcc, v1, v3, vcc
	v_div_scale_f32 v1, s[44:45], v5, v5, v7
	v_rcp_f32_e32 v4, v1
	v_fma_f32 v8, -v1, v4, 1.0
	v_fmac_f32_e32 v4, v8, v4
	v_div_scale_f32 v8, vcc, v7, v5, v7
	v_mul_f32_e32 v9, v8, v4
	v_fma_f32 v10, -v1, v9, v8
	v_fmac_f32_e32 v9, v10, v4
	v_fma_f32 v1, -v1, v9, v8
	v_div_fmas_f32 v1, v1, v4, v9
	v_div_fixup_f32 v7, v1, v5, v7
	v_div_scale_f32 v1, s[44:45], v5, v5, v6
	v_rcp_f32_e32 v4, v1
	v_fma_f32 v8, -v1, v4, 1.0
	v_fmac_f32_e32 v4, v8, v4
	v_div_scale_f32 v8, vcc, v6, v5, v6
	v_mul_f32_e32 v9, v8, v4
	v_fma_f32 v10, -v1, v9, v8
	v_fmac_f32_e32 v9, v10, v4
	v_fma_f32 v1, -v1, v9, v8
	v_div_fmas_f32 v1, v1, v4, v9
	v_div_fixup_f32 v6, v1, v5, v6
	v_mov_b32_e32 v1, 0
	global_store_dwordx2 v[2:3], v[6:7], off
.LBB19_258:                             ;   in Loop: Header=BB19_14 Depth=1
	s_or_b64 exec, exec, s[42:43]
	s_movk_i32 s31, 0x47
	v_cmp_gt_i32_e32 vcc, s31, v1
	s_mov_b64 s[42:43], -1
	s_and_saveexec_b64 s[44:45], vcc
; %bb.259:                              ;   in Loop: Header=BB19_14 Depth=1
	v_cmp_eq_u32_e32 vcc, 0, v1
	s_orn2_b64 s[42:43], vcc, exec
; %bb.260:                              ;   in Loop: Header=BB19_14 Depth=1
	s_or_b64 exec, exec, s[44:45]
	s_and_b64 exec, exec, s[42:43]
	s_cbranch_execz .LBB19_263
; %bb.261:                              ;   in Loop: Header=BB19_14 Depth=1
	v_add_u32_e32 v1, s68, v203
	v_cmp_gt_i32_e32 vcc, s76, v1
	s_and_b64 exec, exec, vcc
	s_cbranch_execz .LBB19_263
; %bb.262:                              ;   in Loop: Header=BB19_14 Depth=1
	buffer_load_dword v2, off, s[0:3], 0 offset:36 ; 4-byte Folded Reload
	buffer_load_dword v4, off, s[0:3], 0 offset:40 ; 4-byte Folded Reload
	v_readlane_b32 s31, v255, 6
	v_mad_u64_u32 v[8:9], s[42:43], v1, s31, v[24:25]
	v_ashrrev_i32_e32 v9, 31, v8
	v_lshlrev_b64 v[8:9], 3, v[8:9]
	v_add_co_u32_e32 v8, vcc, s82, v8
	v_mov_b32_e32 v1, s83
	v_addc_co_u32_e32 v9, vcc, v1, v9, vcc
	s_waitcnt vmcnt(1)
	v_add_u32_e32 v6, 0, v2
	ds_read2_b32 v[2:3], v6 offset0:56 offset1:57
	s_waitcnt vmcnt(0)
	ds_read2st64_b32 v[4:5], v4 offset1:15
	ds_read_b32 v6, v6 offset:4064
	s_waitcnt lgkmcnt(1)
	v_cvt_f32_f16_sdwa v11, v4 dst_sel:DWORD dst_unused:UNUSED_PAD src0_sel:WORD_1
	v_cvt_f32_f16_e32 v10, v4
	v_cvt_f32_f16_sdwa v13, v5 dst_sel:DWORD dst_unused:UNUSED_PAD src0_sel:WORD_1
	v_cvt_f32_f16_e32 v12, v5
	v_pk_fma_f32 v[10:11], v[2:3], v[10:11], 0 op_sel_hi:[0,1,0]
	s_waitcnt lgkmcnt(0)
	v_pk_fma_f32 v[4:5], v[6:7], v[12:13], v[10:11] op_sel_hi:[0,1,1]
	v_div_scale_f32 v1, s[42:43], v3, v3, v5
	v_rcp_f32_e32 v2, v1
	v_fma_f32 v6, -v1, v2, 1.0
	v_fmac_f32_e32 v2, v6, v2
	v_div_scale_f32 v6, vcc, v5, v3, v5
	v_mul_f32_e32 v7, v6, v2
	v_fma_f32 v10, -v1, v7, v6
	v_fmac_f32_e32 v7, v10, v2
	v_fma_f32 v1, -v1, v7, v6
	v_div_fmas_f32 v1, v1, v2, v7
	v_div_fixup_f32 v5, v1, v3, v5
	v_div_scale_f32 v1, s[42:43], v3, v3, v4
	v_rcp_f32_e32 v2, v1
	v_fma_f32 v6, -v1, v2, 1.0
	v_fmac_f32_e32 v2, v6, v2
	v_div_scale_f32 v6, vcc, v4, v3, v4
	v_mul_f32_e32 v7, v6, v2
	v_fma_f32 v10, -v1, v7, v6
	v_fmac_f32_e32 v7, v10, v2
	v_fma_f32 v1, -v1, v7, v6
	v_div_fmas_f32 v1, v1, v2, v7
	v_div_fixup_f32 v4, v1, v3, v4
	global_store_dwordx2 v[8:9], v[4:5], off
.LBB19_263:                             ;   in Loop: Header=BB19_14 Depth=1
	s_or_b64 exec, exec, s[40:41]
	v_add_u32_e32 v2, s68, v175
	v_cmp_gt_i32_e32 vcc, s76, v2
	v_mov_b32_e32 v1, 0x47
	s_and_saveexec_b64 s[40:41], vcc
	s_cbranch_execz .LBB19_265
; %bb.264:                              ;   in Loop: Header=BB19_14 Depth=1
	v_readlane_b32 s31, v255, 6
	v_add_u32_e32 v6, 0, v206
	v_add_u32_e32 v4, 0x80, v207
	v_mul_lo_u32 v1, v2, s31
	ds_read2_b32 v[2:3], v6 offset0:56 offset1:57
	ds_read2st64_b32 v[4:5], v4 offset1:15
	ds_read_b32 v6, v6 offset:4064
	v_ashrrev_i32_e32 v7, 31, v1
	v_add_co_u32_e32 v8, vcc, v1, v26
	s_waitcnt lgkmcnt(1)
	v_cvt_f32_f16_sdwa v11, v4 dst_sel:DWORD dst_unused:UNUSED_PAD src0_sel:WORD_1
	v_cvt_f32_f16_e32 v10, v4
	v_cvt_f32_f16_sdwa v13, v5 dst_sel:DWORD dst_unused:UNUSED_PAD src0_sel:WORD_1
	v_cvt_f32_f16_e32 v12, v5
	v_addc_co_u32_e32 v9, vcc, 0, v7, vcc
	v_lshlrev_b64 v[8:9], 3, v[8:9]
	v_pk_fma_f32 v[10:11], v[2:3], v[10:11], 0 op_sel_hi:[0,1,0]
	v_add_co_u32_e32 v8, vcc, s82, v8
	v_mov_b32_e32 v1, s83
	s_waitcnt lgkmcnt(0)
	v_pk_fma_f32 v[4:5], v[6:7], v[12:13], v[10:11] op_sel_hi:[0,1,1]
	v_addc_co_u32_e32 v9, vcc, v1, v9, vcc
	v_div_scale_f32 v1, s[42:43], v3, v3, v5
	v_rcp_f32_e32 v2, v1
	v_fma_f32 v6, -v1, v2, 1.0
	v_fmac_f32_e32 v2, v6, v2
	v_div_scale_f32 v6, vcc, v5, v3, v5
	v_mul_f32_e32 v7, v6, v2
	v_fma_f32 v10, -v1, v7, v6
	v_fmac_f32_e32 v7, v10, v2
	v_fma_f32 v1, -v1, v7, v6
	v_div_fmas_f32 v1, v1, v2, v7
	v_div_fixup_f32 v5, v1, v3, v5
	v_div_scale_f32 v1, s[42:43], v3, v3, v4
	v_rcp_f32_e32 v2, v1
	v_fma_f32 v6, -v1, v2, 1.0
	v_fmac_f32_e32 v2, v6, v2
	v_div_scale_f32 v6, vcc, v4, v3, v4
	v_mul_f32_e32 v7, v6, v2
	v_fma_f32 v10, -v1, v7, v6
	v_fmac_f32_e32 v7, v10, v2
	v_fma_f32 v1, -v1, v7, v6
	v_div_fmas_f32 v1, v1, v2, v7
	v_div_fixup_f32 v4, v1, v3, v4
	v_mov_b32_e32 v1, 0
	global_store_dwordx2 v[8:9], v[4:5], off offset:256
.LBB19_265:                             ;   in Loop: Header=BB19_14 Depth=1
	s_or_b64 exec, exec, s[40:41]
	s_movk_i32 s31, 0x47
	v_cmp_gt_i32_e32 vcc, s31, v1
	s_mov_b64 s[42:43], -1
	s_and_saveexec_b64 s[40:41], vcc
; %bb.266:                              ;   in Loop: Header=BB19_14 Depth=1
	v_cmp_eq_u32_e32 vcc, 0, v1
	s_orn2_b64 s[42:43], vcc, exec
; %bb.267:                              ;   in Loop: Header=BB19_14 Depth=1
	s_or_b64 exec, exec, s[40:41]
	s_and_saveexec_b64 s[40:41], s[42:43]
	s_cbranch_execz .LBB19_280
; %bb.268:                              ;   in Loop: Header=BB19_14 Depth=1
	v_add_u32_e32 v2, s68, v208
	v_cmp_gt_i32_e32 vcc, s76, v2
	v_mov_b32_e32 v1, 0x47
	s_and_saveexec_b64 s[42:43], vcc
	s_cbranch_execz .LBB19_270
; %bb.269:                              ;   in Loop: Header=BB19_14 Depth=1
	v_readlane_b32 s31, v255, 6
	v_add_u32_e32 v6, 0, v209
	v_add_u32_e32 v4, 0x80, v210
	v_mul_lo_u32 v1, v2, s31
	ds_read2_b32 v[2:3], v6 offset0:56 offset1:57
	ds_read2st64_b32 v[4:5], v4 offset1:15
	ds_read_b32 v6, v6 offset:4064
	v_ashrrev_i32_e32 v7, 31, v1
	v_add_co_u32_e32 v8, vcc, v1, v26
	s_waitcnt lgkmcnt(1)
	v_cvt_f32_f16_sdwa v11, v4 dst_sel:DWORD dst_unused:UNUSED_PAD src0_sel:WORD_1
	v_cvt_f32_f16_e32 v10, v4
	v_cvt_f32_f16_sdwa v13, v5 dst_sel:DWORD dst_unused:UNUSED_PAD src0_sel:WORD_1
	v_cvt_f32_f16_e32 v12, v5
	v_addc_co_u32_e32 v9, vcc, 0, v7, vcc
	v_lshlrev_b64 v[8:9], 3, v[8:9]
	v_pk_fma_f32 v[10:11], v[2:3], v[10:11], 0 op_sel_hi:[0,1,0]
	v_add_co_u32_e32 v8, vcc, s82, v8
	v_mov_b32_e32 v1, s83
	s_waitcnt lgkmcnt(0)
	v_pk_fma_f32 v[4:5], v[6:7], v[12:13], v[10:11] op_sel_hi:[0,1,1]
	v_addc_co_u32_e32 v9, vcc, v1, v9, vcc
	v_div_scale_f32 v1, s[44:45], v3, v3, v5
	v_rcp_f32_e32 v2, v1
	v_fma_f32 v6, -v1, v2, 1.0
	v_fmac_f32_e32 v2, v6, v2
	v_div_scale_f32 v6, vcc, v5, v3, v5
	v_mul_f32_e32 v7, v6, v2
	v_fma_f32 v10, -v1, v7, v6
	v_fmac_f32_e32 v7, v10, v2
	v_fma_f32 v1, -v1, v7, v6
	v_div_fmas_f32 v1, v1, v2, v7
	v_div_fixup_f32 v5, v1, v3, v5
	v_div_scale_f32 v1, s[44:45], v3, v3, v4
	v_rcp_f32_e32 v2, v1
	v_fma_f32 v6, -v1, v2, 1.0
	v_fmac_f32_e32 v2, v6, v2
	v_div_scale_f32 v6, vcc, v4, v3, v4
	v_mul_f32_e32 v7, v6, v2
	v_fma_f32 v10, -v1, v7, v6
	v_fmac_f32_e32 v7, v10, v2
	v_fma_f32 v1, -v1, v7, v6
	v_div_fmas_f32 v1, v1, v2, v7
	v_div_fixup_f32 v4, v1, v3, v4
	v_mov_b32_e32 v1, 0
	global_store_dwordx2 v[8:9], v[4:5], off offset:256
.LBB19_270:                             ;   in Loop: Header=BB19_14 Depth=1
	s_or_b64 exec, exec, s[42:43]
	s_movk_i32 s31, 0x47
	v_cmp_gt_i32_e32 vcc, s31, v1
	s_mov_b64 s[42:43], -1
	s_and_saveexec_b64 s[44:45], vcc
; %bb.271:                              ;   in Loop: Header=BB19_14 Depth=1
	v_cmp_eq_u32_e32 vcc, 0, v1
	s_orn2_b64 s[42:43], vcc, exec
; %bb.272:                              ;   in Loop: Header=BB19_14 Depth=1
	s_or_b64 exec, exec, s[44:45]
	s_and_b64 exec, exec, s[42:43]
	s_cbranch_execz .LBB19_280
; %bb.273:                              ;   in Loop: Header=BB19_14 Depth=1
	v_add_u32_e32 v2, s68, v211
	v_cmp_gt_i32_e32 vcc, s76, v2
	v_mov_b32_e32 v1, 0x47
	s_and_saveexec_b64 s[42:43], vcc
	s_cbranch_execz .LBB19_275
; %bb.274:                              ;   in Loop: Header=BB19_14 Depth=1
	v_readlane_b32 s31, v255, 6
	v_add_u32_e32 v6, 0, v212
	v_add_u32_e32 v4, 0x80, v213
	v_mul_lo_u32 v1, v2, s31
	ds_read2_b32 v[2:3], v6 offset0:56 offset1:57
	ds_read2st64_b32 v[4:5], v4 offset1:15
	ds_read_b32 v6, v6 offset:4064
	v_ashrrev_i32_e32 v7, 31, v1
	v_add_co_u32_e32 v8, vcc, v1, v26
	s_waitcnt lgkmcnt(1)
	v_cvt_f32_f16_sdwa v11, v4 dst_sel:DWORD dst_unused:UNUSED_PAD src0_sel:WORD_1
	v_cvt_f32_f16_e32 v10, v4
	v_cvt_f32_f16_sdwa v13, v5 dst_sel:DWORD dst_unused:UNUSED_PAD src0_sel:WORD_1
	v_cvt_f32_f16_e32 v12, v5
	v_addc_co_u32_e32 v9, vcc, 0, v7, vcc
	v_lshlrev_b64 v[8:9], 3, v[8:9]
	v_pk_fma_f32 v[10:11], v[2:3], v[10:11], 0 op_sel_hi:[0,1,0]
	v_add_co_u32_e32 v8, vcc, s82, v8
	v_mov_b32_e32 v1, s83
	s_waitcnt lgkmcnt(0)
	v_pk_fma_f32 v[4:5], v[6:7], v[12:13], v[10:11] op_sel_hi:[0,1,1]
	v_addc_co_u32_e32 v9, vcc, v1, v9, vcc
	v_div_scale_f32 v1, s[44:45], v3, v3, v5
	v_rcp_f32_e32 v2, v1
	v_fma_f32 v6, -v1, v2, 1.0
	v_fmac_f32_e32 v2, v6, v2
	v_div_scale_f32 v6, vcc, v5, v3, v5
	v_mul_f32_e32 v7, v6, v2
	v_fma_f32 v10, -v1, v7, v6
	v_fmac_f32_e32 v7, v10, v2
	v_fma_f32 v1, -v1, v7, v6
	v_div_fmas_f32 v1, v1, v2, v7
	v_div_fixup_f32 v5, v1, v3, v5
	v_div_scale_f32 v1, s[44:45], v3, v3, v4
	v_rcp_f32_e32 v2, v1
	v_fma_f32 v6, -v1, v2, 1.0
	v_fmac_f32_e32 v2, v6, v2
	v_div_scale_f32 v6, vcc, v4, v3, v4
	v_mul_f32_e32 v7, v6, v2
	v_fma_f32 v10, -v1, v7, v6
	v_fmac_f32_e32 v7, v10, v2
	v_fma_f32 v1, -v1, v7, v6
	v_div_fmas_f32 v1, v1, v2, v7
	v_div_fixup_f32 v4, v1, v3, v4
	v_mov_b32_e32 v1, 0
	global_store_dwordx2 v[8:9], v[4:5], off offset:256
.LBB19_275:                             ;   in Loop: Header=BB19_14 Depth=1
	s_or_b64 exec, exec, s[42:43]
	s_movk_i32 s31, 0x47
	v_cmp_gt_i32_e32 vcc, s31, v1
	s_mov_b64 s[42:43], -1
	s_and_saveexec_b64 s[44:45], vcc
; %bb.276:                              ;   in Loop: Header=BB19_14 Depth=1
	v_cmp_eq_u32_e32 vcc, 0, v1
	s_orn2_b64 s[42:43], vcc, exec
; %bb.277:                              ;   in Loop: Header=BB19_14 Depth=1
	s_or_b64 exec, exec, s[44:45]
	s_and_b64 exec, exec, s[42:43]
	s_cbranch_execz .LBB19_280
; %bb.278:                              ;   in Loop: Header=BB19_14 Depth=1
	v_add_u32_e32 v1, s68, v214
	v_cmp_gt_i32_e32 vcc, s76, v1
	s_and_b64 exec, exec, vcc
	s_cbranch_execz .LBB19_280
; %bb.279:                              ;   in Loop: Header=BB19_14 Depth=1
	v_add_u32_e32 v6, 0, v215
	v_add_u32_e32 v4, 0x80, v216
	ds_read2_b32 v[2:3], v6 offset0:56 offset1:57
	ds_read2st64_b32 v[4:5], v4 offset1:15
	ds_read_b32 v6, v6 offset:4064
	v_readlane_b32 s31, v255, 6
	v_mul_lo_u32 v1, v1, s31
	v_ashrrev_i32_e32 v7, 31, v1
	s_waitcnt lgkmcnt(1)
	v_cvt_f32_f16_sdwa v11, v4 dst_sel:DWORD dst_unused:UNUSED_PAD src0_sel:WORD_1
	v_cvt_f32_f16_e32 v10, v4
	v_cvt_f32_f16_sdwa v13, v5 dst_sel:DWORD dst_unused:UNUSED_PAD src0_sel:WORD_1
	v_cvt_f32_f16_e32 v12, v5
	v_add_co_u32_e32 v8, vcc, v1, v26
	v_addc_co_u32_e32 v9, vcc, 0, v7, vcc
	v_lshlrev_b64 v[8:9], 3, v[8:9]
	v_pk_fma_f32 v[10:11], v[2:3], v[10:11], 0 op_sel_hi:[0,1,0]
	v_add_co_u32_e32 v8, vcc, s82, v8
	v_mov_b32_e32 v1, s83
	s_waitcnt lgkmcnt(0)
	v_pk_fma_f32 v[4:5], v[6:7], v[12:13], v[10:11] op_sel_hi:[0,1,1]
	v_addc_co_u32_e32 v9, vcc, v1, v9, vcc
	v_div_scale_f32 v1, s[42:43], v3, v3, v5
	v_rcp_f32_e32 v2, v1
	v_fma_f32 v6, -v1, v2, 1.0
	v_fmac_f32_e32 v2, v6, v2
	v_div_scale_f32 v6, vcc, v5, v3, v5
	v_mul_f32_e32 v7, v6, v2
	v_fma_f32 v10, -v1, v7, v6
	v_fmac_f32_e32 v7, v10, v2
	v_fma_f32 v1, -v1, v7, v6
	v_div_fmas_f32 v1, v1, v2, v7
	v_div_fixup_f32 v5, v1, v3, v5
	v_div_scale_f32 v1, s[42:43], v3, v3, v4
	v_rcp_f32_e32 v2, v1
	v_fma_f32 v6, -v1, v2, 1.0
	v_fmac_f32_e32 v2, v6, v2
	v_div_scale_f32 v6, vcc, v4, v3, v4
	v_mul_f32_e32 v7, v6, v2
	v_fma_f32 v10, -v1, v7, v6
	v_fmac_f32_e32 v7, v10, v2
	v_fma_f32 v1, -v1, v7, v6
	v_div_fmas_f32 v1, v1, v2, v7
	v_div_fixup_f32 v4, v1, v3, v4
	global_store_dwordx2 v[8:9], v[4:5], off offset:256
.LBB19_280:                             ;   in Loop: Header=BB19_14 Depth=1
	s_or_b64 exec, exec, s[40:41]
	v_add_u32_e32 v2, s68, v176
	v_cmp_gt_i32_e32 vcc, s76, v2
	v_mov_b32_e32 v1, 0x47
	s_and_saveexec_b64 s[40:41], vcc
	s_cbranch_execz .LBB19_282
; %bb.281:                              ;   in Loop: Header=BB19_14 Depth=1
	v_readlane_b32 s31, v255, 6
	v_add_u32_e32 v6, 0, v217
	v_add_u32_e32 v4, 0xc0, v218
	v_mul_lo_u32 v1, v2, s31
	ds_read2_b32 v[2:3], v6 offset0:56 offset1:57
	ds_read2st64_b32 v[4:5], v4 offset1:15
	ds_read_b32 v6, v6 offset:4064
	v_ashrrev_i32_e32 v7, 31, v1
	v_add_co_u32_e32 v8, vcc, v1, v28
	s_waitcnt lgkmcnt(1)
	v_cvt_f32_f16_sdwa v11, v4 dst_sel:DWORD dst_unused:UNUSED_PAD src0_sel:WORD_1
	v_cvt_f32_f16_e32 v10, v4
	v_cvt_f32_f16_sdwa v13, v5 dst_sel:DWORD dst_unused:UNUSED_PAD src0_sel:WORD_1
	v_cvt_f32_f16_e32 v12, v5
	v_addc_co_u32_e32 v9, vcc, 0, v7, vcc
	v_lshlrev_b64 v[8:9], 3, v[8:9]
	v_pk_fma_f32 v[10:11], v[2:3], v[10:11], 0 op_sel_hi:[0,1,0]
	v_add_co_u32_e32 v8, vcc, s82, v8
	v_mov_b32_e32 v1, s83
	s_waitcnt lgkmcnt(0)
	v_pk_fma_f32 v[4:5], v[6:7], v[12:13], v[10:11] op_sel_hi:[0,1,1]
	v_addc_co_u32_e32 v9, vcc, v1, v9, vcc
	v_div_scale_f32 v1, s[42:43], v3, v3, v5
	v_rcp_f32_e32 v2, v1
	v_fma_f32 v6, -v1, v2, 1.0
	v_fmac_f32_e32 v2, v6, v2
	v_div_scale_f32 v6, vcc, v5, v3, v5
	v_mul_f32_e32 v7, v6, v2
	v_fma_f32 v10, -v1, v7, v6
	v_fmac_f32_e32 v7, v10, v2
	v_fma_f32 v1, -v1, v7, v6
	v_div_fmas_f32 v1, v1, v2, v7
	v_div_fixup_f32 v5, v1, v3, v5
	v_div_scale_f32 v1, s[42:43], v3, v3, v4
	v_rcp_f32_e32 v2, v1
	v_fma_f32 v6, -v1, v2, 1.0
	v_fmac_f32_e32 v2, v6, v2
	v_div_scale_f32 v6, vcc, v4, v3, v4
	v_mul_f32_e32 v7, v6, v2
	v_fma_f32 v10, -v1, v7, v6
	v_fmac_f32_e32 v7, v10, v2
	v_fma_f32 v1, -v1, v7, v6
	v_div_fmas_f32 v1, v1, v2, v7
	v_div_fixup_f32 v4, v1, v3, v4
	v_mov_b32_e32 v1, 0
	global_store_dwordx2 v[8:9], v[4:5], off offset:384
.LBB19_282:                             ;   in Loop: Header=BB19_14 Depth=1
	s_or_b64 exec, exec, s[40:41]
	s_movk_i32 s31, 0x47
	v_cmp_gt_i32_e32 vcc, s31, v1
	s_mov_b64 s[40:41], -1
	s_and_saveexec_b64 s[42:43], vcc
; %bb.283:                              ;   in Loop: Header=BB19_14 Depth=1
	v_cmp_eq_u32_e32 vcc, 0, v1
	s_orn2_b64 s[40:41], vcc, exec
; %bb.284:                              ;   in Loop: Header=BB19_14 Depth=1
	s_or_b64 exec, exec, s[42:43]
	s_and_b64 exec, exec, s[40:41]
	s_cbranch_execz .LBB19_12
; %bb.285:                              ;   in Loop: Header=BB19_14 Depth=1
	v_add_u32_e32 v1, s68, v219
	v_cmp_gt_i32_e32 vcc, s76, v1
	s_and_b64 exec, exec, vcc
	s_cbranch_execz .LBB19_12
; %bb.286:                              ;   in Loop: Header=BB19_14 Depth=1
	v_add_u32_e32 v6, 0, v220
	v_add_u32_e32 v4, 0xc0, v221
	ds_read2_b32 v[2:3], v6 offset0:56 offset1:57
	ds_read2st64_b32 v[4:5], v4 offset1:15
	ds_read_b32 v6, v6 offset:4064
	v_readlane_b32 s31, v255, 6
	v_mul_lo_u32 v1, v1, s31
	v_ashrrev_i32_e32 v7, 31, v1
	s_waitcnt lgkmcnt(1)
	v_cvt_f32_f16_sdwa v11, v4 dst_sel:DWORD dst_unused:UNUSED_PAD src0_sel:WORD_1
	v_cvt_f32_f16_e32 v10, v4
	v_cvt_f32_f16_sdwa v13, v5 dst_sel:DWORD dst_unused:UNUSED_PAD src0_sel:WORD_1
	v_cvt_f32_f16_e32 v12, v5
	v_add_co_u32_e32 v8, vcc, v1, v28
	v_addc_co_u32_e32 v9, vcc, 0, v7, vcc
	v_lshlrev_b64 v[8:9], 3, v[8:9]
	v_pk_fma_f32 v[10:11], v[2:3], v[10:11], 0 op_sel_hi:[0,1,0]
	v_add_co_u32_e32 v8, vcc, s82, v8
	v_mov_b32_e32 v1, s83
	s_waitcnt lgkmcnt(0)
	v_pk_fma_f32 v[4:5], v[6:7], v[12:13], v[10:11] op_sel_hi:[0,1,1]
	v_addc_co_u32_e32 v9, vcc, v1, v9, vcc
	v_div_scale_f32 v1, s[40:41], v3, v3, v5
	v_rcp_f32_e32 v2, v1
	v_fma_f32 v6, -v1, v2, 1.0
	v_fmac_f32_e32 v2, v6, v2
	v_div_scale_f32 v6, vcc, v5, v3, v5
	v_mul_f32_e32 v7, v6, v2
	v_fma_f32 v10, -v1, v7, v6
	v_fmac_f32_e32 v7, v10, v2
	v_fma_f32 v1, -v1, v7, v6
	v_div_fmas_f32 v1, v1, v2, v7
	v_div_fixup_f32 v5, v1, v3, v5
	v_div_scale_f32 v1, s[40:41], v3, v3, v4
	v_rcp_f32_e32 v2, v1
	v_fma_f32 v6, -v1, v2, 1.0
	v_fmac_f32_e32 v2, v6, v2
	v_div_scale_f32 v6, vcc, v4, v3, v4
	v_mul_f32_e32 v7, v6, v2
	v_fma_f32 v10, -v1, v7, v6
	v_fmac_f32_e32 v7, v10, v2
	v_fma_f32 v1, -v1, v7, v6
	v_div_fmas_f32 v1, v1, v2, v7
	v_div_fixup_f32 v4, v1, v3, v4
	global_store_dwordx2 v[8:9], v[4:5], off offset:384
	s_branch .LBB19_12
.LBB19_287:
	s_mov_b32 s70, s40
	s_andn2_b64 vcc, exec, s[8:9]
	s_cbranch_vccz .LBB19_290
.LBB19_288:
	s_endpgm
.LBB19_289:
	v_readlane_b32 s20, v254, 53
	v_readlane_b32 s60, v254, 47
	;; [unrolled: 1-line block ×8, first 2 shown]
	s_andn2_b64 vcc, exec, s[8:9]
	s_cbranch_vccnz .LBB19_288
.LBB19_290:
	v_readlane_b32 s10, v254, 7
	s_abs_i32 s4, s10
	v_cvt_f32_u32_e32 v1, s4
	s_sub_i32 s7, 0, s4
	s_abs_i32 s6, s90
	s_xor_b32 s5, s90, s10
	v_rcp_iflag_f32_e32 v1, v1
	s_ashr_i32 s5, s5, 31
	v_readlane_b32 s14, v254, 6
	v_readlane_b32 s11, v254, 3
	v_mul_f32_e32 v1, 0x4f7ffffe, v1
	v_cvt_u32_f32_e32 v1, v1
	s_mov_b32 s62, s70
	v_readlane_b32 s68, v254, 27
	v_readlane_b32 s69, v254, 28
	v_readfirstlane_b32 s8, v1
	s_mul_i32 s7, s7, s8
	s_mul_hi_u32 s7, s8, s7
	s_add_i32 s8, s8, s7
	s_mul_hi_u32 s7, s6, s8
	s_mul_i32 s8, s7, s4
	s_sub_i32 s6, s6, s8
	s_add_i32 s9, s7, 1
	s_sub_i32 s8, s6, s4
	s_cmp_ge_u32 s6, s4
	s_cselect_b32 s7, s9, s7
	s_cselect_b32 s6, s8, s6
	s_add_i32 s8, s7, 1
	s_cmp_ge_u32 s6, s4
	s_cselect_b32 s4, s8, s7
	s_abs_i32 s6, s14
	v_cvt_f32_u32_e32 v1, s6
	s_xor_b32 s4, s4, s5
	s_sub_i32 s7, 0, s6
	s_sub_i32 s12, s4, s5
	v_rcp_iflag_f32_e32 v1, v1
	s_mul_i32 s4, s12, s10
	s_sub_i32 s4, s90, s4
	s_abs_i32 s8, s4
	v_mul_f32_e32 v1, 0x4f7ffffe, v1
	v_cvt_u32_f32_e32 v1, v1
	s_xor_b32 s5, s4, s14
	s_ashr_i32 s5, s5, 31
	v_readlane_b32 s70, v254, 29
	v_readfirstlane_b32 s9, v1
	s_mul_i32 s7, s7, s9
	s_mul_hi_u32 s7, s9, s7
	s_add_i32 s9, s9, s7
	s_mul_hi_u32 s7, s8, s9
	s_mul_i32 s9, s7, s6
	s_sub_i32 s8, s8, s9
	s_add_i32 s10, s7, 1
	s_sub_i32 s9, s8, s6
	s_cmp_ge_u32 s8, s6
	s_cselect_b32 s7, s10, s7
	s_cselect_b32 s8, s9, s8
	s_add_i32 s9, s7, 1
	s_cmp_ge_u32 s8, s6
	s_cselect_b32 s6, s9, s7
	s_abs_i32 s7, s11
	v_cvt_f32_u32_e32 v1, s7
	s_xor_b32 s6, s6, s5
	s_sub_i32 s8, 0, s7
	s_sub_i32 s13, s6, s5
	v_rcp_iflag_f32_e32 v1, v1
	s_mul_i32 s5, s13, s14
	s_sub_i32 s5, s4, s5
	s_abs_i32 s6, s5
	v_mul_f32_e32 v1, 0x4f7ffffe, v1
	v_cvt_u32_f32_e32 v1, v1
	s_xor_b32 s4, s5, s11
	s_ashr_i32 s4, s4, 31
	v_readlane_b32 s71, v254, 30
	v_readfirstlane_b32 s9, v1
	s_mul_i32 s8, s8, s9
	s_mul_hi_u32 s8, s9, s8
	s_add_i32 s9, s9, s8
	s_mul_hi_u32 s8, s6, s9
	s_mul_i32 s9, s8, s7
	s_sub_i32 s6, s6, s9
	s_add_i32 s10, s8, 1
	s_sub_i32 s9, s6, s7
	s_cmp_ge_u32 s6, s7
	s_cselect_b32 s8, s10, s8
	s_cselect_b32 s6, s9, s6
	s_add_i32 s9, s8, 1
	s_cmp_ge_u32 s6, s7
	s_cselect_b32 s6, s9, s8
	s_xor_b32 s6, s6, s4
	s_sub_i32 s4, s6, s4
	s_mul_i32 s6, s4, s11
	s_sub_i32 s5, s5, s6
	v_readlane_b32 s72, v254, 31
	v_readlane_b32 s73, v254, 32
	;; [unrolled: 1-line block ×4, first 2 shown]
	s_mov_b64 s[36:37], s[68:69]
	s_abs_i32 s16, s5
	s_ashr_i32 s14, s12, 31
	s_mov_b64 s[42:43], s[74:75]
	s_mul_hi_u32 s15, s16, s47
	v_readlane_b32 s78, v254, 37
	v_readlane_b32 s79, v254, 38
	v_readlane_b32 s82, v254, 41
	v_readlane_b32 s83, v254, 42
	s_cmp_eq_u64 s[42:43], 0
	s_mov_b64 s[8:9], 0
	v_readlane_b32 s76, v254, 35
	v_readlane_b32 s77, v254, 36
	;; [unrolled: 1-line block ×4, first 2 shown]
	s_mov_b64 s[38:39], s[70:71]
	s_mov_b64 s[40:41], s[72:73]
	s_mov_b64 s[46:47], s[78:79]
	s_mov_b64 s[50:51], s[82:83]
	s_cbranch_scc1 .LBB19_292
; %bb.291:
	s_abs_i32 s6, s44
	v_cvt_f32_u32_e32 v1, s6
	s_sub_i32 s8, 0, s6
	s_abs_i32 s7, s12
	v_readlane_b32 s10, v254, 17
	v_rcp_iflag_f32_e32 v1, v1
	v_readlane_b32 s11, v254, 18
	v_mul_f32_e32 v1, 0x4f7ffffe, v1
	v_cvt_u32_f32_e32 v1, v1
	v_readfirstlane_b32 s9, v1
	s_mul_i32 s8, s8, s9
	s_mul_hi_u32 s8, s9, s8
	s_add_i32 s9, s9, s8
	s_mul_hi_u32 s8, s7, s9
	s_mul_i32 s8, s8, s6
	s_sub_i32 s7, s7, s8
	s_sub_i32 s8, s7, s6
	s_cmp_ge_u32 s7, s6
	s_cselect_b32 s7, s8, s7
	s_sub_i32 s8, s7, s6
	s_cmp_ge_u32 s7, s6
	s_cselect_b32 s6, s8, s7
	s_xor_b32 s6, s6, s14
	s_sub_i32 s6, s6, s14
	s_ashr_i32 s7, s6, 31
	s_mul_i32 s8, s6, s11
	s_mul_hi_u32 s9, s6, s10
	s_add_i32 s8, s9, s8
	s_mul_i32 s7, s7, s10
	s_add_i32 s7, s8, s7
	s_mul_i32 s6, s6, s10
	s_add_u32 s8, s42, s6
	s_addc_u32 s9, s43, s7
.LBB19_292:
	s_ashr_i32 s18, s5, 31
	v_readlane_b32 s5, v254, 2
	s_mul_i32 s17, s13, s5
	s_add_i32 s17, s17, s4
	v_cmp_le_f32_e64 s[4:5], s21, 0
	s_and_b64 vcc, exec, s[4:5]
	v_mov_b32_e32 v20, 1.0
	s_cbranch_vccnz .LBB19_294
; %bb.293:
	v_readlane_b32 s5, v254, 14
	s_sub_i32 s4, s17, s5
	s_lshl_b32 s4, s4, 1
	s_add_i32 s6, s17, 1
	s_or_b32 s7, s4, 1
	s_cmp_lt_u32 s17, s5
	s_cselect_b64 vcc, -1, 0
	s_and_b64 s[4:5], vcc, exec
	v_mov_b32_e32 v1, s23
	v_mov_b32_e32 v2, s22
	s_cselect_b32 s4, s6, s7
	v_cndmask_b32_e32 v18, v1, v2, vcc
	v_cvt_f32_i32_e32 v1, s4
	v_cmp_neq_f32_e32 vcc, 1.0, v18
	s_mov_b32 s4, 0x3f2aaaab
	s_movk_i32 s6, 0x204
	v_cndmask_b32_e32 v19, 1.0, v1, vcc
	v_cmp_eq_f32_e32 vcc, 0, v19
	v_cndmask_b32_e64 v20, |v18|, 1.0, vcc
	v_frexp_mant_f32_e32 v1, v20
	v_cmp_gt_f32_e64 s[4:5], s4, v1
	v_cndmask_b32_e64 v2, 1.0, 2.0, s[4:5]
	v_mul_f32_e32 v1, v1, v2
	v_add_f32_e32 v2, 1.0, v1
	v_rcp_f32_e32 v10, v2
	v_add_f32_e32 v3, -1.0, v2
	v_sub_f32_e32 v5, v1, v3
	v_add_f32_e32 v3, -1.0, v1
	v_mul_f32_e32 v1, v3, v10
	v_mul_f32_e32 v4, v2, v1
	v_fma_f32 v6, v1, v2, -v4
	v_fmac_f32_e32 v6, v1, v5
	v_add_f32_e32 v2, v4, v6
	v_sub_f32_e32 v5, v3, v2
	v_pk_add_f32 v[8:9], v[2:3], v[4:5] neg_lo:[0,1] neg_hi:[0,1]
	v_mov_b32_e32 v7, v2
	v_pk_add_f32 v[2:3], v[8:9], v[6:7] neg_lo:[0,1] neg_hi:[0,1]
	v_add_f32_e32 v2, v2, v3
	v_add_f32_e32 v2, v5, v2
	v_mul_f32_e32 v3, v10, v2
	v_add_f32_e32 v2, v1, v3
	v_sub_f32_e32 v1, v2, v1
	v_sub_f32_e32 v1, v3, v1
	v_mul_f32_e32 v3, v2, v2
	v_fma_f32 v5, v2, v2, -v3
	v_add_f32_e32 v4, v1, v1
	v_fmac_f32_e32 v5, v2, v4
	v_add_f32_e32 v4, v3, v5
	v_mov_b32_e32 v6, 0x3e91f4c4
	v_fmac_f32_e32 v6, 0x3e76c4e1, v4
	v_mov_b32_e32 v7, 0x3ecccdef
	v_fmac_f32_e32 v7, v4, v6
	v_sub_f32_e32 v3, v4, v3
	v_sub_f32_e32 v12, v5, v3
	v_mul_f32_e32 v3, v4, v7
	v_fma_f32 v5, v4, v7, -v3
	v_fmac_f32_e32 v5, v12, v7
	v_add_f32_e32 v6, v3, v5
	v_add_f32_e32 v7, 0x3f2aaaaa, v6
	v_sub_f32_e32 v3, v6, v3
	v_sub_f32_e32 v3, v5, v3
	v_add_f32_e32 v5, 0xbf2aaaaa, v7
	v_add_f32_e32 v3, 0x31739010, v3
	v_sub_f32_e32 v5, v6, v5
	v_pk_mul_f32 v[8:9], v[2:3], v[4:5]
	v_fma_f32 v6, v4, v2, -v8
	v_pk_add_f32 v[10:11], v[2:3], v[4:5]
	v_fmac_f32_e32 v6, v4, v1
	v_mov_b32_e32 v9, v11
	v_fmac_f32_e32 v6, v12, v2
	v_pk_add_f32 v[4:5], v[8:9], v[6:7]
	v_sub_f32_e32 v3, v4, v8
	v_sub_f32_e32 v3, v6, v3
	;; [unrolled: 1-line block ×3, first 2 shown]
	v_add_f32_e32 v9, v11, v6
	v_mov_b32_e32 v6, v5
	v_pk_mul_f32 v[6:7], v[4:5], v[6:7]
	v_cvt_f64_f32_e32 v[10:11], v20
	v_frexp_exp_i32_f64_e32 v7, v[10:11]
	v_subbrev_co_u32_e64 v7, s[4:5], 0, v7, s[4:5]
	v_cvt_f32_i32_e32 v7, v7
	v_fma_f32 v8, v4, v5, -v6
	v_fmac_f32_e32 v8, v4, v9
	s_mov_b32 s4, 0x3f317218
	v_mul_f32_e32 v4, 0x3f317218, v7
	v_fmac_f32_e32 v8, v3, v5
	v_fma_f32 v10, v7, s4, -v4
	v_fmac_f32_e32 v10, 0xb102e308, v7
	v_ldexp_f32 v11, v2, 1
	v_add_f32_e32 v5, v6, v8
	v_pk_add_f32 v[2:3], v[4:5], v[10:11]
	v_mov_b32_e32 v12, v5
	v_mov_b32_e32 v13, v3
	;; [unrolled: 1-line block ×3, first 2 shown]
	v_pk_add_f32 v[6:7], v[12:13], v[6:7] neg_lo:[0,1] neg_hi:[0,1]
	v_mov_b32_e32 v9, v5
	v_ldexp_f32 v1, v1, 1
	v_pk_add_f32 v[6:7], v[8:9], v[6:7] neg_lo:[0,1] neg_hi:[0,1]
	v_add_f32_e32 v1, v1, v6
	v_add_f32_e32 v5, v1, v7
	v_pk_add_f32 v[6:7], v[2:3], v[4:5] neg_lo:[0,1] neg_hi:[0,1]
	v_pk_add_f32 v[8:9], v[2:3], v[4:5]
	v_mov_b32_e32 v12, v6
	v_mov_b32_e32 v13, v9
	;; [unrolled: 1-line block ×3, first 2 shown]
	v_pk_add_f32 v[12:13], v[10:11], v[12:13]
	v_mov_b32_e32 v4, v13
	v_pk_add_f32 v[14:15], v[4:5], v[2:3] neg_lo:[0,1] neg_hi:[0,1]
	v_mov_b32_e32 v1, v14
	v_mov_b32_e32 v12, v9
	;; [unrolled: 1-line block ×4, first 2 shown]
	v_pk_add_f32 v[6:7], v[10:11], v[6:7] neg_lo:[0,1] neg_hi:[0,1]
	v_pk_add_f32 v[16:17], v[8:9], v[0:1] neg_lo:[0,1] neg_hi:[0,1]
	v_pk_add_f32 v[2:3], v[12:13], v[2:3] neg_lo:[0,1] neg_hi:[0,1]
	v_mov_b32_e32 v10, v5
	v_pk_add_f32 v[2:3], v[10:11], v[2:3] neg_lo:[0,1] neg_hi:[0,1]
	v_mov_b32_e32 v16, v6
	v_pk_add_f32 v[8:9], v[16:17], v[2:3]
	v_mov_b32_e32 v10, v9
	v_pk_add_f32 v[10:11], v[8:9], v[10:11]
	v_pk_add_f32 v[4:5], v[4:5], v[10:11]
	v_mov_b32_e32 v7, v13
	v_mov_b32_e32 v9, v4
	v_pk_add_f32 v[12:13], v[8:9], v[6:7] neg_lo:[0,1] neg_hi:[0,1]
	v_mov_b32_e32 v3, v10
	v_sub_f32_e32 v1, v8, v12
	v_pk_add_f32 v[2:3], v[2:3], v[12:13] neg_lo:[0,1] neg_hi:[0,1]
	v_sub_f32_e32 v1, v6, v1
	v_add_f32_e32 v1, v2, v1
	v_add_f32_e32 v1, v1, v3
	;; [unrolled: 1-line block ×3, first 2 shown]
	v_sub_f32_e32 v3, v2, v4
	v_sub_f32_e32 v1, v1, v3
	v_mul_f32_e32 v3, v19, v2
	v_fma_f32 v2, v19, v2, -v3
	v_fmac_f32_e32 v2, v19, v1
	v_add_f32_e32 v1, v3, v2
	v_cmp_class_f32_e64 s[4:5], v3, s6
	v_sub_f32_e32 v4, v1, v3
	v_cndmask_b32_e64 v1, v1, v3, s[4:5]
	s_mov_b32 s10, 0x42b17218
	v_mov_b32_e32 v3, 0x37000000
	v_cmp_eq_f32_e64 s[4:5], s10, v1
	v_cndmask_b32_e64 v3, 0, v3, s[4:5]
	v_sub_f32_e32 v2, v2, v4
	v_sub_f32_e32 v4, v1, v3
	s_mov_b32 s4, 0x3fb8aa3b
	v_mul_f32_e32 v5, 0x3fb8aa3b, v4
	v_fma_f32 v6, v4, s4, -v5
	v_rndne_f32_e32 v7, v5
	v_fmac_f32_e32 v6, 0x32a5705f, v4
	v_sub_f32_e32 v5, v5, v7
	v_add_f32_e32 v5, v5, v6
	v_exp_f32_e32 v5, v5
	v_cvt_i32_f32_e32 v6, v7
	s_mov_b32 s7, 0x7f800000
	v_cmp_neq_f32_e64 s[4:5], |v1|, s7
	v_cndmask_b32_e64 v1, 0, v2, s[4:5]
	s_mov_b32 s4, 0xc2ce8ed0
	v_ldexp_f32 v2, v5, v6
	v_cmp_ngt_f32_e64 s[4:5], s4, v4
	v_add_f32_e32 v1, v3, v1
	v_cndmask_b32_e64 v2, 0, v2, s[4:5]
	v_mov_b32_e32 v3, 0x7f800000
	v_cmp_nlt_f32_e64 s[4:5], s10, v4
	v_cndmask_b32_e64 v2, v3, v2, s[4:5]
	v_fma_f32 v1, v2, v1, v2
	v_cmp_class_f32_e64 s[4:5], v2, s6
	v_trunc_f32_e32 v4, v19
	v_cndmask_b32_e64 v1, v1, v2, s[4:5]
	v_cndmask_b32_e64 v2, v18, 1.0, vcc
	v_cmp_eq_f32_e32 vcc, v4, v19
	v_mul_f32_e32 v4, 0.5, v19
	v_trunc_f32_e32 v6, v4
	v_cmp_neq_f32_e64 s[4:5], v6, v4
	s_and_b64 s[4:5], vcc, s[4:5]
	v_cndmask_b32_e64 v4, 1.0, v2, s[4:5]
	s_brev_b32 s19, -2
	v_mov_b32_e32 v5, 0x7fc00000
	v_bfi_b32 v1, s19, v1, v4
	v_cndmask_b32_e32 v4, v5, v1, vcc
	v_cmp_gt_f32_e32 vcc, 0, v2
	v_cndmask_b32_e32 v1, v1, v4, vcc
	v_cmp_eq_f32_e32 vcc, s7, v20
	v_cmp_eq_f32_e64 s[6:7], 0, v2
	v_cmp_gt_f32_e64 s[10:11], 0, v19
	s_xor_b64 s[10:11], s[10:11], s[6:7]
	v_cndmask_b32_e64 v3, v3, 0, s[10:11]
	v_cndmask_b32_e64 v4, 0, v2, s[4:5]
	v_bfi_b32 v3, s19, v3, v4
	s_or_b64 vcc, vcc, s[6:7]
	v_cndmask_b32_e32 v1, v1, v3, vcc
	v_cmp_o_f32_e32 vcc, v2, v2
	v_cndmask_b32_e32 v20, v5, v1, vcc
.LBB19_294:
	s_mul_i32 s5, s15, s33
	v_readlane_b32 s4, v254, 26
	s_sub_i32 s5, s16, s5
	s_xor_b32 s4, s18, s4
	s_add_i32 s6, s15, 1
	s_sub_i32 s7, s5, s33
	s_cmp_ge_u32 s5, s33
	s_cselect_b32 s6, s6, s15
	s_cselect_b32 s5, s7, s5
	s_add_i32 s7, s6, 1
	s_cmp_ge_u32 s5, s33
	s_cselect_b32 s5, s7, s6
	s_xor_b32 s5, s5, s4
	v_readlane_b32 s68, v254, 27
	s_sub_i32 s4, s5, s4
	v_readlane_b32 s69, v254, 28
	v_readlane_b32 s78, v254, 37
	;; [unrolled: 1-line block ×9, first 2 shown]
	s_mov_b64 s[36:37], s[68:69]
	s_cmp_eq_u64 s[78:79], 0
	v_mov_b32_e32 v12, s67
	v_readlane_b32 s74, v254, 33
	v_readlane_b32 s75, v254, 34
	;; [unrolled: 1-line block ×6, first 2 shown]
	s_mov_b64 s[38:39], s[70:71]
	s_mov_b64 s[40:41], s[72:73]
	;; [unrolled: 1-line block ×3, first 2 shown]
	s_cbranch_scc1 .LBB19_296
; %bb.295:
	v_readlane_b32 s5, v254, 0
	s_mul_i32 s5, s12, s5
	s_add_i32 s6, s4, s5
	s_ashr_i32 s7, s6, 31
	s_mov_b64 s[46:47], s[78:79]
	s_lshl_b64 s[6:7], s[6:7], 2
	s_add_u32 s6, s46, s6
	s_addc_u32 s7, s47, s7
	v_mov_b32_e32 v1, 0
	global_load_dword v1, v1, s[6:7]
	s_waitcnt vmcnt(0)
	v_ashrrev_i32_e32 v2, 31, v1
	v_lshrrev_b32_e32 v2, 26, v2
	v_add_u32_e32 v1, v1, v2
	v_ashrrev_i32_e32 v1, 6, v1
	v_min_i32_e32 v12, s67, v1
.LBB19_296:
	v_readlane_b32 s10, v254, 8
	v_readlane_b32 s11, v254, 9
	s_mul_i32 s5, s12, s11
	s_ashr_i32 s6, s5, 31
	s_add_u32 s5, s36, s5
	s_mul_i32 s17, s17, s10
	s_addc_u32 s7, s37, s6
	s_ashr_i32 s10, s17, 31
	v_and_b32_e32 v31, 0x3ff, v0
	s_add_u32 s6, s5, s17
	v_lshrrev_b32_e32 v71, 5, v31
	s_addc_u32 s7, s7, s10
	s_lshl_b32 s45, s4, 5
	v_add_u32_e32 v0, v71, v97
	v_add_u32_e32 v1, s45, v0
	v_readlane_b32 s64, v254, 43
	v_and_b32_e32 v30, 31, v31
	v_cmp_le_i32_e32 vcc, s64, v1
	v_readlane_b32 s65, v254, 44
	v_readlane_b32 s66, v254, 45
	;; [unrolled: 1-line block ×3, first 2 shown]
	s_and_saveexec_b64 s[4:5], vcc
	s_xor_b64 s[4:5], exec, s[4:5]
	s_cbranch_execz .LBB19_298
; %bb.297:
	v_mad_u32_u24 v1, v0, 60, v30
	v_lshl_add_u32 v1, v1, 2, 0
	v_mov_b32_e32 v2, 0
	ds_write_b32 v1, v2
                                        ; implicit-def: $vgpr1
.LBB19_298:
	s_andn2_saveexec_b64 s[4:5], s[4:5]
	s_cbranch_execz .LBB19_300
; %bb.299:
	v_readlane_b32 s10, v254, 19
	v_mad_u64_u32 v[2:3], s[10:11], v1, s10, v[30:31]
	v_ashrrev_i32_e32 v3, 31, v2
	v_lshlrev_b64 v[2:3], 3, v[2:3]
	v_mov_b32_e32 v1, s7
	v_add_co_u32_e32 v2, vcc, s6, v2
	v_addc_co_u32_e32 v3, vcc, v1, v3, vcc
	global_load_dwordx2 v[2:3], v[2:3], off
	s_waitcnt vmcnt(0)
	v_cvt_f16_f32_e32 v1, v2
	v_cvt_f16_f32_e32 v2, v3
	v_mad_u32_u24 v3, v0, 60, v30
	v_pack_b32_f16 v1, v1, v2
	v_pk_mul_f16 v1, v37, v1
	v_lshl_add_u32 v2, v3, 2, 0
	ds_write_b32 v2, v1
.LBB19_300:
	s_or_b64 exec, exec, s[4:5]
	v_add_u32_e32 v1, 8, v0
	v_add_u32_e32 v2, s45, v1
	v_cmp_le_i32_e32 vcc, s64, v2
	s_and_saveexec_b64 s[4:5], vcc
	s_xor_b64 s[4:5], exec, s[4:5]
	s_cbranch_execz .LBB19_302
; %bb.301:
	v_mad_u32_u24 v1, v1, 60, v30
	v_lshl_add_u32 v1, v1, 2, 0
	v_mov_b32_e32 v2, 0
	ds_write_b32 v1, v2
                                        ; implicit-def: $vgpr2
                                        ; implicit-def: $vgpr1
.LBB19_302:
	s_andn2_saveexec_b64 s[4:5], s[4:5]
	s_cbranch_execz .LBB19_304
; %bb.303:
	v_readlane_b32 s10, v254, 19
	v_mad_u64_u32 v[2:3], s[10:11], v2, s10, v[30:31]
	v_ashrrev_i32_e32 v3, 31, v2
	v_lshlrev_b64 v[2:3], 3, v[2:3]
	v_mov_b32_e32 v4, s7
	v_add_co_u32_e32 v2, vcc, s6, v2
	v_addc_co_u32_e32 v3, vcc, v4, v3, vcc
	global_load_dwordx2 v[2:3], v[2:3], off
	v_mad_u32_u24 v1, v1, 60, v30
	v_lshl_add_u32 v1, v1, 2, 0
	s_waitcnt vmcnt(0)
	v_cvt_f16_f32_e32 v2, v2
	v_cvt_f16_f32_e32 v3, v3
	v_pack_b32_f16 v2, v2, v3
	v_pk_mul_f16 v2, v37, v2
	ds_write_b32 v1, v2
.LBB19_304:
	s_or_b64 exec, exec, s[4:5]
	v_add_u32_e32 v1, 16, v0
	v_add_u32_e32 v2, s45, v1
	v_cmp_le_i32_e32 vcc, s64, v2
	s_and_saveexec_b64 s[4:5], vcc
	s_xor_b64 s[4:5], exec, s[4:5]
	s_cbranch_execz .LBB19_306
; %bb.305:
	v_mad_u32_u24 v1, v1, 60, v30
	v_lshl_add_u32 v1, v1, 2, 0
	v_mov_b32_e32 v2, 0
	ds_write_b32 v1, v2
                                        ; implicit-def: $vgpr2
                                        ; implicit-def: $vgpr1
.LBB19_306:
	s_andn2_saveexec_b64 s[4:5], s[4:5]
	s_cbranch_execz .LBB19_308
; %bb.307:
	v_readlane_b32 s10, v254, 19
	v_mad_u64_u32 v[2:3], s[10:11], v2, s10, v[30:31]
	v_ashrrev_i32_e32 v3, 31, v2
	v_lshlrev_b64 v[2:3], 3, v[2:3]
	v_mov_b32_e32 v4, s7
	v_add_co_u32_e32 v2, vcc, s6, v2
	v_addc_co_u32_e32 v3, vcc, v4, v3, vcc
	global_load_dwordx2 v[2:3], v[2:3], off
	v_mad_u32_u24 v1, v1, 60, v30
	v_lshl_add_u32 v1, v1, 2, 0
	s_waitcnt vmcnt(0)
	v_cvt_f16_f32_e32 v2, v2
	v_cvt_f16_f32_e32 v3, v3
	v_pack_b32_f16 v2, v2, v3
	v_pk_mul_f16 v2, v37, v2
	ds_write_b32 v1, v2
.LBB19_308:
	s_or_b64 exec, exec, s[4:5]
	v_add_u32_e32 v0, 24, v0
	v_add_u32_e32 v1, s45, v0
	v_cmp_le_i32_e32 vcc, s64, v1
	s_and_saveexec_b64 s[4:5], vcc
	s_xor_b64 s[4:5], exec, s[4:5]
	s_cbranch_execz .LBB19_310
; %bb.309:
	v_mad_u32_u24 v0, v0, 60, v30
	v_lshl_add_u32 v0, v0, 2, 0
	v_mov_b32_e32 v1, 0
	ds_write_b32 v0, v1
                                        ; implicit-def: $vgpr1
                                        ; implicit-def: $vgpr0
.LBB19_310:
	s_andn2_saveexec_b64 s[4:5], s[4:5]
	s_cbranch_execz .LBB19_312
; %bb.311:
	v_readlane_b32 s10, v254, 19
	v_mad_u64_u32 v[2:3], s[10:11], v1, s10, v[30:31]
	v_ashrrev_i32_e32 v3, 31, v2
	v_lshlrev_b64 v[2:3], 3, v[2:3]
	v_mov_b32_e32 v1, s7
	v_add_co_u32_e32 v2, vcc, s6, v2
	v_addc_co_u32_e32 v3, vcc, v1, v3, vcc
	global_load_dwordx2 v[2:3], v[2:3], off
	v_mad_u32_u24 v0, v0, 60, v30
	v_lshl_add_u32 v0, v0, 2, 0
	s_waitcnt vmcnt(0)
	v_cvt_f16_f32_e32 v1, v2
	v_cvt_f16_f32_e32 v2, v3
	v_pack_b32_f16 v1, v1, v2
	v_pk_mul_f16 v1, v37, v1
	ds_write_b32 v0, v1
.LBB19_312:
	s_or_b64 exec, exec, s[4:5]
	v_lshrrev_b32_e32 v70, 4, v31
	v_add_u32_e32 v0, v70, v96
	v_add_u32_e32 v1, s45, v0
	v_and_b32_e32 v68, 15, v31
	v_cmp_le_i32_e32 vcc, s64, v1
	s_and_saveexec_b64 s[4:5], vcc
	s_xor_b64 s[4:5], exec, s[4:5]
	s_cbranch_execz .LBB19_314
; %bb.313:
	v_mad_u32_u24 v1, v0, 60, v68
	v_lshl_add_u32 v1, v1, 2, 0
	v_mov_b32_e32 v2, 0
	ds_write_b32 v1, v2 offset:128
                                        ; implicit-def: $vgpr1
.LBB19_314:
	s_andn2_saveexec_b64 s[4:5], s[4:5]
	s_cbranch_execz .LBB19_316
; %bb.315:
	v_readlane_b32 s10, v254, 19
	v_mul_lo_u32 v1, v1, s10
	v_ashrrev_i32_e32 v3, 31, v1
	v_add_co_u32_e32 v2, vcc, v1, v68
	v_addc_co_u32_e32 v3, vcc, 0, v3, vcc
	v_lshlrev_b64 v[2:3], 3, v[2:3]
	v_mov_b32_e32 v1, s7
	v_add_co_u32_e32 v2, vcc, s6, v2
	v_addc_co_u32_e32 v3, vcc, v1, v3, vcc
	global_load_dwordx2 v[2:3], v[2:3], off offset:256
	s_waitcnt vmcnt(0)
	v_cvt_f16_f32_e32 v1, v2
	v_cvt_f16_f32_e32 v2, v3
	v_mad_u32_u24 v3, v0, 60, v68
	v_pack_b32_f16 v1, v1, v2
	v_pk_mul_f16 v1, v37, v1
	v_lshl_add_u32 v2, v3, 2, 0
	ds_write_b32 v2, v1 offset:128
.LBB19_316:
	s_or_b64 exec, exec, s[4:5]
	v_add_u32_e32 v0, 16, v0
	v_add_u32_e32 v1, s45, v0
	v_cmp_le_i32_e32 vcc, s64, v1
	s_and_saveexec_b64 s[4:5], vcc
	s_xor_b64 s[4:5], exec, s[4:5]
	s_cbranch_execz .LBB19_318
; %bb.317:
	v_mad_u32_u24 v0, v0, 60, v68
	v_lshl_add_u32 v0, v0, 2, 0
	v_mov_b32_e32 v1, 0
	ds_write_b32 v0, v1 offset:128
                                        ; implicit-def: $vgpr1
                                        ; implicit-def: $vgpr0
.LBB19_318:
	s_andn2_saveexec_b64 s[4:5], s[4:5]
	s_cbranch_execz .LBB19_320
; %bb.319:
	v_readlane_b32 s10, v254, 19
	v_mul_lo_u32 v1, v1, s10
	v_ashrrev_i32_e32 v3, 31, v1
	v_add_co_u32_e32 v2, vcc, v1, v68
	v_addc_co_u32_e32 v3, vcc, 0, v3, vcc
	v_lshlrev_b64 v[2:3], 3, v[2:3]
	v_mov_b32_e32 v1, s7
	v_add_co_u32_e32 v2, vcc, s6, v2
	v_addc_co_u32_e32 v3, vcc, v1, v3, vcc
	global_load_dwordx2 v[2:3], v[2:3], off offset:256
	v_mad_u32_u24 v0, v0, 60, v68
	v_lshl_add_u32 v0, v0, 2, 0
	s_waitcnt vmcnt(0)
	v_cvt_f16_f32_e32 v1, v2
	v_cvt_f16_f32_e32 v2, v3
	v_pack_b32_f16 v1, v1, v2
	v_pk_mul_f16 v1, v37, v1
	ds_write_b32 v0, v1 offset:128
.LBB19_320:
	s_or_b64 exec, exec, s[4:5]
	v_lshrrev_b32_e32 v69, 3, v31
	v_add_u32_e32 v91, v100, v69
	v_add_u32_e32 v0, s45, v91
	v_cmp_le_i32_e32 vcc, s64, v0
	s_and_saveexec_b64 s[4:5], vcc
	s_xor_b64 s[4:5], exec, s[4:5]
	s_cbranch_execz .LBB19_322
; %bb.321:
	v_and_b32_e32 v0, 7, v31
	v_mad_u32_u24 v0, v91, 60, v0
	v_lshl_add_u32 v0, v0, 2, 0
	v_mov_b32_e32 v1, 0
	ds_write_b32 v0, v1 offset:192
                                        ; implicit-def: $vgpr0
                                        ; implicit-def: $vgpr37
.LBB19_322:
	s_andn2_saveexec_b64 s[4:5], s[4:5]
	s_cbranch_execz .LBB19_324
; %bb.323:
	v_readlane_b32 s10, v254, 19
	v_mul_lo_u32 v0, v0, s10
	v_and_b32_e32 v2, 7, v31
	v_ashrrev_i32_e32 v1, 31, v0
	v_add_co_u32_e32 v0, vcc, v0, v2
	v_addc_co_u32_e32 v1, vcc, 0, v1, vcc
	v_lshlrev_b64 v[0:1], 3, v[0:1]
	v_mov_b32_e32 v3, s7
	v_add_co_u32_e32 v0, vcc, s6, v0
	v_addc_co_u32_e32 v1, vcc, v3, v1, vcc
	global_load_dwordx2 v[0:1], v[0:1], off offset:384
	v_mad_u32_u24 v2, v91, 60, v2
	s_waitcnt vmcnt(0)
	v_cvt_f16_f32_e32 v0, v0
	v_cvt_f16_f32_e32 v1, v1
	v_pack_b32_f16 v0, v0, v1
	v_pk_mul_f16 v0, v37, v0
	v_lshl_add_u32 v1, v2, 2, 0
	ds_write_b32 v1, v0 offset:192
.LBB19_324:
	s_or_b64 exec, exec, s[4:5]
	v_readlane_b32 s6, v254, 15
	v_readlane_b32 s7, v254, 16
	s_mul_i32 s4, s12, s7
	s_mul_hi_u32 s5, s12, s6
	s_add_i32 s4, s5, s4
	s_mul_i32 s5, s14, s6
	v_readlane_b32 s16, v254, 27
	s_add_i32 s4, s4, s5
	s_mul_i32 s5, s12, s6
	v_readlane_b32 s20, v254, 31
	v_readlane_b32 s21, v254, 32
	;; [unrolled: 1-line block ×4, first 2 shown]
	s_add_u32 s5, s20, s5
	s_addc_u32 s4, s21, s4
	v_readlane_b32 s20, v254, 22
	v_readlane_b32 s30, v254, 41
	;; [unrolled: 1-line block ×3, first 2 shown]
	s_mul_i32 s6, s13, s23
	v_and_b32_e32 v13, 0x1ff0, v100
	s_movk_i32 s30, 0xf0
	v_and_b32_e32 v72, 0x7e, v69
	s_ashr_i32 s7, s6, 31
	v_mad_u32_u24 v0, v13, s30, 0
	v_mul_u32_u24_e32 v94, 0xf0, v68
	v_lshlrev_b32_e32 v95, 2, v72
	v_readlane_b32 s21, v254, 23
	s_add_u32 s33, s5, s6
	v_add3_u32 v14, v0, v94, v95
	s_addc_u32 s44, s4, s7
	s_mul_i32 s4, s12, s21
	s_mul_hi_u32 s5, s12, s20
	s_waitcnt lgkmcnt(0)
	s_barrier
	ds_read2_b64 v[8:11], v14 offset1:4
	ds_read2_b64 v[4:7], v14 offset0:8 offset1:12
	ds_read2_b64 v[0:3], v14 offset0:16 offset1:20
	ds_read_b64 v[24:25], v14 offset:192
	s_add_i32 s4, s5, s4
	s_mul_i32 s14, s14, s20
	v_readlane_b32 s6, v254, 20
	v_readlane_b32 s18, v254, 29
	s_add_i32 s4, s4, s14
	s_mul_i32 s12, s12, s20
	v_readlane_b32 s7, v254, 21
	v_readlane_b32 s19, v254, 30
	s_add_u32 s5, s18, s12
	s_mul_i32 s13, s13, s7
	s_addc_u32 s4, s19, s4
	s_ashr_i32 s6, s13, 31
	v_add_u32_e32 v104, -1, v12
	s_add_u32 s46, s5, s13
	v_cmp_ge_i32_e32 vcc, s48, v104
	v_mul_lo_u32 v28, s94, v91
	v_mul_lo_u32 v22, s96, v91
	s_addc_u32 s47, s4, s6
	s_mov_b32 s49, 0
	s_and_b64 vcc, exec, vcc
	v_mov_b32_e32 v74, 0
	v_or_b32_e32 v93, v13, v68
	v_lshlrev_b32_e32 v103, 1, v31
	v_mbcnt_lo_u32_b32 v87, -1, 0
	v_lshrrev_b32_e32 v102, 1, v31
	v_lshrrev_b32_e32 v78, 2, v31
	v_ashrrev_i32_e32 v29, 31, v28
	v_add_u32_e32 v77, 32, v91
	v_lshl_add_u32 v26, s94, 5, v28
	v_and_b32_e32 v73, 8, v100
	v_ashrrev_i32_e32 v23, 31, v22
	v_lshlrev_b32_e32 v33, 1, v68
	v_readlane_b32 s17, v254, 28
	v_readlane_b32 s24, v254, 35
	;; [unrolled: 1-line block ×9, first 2 shown]
	s_waitcnt lgkmcnt(0)
	s_barrier
	s_cbranch_vccnz .LBB19_340
; %bb.325:
	v_add_u32_e32 v21, s45, v98
	v_readlane_b32 s10, v254, 10
	v_add_u32_e32 v27, 16, v21
	v_mul_hi_u32 v32, s10, v27
	v_readlane_b32 s11, v254, 11
	v_add_u32_e32 v32, v27, v32
	v_lshrrev_b32_e32 v32, s11, v32
	v_mul_lo_u32 v32, v32, s64
	v_sub_u32_e32 v27, v27, v32
	v_mad_i64_i32 v[44:45], s[6:7], v27, s62, 0
	v_add_u32_e32 v27, 20, v21
	v_mul_hi_u32 v32, s10, v27
	v_add_u32_e32 v32, v27, v32
	v_lshrrev_b32_e32 v32, s11, v32
	v_mul_lo_u32 v32, v32, s64
	v_sub_u32_e32 v27, v27, v32
	v_mov_b32_e32 v12, s9
	v_add_co_u32_e32 v106, vcc, s8, v103
	v_mad_i64_i32 v[46:47], s[6:7], v27, s62, 0
	v_add_u32_e32 v27, 24, v21
	v_addc_co_u32_e32 v107, vcc, 0, v12, vcc
	v_mul_hi_u32 v12, s10, v21
	v_mul_hi_u32 v32, s10, v27
	v_add_u32_e32 v12, v21, v12
	v_add_u32_e32 v32, v27, v32
	v_lshrrev_b32_e32 v12, s11, v12
	v_lshrrev_b32_e32 v32, s11, v32
	v_mul_lo_u32 v12, v12, s64
	v_mul_u32_u24_e32 v14, 0x90, v98
	v_mul_lo_u32 v32, v32, s64
	v_sub_u32_e32 v12, v21, v12
	v_add3_u32 v108, 0, v14, v103
	v_add_u32_e32 v14, 4, v21
	v_add_u32_e32 v16, 8, v21
	;; [unrolled: 1-line block ×3, first 2 shown]
	v_sub_u32_e32 v27, v27, v32
	v_add_u32_e32 v21, 28, v21
	v_mad_i64_i32 v[48:49], s[6:7], v27, s62, 0
	v_mul_hi_u32 v27, s10, v21
	v_add_u32_e32 v27, v21, v27
	v_lshrrev_b32_e32 v27, s11, v27
	v_mul_lo_u32 v27, v27, s64
	v_sub_u32_e32 v21, v21, v27
	v_mad_i64_i32 v[50:51], s[6:7], v21, s62, 0
	v_mbcnt_hi_u32_b32 v21, -1, v87
	v_and_b32_e32 v27, 64, v21
	v_add_u32_e32 v27, 64, v27
	v_xor_b32_e32 v32, 32, v21
	v_cmp_lt_i32_e32 vcc, v32, v27
	v_cndmask_b32_e32 v32, v21, v32, vcc
	v_mul_hi_u32 v15, s10, v14
	v_mul_hi_u32 v17, s10, v16
	;; [unrolled: 1-line block ×3, first 2 shown]
	v_lshlrev_b32_e32 v116, 2, v32
	v_xor_b32_e32 v32, 16, v21
	v_add_u32_e32 v15, v14, v15
	v_add_u32_e32 v17, v16, v17
	;; [unrolled: 1-line block ×3, first 2 shown]
	v_cmp_lt_i32_e32 vcc, v32, v27
	v_and_b32_e32 v38, 16, v99
	v_and_b32_e32 v39, 0xfc, v78
	s_movk_i32 s14, 0x90
	v_lshrrev_b32_e32 v15, s11, v15
	v_lshrrev_b32_e32 v17, s11, v17
	;; [unrolled: 1-line block ×3, first 2 shown]
	v_cndmask_b32_e32 v21, v21, v32, vcc
	v_lshlrev_b32_e32 v34, 2, v31
	v_mul_u32_u24_e32 v65, 0xf0, v38
	v_add_u32_e32 v40, v38, v39
	v_add_u16_e32 v38, v38, v39
	v_mul_lo_u32 v15, v15, s64
	v_mul_lo_u32 v17, v17, s64
	v_mul_lo_u32 v19, v19, s64
	v_lshlrev_b32_e32 v117, 2, v21
	v_lshl_add_u32 v21, v98, 5, v102
	v_and_b32_e32 v32, 4, v34
	v_mad_u32_u24 v41, v93, s14, 0
	v_lshrrev_b16_e32 v38, 1, v38
	v_sub_u32_e32 v14, v14, v15
	v_sub_u32_e32 v16, v16, v17
	;; [unrolled: 1-line block ×3, first 2 shown]
	v_mad_u32_u24 v27, v21, s30, 0
	v_lshlrev_b32_e32 v35, 2, v32
	s_movk_i32 s10, 0xc0
	v_lshl_add_u32 v74, v38, 2, v41
	v_lshl_add_u32 v38, v40, 1, v41
	v_mad_i64_i32 v[12:13], s[6:7], v12, s62, 0
	v_mad_i64_i32 v[14:15], s[6:7], v14, s62, 0
	;; [unrolled: 1-line block ×4, first 2 shown]
	v_add3_u32 v118, v27, v35, s10
	v_add_u32_e32 v35, v99, v78
	v_add_u32_e32 v119, 64, v38
	;; [unrolled: 1-line block ×3, first 2 shown]
	v_mul_u32_u24_e32 v38, 0x78, v39
	s_movk_i32 s31, 0x1e0
	s_cmp_lg_u64 s[8:9], 0
	v_cmp_gt_u32_e64 s[6:7], 64, v21
	v_mul_lo_u32 v52, s94, v21
	v_mad_u32_u24 v36, v35, s30, 0
	v_cmp_gt_u32_e64 s[34:35], 64, v35
	v_mul_lo_u32 v54, s94, v35
	v_cmp_gt_u32_e64 s[14:15], 64, v40
	v_cmp_gt_u32_e64 s[16:17], 63, v40
	;; [unrolled: 1-line block ×8, first 2 shown]
	v_mul_lo_u32 v60, s96, v21
	v_or_b32_e32 v21, 3, v78
	v_mul_u32_u24_e32 v40, 0xf0, v39
	v_or_b32_e32 v38, v38, v68
	v_mul_lo_u32 v62, s96, v35
	v_mul_u32_u24_e32 v35, 0x1e0, v73
	v_mad_u32_u24 v41, v73, s31, 0
	s_cselect_b64 s[36:37], -1, 0
	v_mul_u32_u24_e32 v21, 0xf0, v21
	v_lshlrev_b32_e32 v38, 1, v38
	v_add3_u32 v122, v41, v40, v33
	v_add3_u32 v40, 0, 32, v35
	;; [unrolled: 1-line block ×3, first 2 shown]
	s_add_i32 s41, 0, 0x60
	v_add_u32_e32 v121, v41, v38
	v_add3_u32 v123, v41, v21, v33
	v_add_u32_e32 v126, v40, v38
	v_mad_u32_u24 v41, v39, s30, v40
	v_add3_u32 v128, v40, v21, v33
	v_add_u32_e32 v130, v35, v38
	v_mad_u32_u24 v40, v39, s30, v35
	v_add3_u32 v132, v35, v21, v33
	v_mov_b32_e32 v35, s41
	s_movk_i32 s40, 0x1e00
	v_mad_u32_u24 v35, v73, s31, v35
	s_add_i32 s41, 0, 0x80
	v_add3_u32 v131, v40, v33, s40
	v_add_u32_e32 v134, v35, v38
	v_mad_u32_u24 v40, v39, s30, v35
	v_add3_u32 v136, v35, v21, v33
	v_mov_b32_e32 v35, s41
	v_mad_u32_u24 v35, v73, s31, v35
	s_add_i32 s41, 0, 0xa0
	v_add3_u32 v135, v40, v33, s40
	v_add_u32_e32 v138, v35, v38
	v_mad_u32_u24 v40, v39, s30, v35
	v_add3_u32 v140, v35, v21, v33
	v_mov_b32_e32 v35, s41
	v_mad_u32_u24 v35, v73, s31, v35
	s_add_i32 s41, 0, 0xc0
	v_add3_u32 v139, v40, v33, s40
	v_add_u32_e32 v142, v35, v38
	v_mad_u32_u24 v40, v39, s30, v35
	v_add3_u32 v144, v35, v21, v33
	v_mov_b32_e32 v35, s41
	v_mad_u32_u24 v35, v73, s31, v35
	v_and_b32_e32 v56, 12, v34
	s_movk_i32 s50, 0x80
	v_add3_u32 v148, v35, v21, v33
	v_lshlrev_b32_e32 v21, 2, v56
	v_and_b32_e32 v58, 28, v34
	v_mul_u32_u24_e32 v37, 0xf0, v91
	v_mul_lo_u32 v66, s96, v77
	v_add3_u32 v149, v36, v21, s50
	v_lshlrev_b32_e32 v21, 2, v58
	s_mov_b64 s[38:39], src_private_base
	v_ashrrev_i32_e32 v53, 31, v52
	v_ashrrev_i32_e32 v55, 31, v54
	;; [unrolled: 1-line block ×3, first 2 shown]
	v_add3_u32 v64, 0, v94, v95
	v_ashrrev_i32_e32 v61, 31, v60
	v_ashrrev_i32_e32 v67, 31, v66
	;; [unrolled: 1-line block ×3, first 2 shown]
	v_add_u32_e32 v146, v35, v38
	v_mad_u32_u24 v38, v39, s30, v35
	v_add3_u32 v150, 0, v37, v21
	v_cmp_lt_u32_e64 s[4:5], 63, v31
	v_mov_b32_e32 v105, 0
	v_add_u32_e32 v109, 0x240, v108
	v_add_u32_e32 v110, 0x480, v108
	;; [unrolled: 1-line block ×7, first 2 shown]
	s_mov_b32 s38, 0
	v_cmp_gt_u32_e64 s[10:11], 64, v91
	v_cmp_gt_u32_e64 s[12:13], 32, v91
	v_add_u32_e32 v124, 0x1e00, v122
	v_add_u32_e32 v125, 32, v122
	v_add3_u32 v127, v41, v33, s40
	v_add_u32_e32 v129, 64, v122
	v_add_u32_e32 v133, 0x60, v122
	;; [unrolled: 1-line block ×4, first 2 shown]
	v_add3_u32 v143, v40, v33, s40
	v_add_u32_e32 v145, 0xc0, v122
	v_add3_u32 v147, v38, v33, s40
	v_add_u32_e32 v151, 0x1e00, v150
	v_mov_b32_e32 v34, v20
	v_mov_b32_e32 v35, v20
	s_lshl_b32 s40, s48, 6
	v_mov_b32_e32 v88, 0xfeffffff
	v_lshlrev_b64 v[36:37], 1, v[12:13]
	v_lshlrev_b64 v[38:39], 1, v[14:15]
	;; [unrolled: 1-line block ×10, first 2 shown]
	v_lshlrev_b32_e32 v152, 2, v56
	v_lshlrev_b64 v[56:57], 2, v[28:29]
	v_lshlrev_b32_e32 v153, 2, v58
	v_lshlrev_b64 v[58:59], 2, v[26:27]
	v_add_u32_e32 v27, v64, v65
	v_add_u32_e32 v154, 0x3c00, v74
	v_lshlrev_b64 v[60:61], 2, v[60:61]
	s_mov_b32 s51, 0x3fb8aa3b
	s_mov_b32 s52, 0xc2ce8ed0
	;; [unrolled: 1-line block ×4, first 2 shown]
	v_lshlrev_b64 v[62:63], 2, v[62:63]
	v_lshlrev_b64 v[64:65], 2, v[22:23]
	;; [unrolled: 1-line block ×3, first 2 shown]
	s_mov_b32 s55, 0x5040100
	v_mov_b32_e32 v155, 0x7f800000
	v_mov_b32_e32 v156, 0
	;; [unrolled: 1-line block ×16, first 2 shown]
.LBB19_326:                             ; =>This Inner Loop Header: Depth=1
	s_nop 0
	v_cndmask_b32_e64 v12, 0, 1, s[36:37]
	v_cmp_ne_u32_e64 s[30:31], 1, v12
	s_andn2_b64 vcc, exec, s[36:37]
	s_ashr_i32 s41, s40, 31
	s_cbranch_vccnz .LBB19_332
; %bb.327:                              ;   in Loop: Header=BB19_326 Depth=1
                                        ; implicit-def: $sgpr56
	s_and_saveexec_b64 s[42:43], s[4:5]
	s_xor_b64 s[42:43], exec, s[42:43]
	s_cbranch_execz .LBB19_329
; %bb.328:                              ;   in Loop: Header=BB19_326 Depth=1
	ds_write_b16 v108, v105 offset:15360
	ds_write_b16 v109, v105 offset:15360
	;; [unrolled: 1-line block ×4, first 2 shown]
	s_mov_b32 s56, 0
.LBB19_329:                             ;   in Loop: Header=BB19_326 Depth=1
	s_or_saveexec_b64 s[42:43], s[42:43]
	v_mov_b32_e32 v12, s56
	v_mov_b32_e32 v13, s56
	;; [unrolled: 1-line block ×4, first 2 shown]
	s_xor_b64 exec, exec, s[42:43]
	s_cbranch_execz .LBB19_331
; %bb.330:                              ;   in Loop: Header=BB19_326 Depth=1
	s_lshl_b64 s[56:57], s[40:41], 1
	v_mov_b32_e32 v12, s57
	v_add_co_u32_e32 v21, vcc, s56, v106
	v_addc_co_u32_e32 v157, vcc, v107, v12, vcc
	v_add_co_u32_e32 v12, vcc, v21, v36
	v_addc_co_u32_e32 v13, vcc, v157, v37, vcc
	;; [unrolled: 2-line block ×5, first 2 shown]
	flat_load_ushort v158, v[12:13]
	flat_load_ushort v159, v[14:15]
	;; [unrolled: 1-line block ×4, first 2 shown]
	v_add_co_u32_e32 v12, vcc, v21, v44
	v_addc_co_u32_e32 v13, vcc, v157, v45, vcc
	v_add_co_u32_e32 v14, vcc, v21, v46
	v_addc_co_u32_e32 v15, vcc, v157, v47, vcc
	v_add_co_u32_e32 v16, vcc, v21, v48
	v_addc_co_u32_e32 v17, vcc, v157, v49, vcc
	v_add_co_u32_e32 v18, vcc, v21, v50
	v_addc_co_u32_e32 v19, vcc, v157, v51, vcc
	s_waitcnt vmcnt(0) lgkmcnt(0)
	ds_write_b16 v108, v158 offset:15360
	ds_write_b16 v109, v159 offset:15360
	;; [unrolled: 1-line block ×4, first 2 shown]
	flat_load_ushort v12, v[12:13]
	s_nop 0
	flat_load_ushort v13, v[14:15]
	s_nop 0
	flat_load_ushort v14, v[16:17]
	flat_load_ushort v15, v[18:19]
.LBB19_331:                             ;   in Loop: Header=BB19_326 Depth=1
	s_or_b64 exec, exec, s[42:43]
	s_waitcnt vmcnt(0) lgkmcnt(0)
	ds_write_b16 v112, v12 offset:15360
	ds_write_b16 v113, v13 offset:15360
	;; [unrolled: 1-line block ×4, first 2 shown]
.LBB19_332:                             ;   in Loop: Header=BB19_326 Depth=1
	s_mul_hi_i32 s43, s40, s94
	s_mul_i32 s42, s40, s94
	s_lshl_b64 s[42:43], s[42:43], 2
	s_add_u32 s41, s46, s42
	s_addc_u32 s56, s47, s43
	buffer_store_dword v105, off, s[0:3], 0
	buffer_store_dword v105, off, s[0:3], 0 offset:4
	buffer_store_dword v105, off, s[0:3], 0 offset:8
	;; [unrolled: 1-line block ×3, first 2 shown]
	s_and_saveexec_b64 s[42:43], s[6:7]
	s_cbranch_execz .LBB19_334
; %bb.333:                              ;   in Loop: Header=BB19_326 Depth=1
	v_mov_b32_e32 v12, s56
	v_add_co_u32_e32 v13, vcc, s41, v52
	v_addc_co_u32_e32 v14, vcc, v12, v53, vcc
	v_lshlrev_b32_e32 v12, 2, v32
	v_add_co_u32_e32 v12, vcc, v13, v12
	v_addc_co_u32_e32 v13, vcc, 0, v14, vcc
	global_load_dwordx4 v[12:15], v[12:13], off offset:192
	s_waitcnt vmcnt(0)
	ds_write_b128 v118, v[12:15]
.LBB19_334:                             ;   in Loop: Header=BB19_326 Depth=1
	s_or_b64 exec, exec, s[42:43]
	v_mov_b32_e32 v12, s56
	v_add_co_u32_e32 v13, vcc, s41, v54
	v_addc_co_u32_e32 v12, vcc, v12, v55, vcc
	v_add_co_u32_e32 v13, vcc, v13, v152
	v_addc_co_u32_e32 v12, vcc, 0, v12, vcc
	v_add_co_u32_e32 v14, vcc, 0x80, v13
	v_addc_co_u32_e32 v12, vcc, 0, v12, vcc
	v_mov_b32_e32 v18, s39
	v_mov_b32_e32 v19, s38
	v_cndmask_b32_e64 v13, v18, v12, s[34:35]
	v_cndmask_b32_e64 v12, v19, v14, s[34:35]
	flat_load_dwordx4 v[12:15], v[12:13]
	v_mov_b32_e32 v16, s56
	v_add_co_u32_e32 v17, vcc, s41, v56
	v_addc_co_u32_e32 v16, vcc, v16, v57, vcc
	v_add_co_u32_e32 v17, vcc, v17, v153
	v_addc_co_u32_e32 v21, vcc, 0, v16, vcc
	v_cndmask_b32_e64 v16, v19, v17, s[10:11]
	v_cndmask_b32_e64 v17, v18, v21, s[10:11]
	s_waitcnt vmcnt(0) lgkmcnt(0)
	ds_write_b128 v149, v[12:15]
	flat_load_dwordx4 v[12:15], v[16:17]
	v_mov_b32_e32 v16, s56
	v_add_co_u32_e32 v17, vcc, s41, v58
	v_addc_co_u32_e32 v16, vcc, v16, v59, vcc
	v_add_co_u32_e32 v17, vcc, v17, v153
	v_addc_co_u32_e32 v21, vcc, 0, v16, vcc
	v_cndmask_b32_e64 v16, v19, v17, s[12:13]
	v_cndmask_b32_e64 v17, v18, v21, s[12:13]
	v_add_u32_e32 v21, 0x1800, v27
	s_and_b64 vcc, exec, s[30:31]
	s_waitcnt vmcnt(0) lgkmcnt(0)
	ds_write_b128 v150, v[12:15]
	flat_load_dwordx4 v[12:15], v[16:17]
	s_waitcnt vmcnt(0) lgkmcnt(0)
	ds_write_b128 v151, v[12:15]
	s_waitcnt lgkmcnt(0)
	s_barrier
	ds_read2_b64 v[12:15], v27 offset1:4
	ds_read2_b64 v[158:161], v21 offset0:192 offset1:196
	s_waitcnt lgkmcnt(1)
	v_mfma_f32_16x16x16f16 v[16:19], v[12:13], v[8:9], 0
	s_waitcnt lgkmcnt(0)
	v_mfma_f32_16x16x16f16 v[162:165], v[158:159], v[8:9], 0
	v_mfma_f32_16x16x16f16 v[12:15], v[14:15], v[10:11], v[16:19]
	;; [unrolled: 1-line block ×3, first 2 shown]
	ds_read2_b64 v[158:161], v27 offset0:8 offset1:12
	s_nop 7
	ds_read2_b64 v[162:165], v21 offset0:200 offset1:204
	s_waitcnt lgkmcnt(1)
	v_mfma_f32_16x16x16f16 v[12:15], v[158:159], v[4:5], v[12:15]
	s_waitcnt lgkmcnt(0)
	v_mfma_f32_16x16x16f16 v[16:19], v[162:163], v[4:5], v[16:19]
	v_mfma_f32_16x16x16f16 v[12:15], v[160:161], v[6:7], v[12:15]
	ds_read2_b64 v[158:161], v27 offset0:16 offset1:20
	v_mfma_f32_16x16x16f16 v[16:19], v[164:165], v[6:7], v[16:19]
	ds_read2_b64 v[162:165], v21 offset0:208 offset1:212
	s_waitcnt lgkmcnt(1)
	v_mfma_f32_16x16x16f16 v[12:15], v[158:159], v[0:1], v[12:15]
	s_waitcnt lgkmcnt(0)
	v_mfma_f32_16x16x16f16 v[16:19], v[162:163], v[0:1], v[16:19]
	v_mfma_f32_16x16x16f16 v[12:15], v[160:161], v[2:3], v[12:15]
	v_mfma_f32_16x16x16f16 v[158:161], v[164:165], v[2:3], v[16:19]
	s_nop 7
	s_nop 0
	ds_read_b64 v[16:17], v27 offset:192
	ds_read_b64 v[162:163], v27 offset:7872
	s_waitcnt lgkmcnt(0)
	s_barrier
	v_mfma_f32_16x16x16f16 v[16:19], v[16:17], v[24:25], v[12:15]
	v_mfma_f32_16x16x16f16 v[12:15], v[162:163], v[24:25], v[158:161]
	s_cbranch_vccnz .LBB19_336
; %bb.335:                              ;   in Loop: Header=BB19_326 Depth=1
	s_nop 5
	ds_read2_b32 v[158:159], v154 offset1:1
	ds_read_b32 v157, v119 offset:15360
	ds_read_b32 v162, v120 offset:15360
	v_mov_b32_e32 v21, v20
	s_waitcnt lgkmcnt(2)
	v_cvt_f32_f16_e32 v160, v158
	v_cvt_f32_f16_sdwa v161, v158 dst_sel:DWORD dst_unused:UNUSED_PAD src0_sel:WORD_1
	v_cvt_f32_f16_e32 v158, v159
	v_cvt_f32_f16_sdwa v159, v159 dst_sel:DWORD dst_unused:UNUSED_PAD src0_sel:WORD_1
	s_waitcnt lgkmcnt(1)
	v_cvt_f32_f16_sdwa v163, v157 dst_sel:DWORD dst_unused:UNUSED_PAD src0_sel:WORD_1
	s_waitcnt lgkmcnt(0)
	v_cvt_f32_f16_sdwa v165, v162 dst_sel:DWORD dst_unused:UNUSED_PAD src0_sel:WORD_1
	v_cvt_f32_f16_e32 v164, v162
	v_cvt_f32_f16_e32 v162, v157
	v_pk_fma_f32 v[18:19], v[20:21], v[158:159], v[18:19]
	v_pk_fma_f32 v[16:17], v[34:35], v[160:161], v[16:17]
	;; [unrolled: 1-line block ×4, first 2 shown]
.LBB19_336:                             ;   in Loop: Header=BB19_326 Depth=1
	s_nop 7
	s_nop 0
	v_add_f32_e32 v21, 0x40051340, v16
	v_max_f32_e32 v157, v88, v88
	v_max_f32_e32 v21, v157, v21
	v_cndmask_b32_e64 v21, v88, v21, s[14:15]
	v_add_f32_e32 v157, 0x40051340, v17
	v_max_f32_e32 v158, v21, v21
	v_max_f32_e32 v157, v158, v157
	v_cndmask_b32_e64 v21, v21, v157, s[16:17]
	;; [unrolled: 4-line block ×8, first 2 shown]
	ds_bpermute_b32 v157, v116, v21
	v_max_f32_e32 v21, v21, v21
	s_mul_hi_i32 s31, s40, s96
	s_mul_i32 s30, s40, s96
	s_lshl_b64 s[30:31], s[30:31], 2
	s_waitcnt lgkmcnt(0)
	v_max_f32_e32 v157, v157, v157
	v_max_f32_e32 v21, v21, v157
	ds_bpermute_b32 v157, v117, v21
	s_add_u32 s41, s33, s30
	s_addc_u32 s42, s44, s31
	buffer_store_dword v105, off, s[0:3], 0
	buffer_store_dword v105, off, s[0:3], 0 offset:4
	buffer_store_dword v105, off, s[0:3], 0 offset:8
	buffer_store_dword v105, off, s[0:3], 0 offset:12
	s_and_saveexec_b64 s[30:31], s[6:7]
	s_cbranch_execz .LBB19_338
; %bb.337:                              ;   in Loop: Header=BB19_326 Depth=1
	v_mov_b32_e32 v158, s42
	v_add_co_u32_e32 v159, vcc, s41, v60
	v_addc_co_u32_e32 v160, vcc, v158, v61, vcc
	v_lshlrev_b32_e32 v158, 2, v32
	v_add_co_u32_e32 v158, vcc, v159, v158
	v_addc_co_u32_e32 v159, vcc, 0, v160, vcc
	global_load_dwordx4 v[158:161], v[158:159], off offset:192
	s_waitcnt vmcnt(0)
	ds_write_b128 v118, v[158:161]
.LBB19_338:                             ;   in Loop: Header=BB19_326 Depth=1
	s_or_b64 exec, exec, s[30:31]
	v_mov_b32_e32 v158, s42
	v_add_co_u32_e32 v159, vcc, s41, v62
	v_addc_co_u32_e32 v158, vcc, v158, v63, vcc
	v_add_co_u32_e32 v159, vcc, v159, v152
	v_addc_co_u32_e32 v158, vcc, 0, v158, vcc
	;; [unrolled: 2-line block ×3, first 2 shown]
	v_mov_b32_e32 v163, s39
	v_mov_b32_e32 v165, s38
	v_cndmask_b32_e64 v159, v163, v158, s[34:35]
	v_cndmask_b32_e64 v158, v165, v160, s[34:35]
	flat_load_dwordx4 v[158:161], v[158:159]
	s_waitcnt lgkmcnt(0)
	v_max_f32_e32 v157, v157, v157
	v_max_f32_e32 v166, v21, v21
	v_cndmask_b32_e64 v168, v18, v18, s[16:17]
	v_mov_b32_e32 v172, s42
	v_max_f32_e32 v18, v166, v157
	v_add_co_u32_e32 v157, vcc, s41, v64
	v_addc_co_u32_e32 v166, vcc, v172, v65, vcc
	v_mov_b32_e32 v173, s42
	v_add_co_u32_e32 v172, vcc, s41, v66
	v_addc_co_u32_e32 v173, vcc, v173, v67, vcc
	v_sub_f32_e32 v174, v16, v18
	v_add_co_u32_e32 v16, vcc, v157, v153
	v_sub_f32_e32 v175, v17, v18
	v_addc_co_u32_e32 v17, vcc, 0, v166, vcc
	v_cndmask_b32_e64 v16, v165, v16, s[10:11]
	v_cndmask_b32_e64 v17, v163, v17, s[10:11]
	;; [unrolled: 1-line block ×3, first 2 shown]
	v_add_co_u32_e32 v157, vcc, v172, v153
	v_sub_f32_e32 v176, v167, v18
	v_addc_co_u32_e32 v167, vcc, 0, v173, vcc
	v_cndmask_b32_e64 v166, v165, v157, s[12:13]
	v_cndmask_b32_e64 v167, v163, v167, s[12:13]
	v_mul_f32_e32 v157, 0x3fb8aa3b, v174
	v_sub_f32_e32 v168, v168, v18
	v_mul_f32_e32 v165, 0x3fb8aa3b, v175
	v_fma_f32 v163, v174, s51, -v157
	v_rndne_f32_e32 v180, v157
	v_mul_f32_e32 v172, 0x3fb8aa3b, v168
	v_fma_f32 v181, v175, s51, -v165
	v_rndne_f32_e32 v182, v165
	v_fmac_f32_e32 v163, 0x32a5705f, v174
	v_sub_f32_e32 v157, v157, v180
	v_cndmask_b32_e64 v171, v13, v13, s[22:23]
	v_sub_f32_e32 v12, v12, v18
	v_mul_f32_e32 v173, 0x3fb8aa3b, v176
	v_fma_f32 v183, v168, s51, -v172
	v_rndne_f32_e32 v184, v172
	v_fmac_f32_e32 v181, 0x32a5705f, v175
	v_sub_f32_e32 v165, v165, v182
	v_add_f32_e32 v157, v157, v163
	v_cndmask_b32_e64 v170, v14, v14, s[22:23]
	v_sub_f32_e32 v171, v171, v18
	v_mul_f32_e32 v177, 0x3fb8aa3b, v12
	v_fma_f32 v185, v176, s51, -v173
	v_rndne_f32_e32 v186, v173
	v_cvt_i32_f32_e32 v180, v180
	v_fmac_f32_e32 v183, 0x32a5705f, v168
	v_sub_f32_e32 v172, v172, v184
	v_add_f32_e32 v163, v165, v181
	v_exp_f32_e32 v157, v157
	v_cndmask_b32_e64 v169, v15, v15, s[22:23]
	v_sub_f32_e32 v170, v170, v18
	v_mul_f32_e32 v178, 0x3fb8aa3b, v171
	v_fma_f32 v187, v12, s51, -v177
	v_rndne_f32_e32 v188, v177
	v_cvt_i32_f32_e32 v182, v182
	v_fmac_f32_e32 v185, 0x32a5705f, v176
	v_sub_f32_e32 v173, v173, v186
	v_add_f32_e32 v165, v172, v183
	v_exp_f32_e32 v163, v163
	v_sub_f32_e32 v169, v169, v18
	v_mul_f32_e32 v179, 0x3fb8aa3b, v170
	v_fma_f32 v189, v171, s51, -v178
	v_rndne_f32_e32 v190, v178
	v_cvt_i32_f32_e32 v184, v184
	v_fmac_f32_e32 v187, 0x32a5705f, v12
	v_sub_f32_e32 v177, v177, v188
	v_add_f32_e32 v172, v173, v185
	v_exp_f32_e32 v165, v165
	v_sub_f32_e32 v88, v88, v18
	v_fma_f32 v191, v170, s51, -v179
	s_waitcnt vmcnt(0)
	ds_write_b128 v149, v[158:161]
	flat_load_dwordx4 v[158:161], v[16:17]
	v_mul_f32_e32 v16, 0x3fb8aa3b, v169
	v_rndne_f32_e32 v192, v179
	v_cvt_i32_f32_e32 v186, v186
	v_fmac_f32_e32 v189, 0x32a5705f, v171
	v_sub_f32_e32 v178, v178, v190
	v_add_f32_e32 v173, v177, v187
	v_exp_f32_e32 v172, v172
	v_mul_f32_e32 v17, 0x3fb8aa3b, v88
	v_fma_f32 v193, v169, s51, -v16
	v_rndne_f32_e32 v194, v16
	v_cvt_i32_f32_e32 v188, v188
	v_fmac_f32_e32 v191, 0x32a5705f, v170
	v_sub_f32_e32 v179, v179, v192
	v_add_f32_e32 v177, v178, v189
	v_exp_f32_e32 v173, v173
	v_ldexp_f32 v157, v157, v180
	v_cmp_ngt_f32_e32 vcc, s52, v174
	v_fma_f32 v195, v88, s51, -v17
	v_rndne_f32_e32 v196, v17
	v_cvt_i32_f32_e32 v190, v190
	v_fmac_f32_e32 v193, 0x32a5705f, v169
	v_sub_f32_e32 v16, v16, v194
	v_add_f32_e32 v178, v179, v191
	v_exp_f32_e32 v177, v177
	v_ldexp_f32 v163, v163, v182
	v_cndmask_b32_e32 v157, 0, v157, vcc
	v_cmp_ngt_f32_e32 vcc, s52, v175
	v_cvt_i32_f32_e32 v192, v192
	v_fmac_f32_e32 v195, 0x32a5705f, v88
	v_sub_f32_e32 v17, v17, v196
	v_add_f32_e32 v16, v16, v193
	v_exp_f32_e32 v178, v178
	v_ldexp_f32 v165, v165, v184
	v_cndmask_b32_e32 v163, 0, v163, vcc
	v_cmp_ngt_f32_e32 vcc, s52, v168
	v_cvt_i32_f32_e32 v194, v194
	v_add_f32_e32 v17, v17, v195
	v_exp_f32_e32 v16, v16
	v_ldexp_f32 v172, v172, v186
	v_cndmask_b32_e32 v165, 0, v165, vcc
	v_cmp_ngt_f32_e32 vcc, s52, v176
	v_cvt_i32_f32_e32 v196, v196
	v_exp_f32_e32 v17, v17
	v_ldexp_f32 v173, v173, v188
	v_ldexp_f32 v177, v177, v190
	v_ldexp_f32 v178, v178, v192
	v_ldexp_f32 v16, v16, v194
	v_ldexp_f32 v17, v17, v196
	v_mov_b32_e32 v162, s49
	v_mov_b32_e32 v164, s49
	;; [unrolled: 1-line block ×7, first 2 shown]
	s_add_i32 s48, s48, 1
	s_add_i32 s40, s40, 64
	s_waitcnt vmcnt(0) lgkmcnt(0)
	ds_write_b128 v150, v[158:161]
	flat_load_dwordx4 v[158:161], v[166:167]
	v_cndmask_b32_e32 v166, 0, v172, vcc
	v_cmp_ngt_f32_e32 vcc, s52, v12
	v_cndmask_b32_e32 v167, 0, v173, vcc
	v_cmp_ngt_f32_e32 vcc, s52, v171
	;; [unrolled: 2-line block ×5, first 2 shown]
	v_cndmask_b32_e32 v17, 0, v17, vcc
	v_cmp_nlt_f32_e32 vcc, s53, v174
	v_cndmask_b32_e32 v157, v155, v157, vcc
	v_cmp_nlt_f32_e32 vcc, s53, v175
	;; [unrolled: 2-line block ×9, first 2 shown]
	v_cndmask_b32_e32 v17, v155, v17, vcc
	v_cndmask_b32_e64 v12, 0, v157, s[14:15]
	v_cmp_le_f32_e32 vcc, s54, v88
	v_cndmask_b32_e64 v157, v162, v165, s[18:19]
	v_cndmask_b32_e64 v162, v164, v167, s[22:23]
	v_cndmask_b32_e32 v17, 0, v17, vcc
	v_cndmask_b32_e64 v164, v15, v16, s[28:29]
	v_cndmask_b32_e64 v15, v19, v166, s[20:21]
	v_add_f32_e32 v19, v163, v12
	v_cndmask_b32_e64 v13, v13, v168, s[24:25]
	v_cvt_f16_f32_e32 v169, v17
	v_cvt_f16_f32_e32 v172, v12
	v_cndmask_b32_e64 v12, v12, v19, s[16:17]
	v_cndmask_b32_e64 v21, v21, v163, s[16:17]
	v_cvt_f16_f32_e32 v163, v13
	v_add_f32_e32 v13, v12, v165
	v_cndmask_b32_e64 v12, v12, v13, s[18:19]
	v_add_f32_e32 v13, v12, v166
	v_cvt_f16_f32_e32 v173, v15
	v_pk_mul_f16 v15, v169, v89 op_sel_hi:[0,1]
	v_pk_mul_f16 v89, v169, v80 op_sel_hi:[0,1]
	v_cndmask_b32_e64 v80, v12, v13, s[20:21]
	v_pk_mul_f16 v165, v169, v81 op_sel_hi:[0,1]
	v_add_f32_e32 v81, v167, v80
	v_cndmask_b32_e64 v80, v80, v81, s[22:23]
	v_add_f32_e32 v81, v168, v80
	v_cndmask_b32_e64 v80, v80, v81, s[24:25]
	;; [unrolled: 2-line block ×4, first 2 shown]
	v_cndmask_b32_e64 v88, v80, v16, s[28:29]
	v_cvt_f16_f32_e32 v171, v14
	v_pk_mul_f16 v14, v169, v90 op_sel_hi:[0,1]
	v_pk_mul_f16 v166, v169, v83 op_sel_hi:[0,1]
	;; [unrolled: 1-line block ×3, first 2 shown]
	v_fmac_f32_e32 v88, v156, v17
	v_cvt_f16_f32_e32 v21, v21
	v_cvt_f16_f32_e32 v157, v157
	v_cvt_f32_f16_e32 v12, v14
	v_cvt_f32_f16_sdwa v13, v14 dst_sel:DWORD dst_unused:UNUSED_PAD src0_sel:WORD_1
	v_cvt_f32_f16_e32 v14, v15
	v_cvt_f32_f16_sdwa v15, v15 dst_sel:DWORD dst_unused:UNUSED_PAD src0_sel:WORD_1
	v_pk_mul_f16 v19, v169, v92 op_sel_hi:[0,1]
	v_pk_mul_f16 v92, v169, v82 op_sel_hi:[0,1]
	v_cvt_f16_f32_e32 v162, v162
	v_pk_mul_f16 v86, v169, v86 op_sel_hi:[0,1]
	v_pk_mul_f16 v79, v169, v79 op_sel_hi:[0,1]
	;; [unrolled: 1-line block ×3, first 2 shown]
	v_pack_b32_f16 v162, v162, v163
	v_pk_mul_f16 v76, v169, v76 op_sel_hi:[0,1]
	s_waitcnt vmcnt(0) lgkmcnt(0)
	ds_write_b128 v151, v[158:161]
	s_waitcnt lgkmcnt(0)
	s_barrier
	ds_read_u16 v16, v121
	ds_read_u16 v83, v121 offset:32
	ds_read_u16 v85, v121 offset:64
	;; [unrolled: 1-line block ×7, first 2 shown]
	ds_read_u16 v81, v123
	ds_read_u16 v90, v123 offset:32
	ds_read_u16 v167, v123 offset:64
	;; [unrolled: 1-line block ×5, first 2 shown]
	s_waitcnt lgkmcnt(5)
	v_perm_b32 v17, v81, v17, s55
	v_perm_b32 v16, v80, v16, s55
	v_pack_b32_f16 v160, v172, v21
	v_pack_b32_f16 v161, v157, v173
	ds_read_u16 v81, v121 offset:7680
	ds_read_u16 v176, v121 offset:192
	v_mfma_f32_16x16x16f16 v[12:15], v[16:17], v[160:161], v[12:15]
	v_cvt_f16_f32_e32 v80, v164
	ds_read_u16 v16, v124 offset:480
	ds_read_u16 v21, v125 offset:240
	;; [unrolled: 1-line block ×8, first 2 shown]
	v_cmp_lt_i32_e32 vcc, s48, v104
	v_pack_b32_f16 v163, v171, v80
	v_cvt_f32_f16_e32 v80, v19
	s_waitcnt lgkmcnt(1)
	v_perm_b32 v17, v17, v16, s55
	v_cvt_f16_f32_e32 v12, v12
	v_cvt_f16_f32_e32 v13, v13
	;; [unrolled: 1-line block ×4, first 2 shown]
	v_perm_b32 v16, v82, v81, s55
	v_cvt_f32_f16_e32 v12, v12
	v_cvt_f32_f16_e32 v13, v13
	;; [unrolled: 1-line block ×4, first 2 shown]
	v_cvt_f32_f16_sdwa v81, v19 dst_sel:DWORD dst_unused:UNUSED_PAD src0_sel:WORD_1
	v_cvt_f32_f16_e32 v82, v86
	v_mfma_f32_16x16x16f16 v[12:15], v[16:17], v[162:163], v[12:15]
	v_perm_b32 v17, v90, v157, s55
	v_perm_b32 v16, v21, v83, s55
	v_cvt_f32_f16_sdwa v83, v86 dst_sel:DWORD dst_unused:UNUSED_PAD src0_sel:WORD_1
	v_pk_mul_f16 v21, v169, v74 op_sel_hi:[0,1]
	v_pk_mul_f16 v19, v169, v75 op_sel_hi:[0,1]
	s_and_b64 vcc, exec, vcc
	s_nop 4
	v_cvt_f16_f32_e32 v74, v12
	v_mfma_f32_16x16x16f16 v[80:83], v[16:17], v[160:161], v[80:83]
	s_nop 7
	s_nop 2
	v_cvt_f16_f32_e32 v12, v80
	v_cvt_f16_f32_e32 v16, v81
	;; [unrolled: 1-line block ×4, first 2 shown]
	v_cvt_f32_f16_e32 v80, v12
	v_cvt_f32_f16_e32 v81, v16
	ds_read_u16 v12, v127 offset:480
	ds_read_u16 v16, v128 offset:7680
	;; [unrolled: 1-line block ×8, first 2 shown]
	v_cvt_f32_f16_e32 v82, v17
	s_waitcnt lgkmcnt(6)
	v_perm_b32 v17, v16, v12, s55
	v_perm_b32 v16, v172, v164, s55
	v_cvt_f32_f16_e32 v83, v75
	v_cvt_f16_f32_e32 v75, v13
	v_cvt_f16_f32_e32 v164, v14
	;; [unrolled: 1-line block ×3, first 2 shown]
	v_mfma_f32_16x16x16f16 v[12:15], v[16:17], v[162:163], v[80:83]
	s_waitcnt lgkmcnt(4)
	v_perm_b32 v17, v167, v90, s55
	v_perm_b32 v16, v86, v85, s55
	v_pack_b32_f16 v90, v74, v75
	s_nop 2
	v_cvt_f32_f16_e32 v80, v89
	v_cvt_f32_f16_sdwa v81, v89 dst_sel:DWORD dst_unused:UNUSED_PAD src0_sel:WORD_1
	v_cvt_f32_f16_e32 v82, v79
	v_cvt_f32_f16_sdwa v83, v79 dst_sel:DWORD dst_unused:UNUSED_PAD src0_sel:WORD_1
	v_cvt_f16_f32_e32 v74, v12
	v_pack_b32_f16 v89, v164, v172
	v_mfma_f32_16x16x16f16 v[80:83], v[16:17], v[160:161], v[80:83]
	v_cvt_f16_f32_e32 v79, v14
	v_cvt_f16_f32_e32 v85, v15
	v_pack_b32_f16 v86, v79, v85
	v_cvt_f32_f16_sdwa v85, v166 dst_sel:DWORD dst_unused:UNUSED_PAD src0_sel:WORD_1
	s_nop 6
	v_cvt_f16_f32_e32 v16, v81
	v_cvt_f16_f32_e32 v17, v82
	v_cvt_f16_f32_e32 v12, v80
	v_cvt_f16_f32_e32 v75, v83
	v_cvt_f32_f16_e32 v81, v16
	v_cvt_f32_f16_e32 v82, v17
	s_waitcnt lgkmcnt(0)
	v_perm_b32 v17, v177, v171, s55
	v_perm_b32 v16, v169, v157, s55
	v_cvt_f32_f16_e32 v80, v12
	v_cvt_f32_f16_e32 v83, v75
	v_cvt_f16_f32_e32 v75, v13
	s_nop 0
	v_mfma_f32_16x16x16f16 v[12:15], v[16:17], v[162:163], v[80:83]
	ds_read_u16 v16, v133 offset:240
	ds_read_u16 v17, v133 offset:480
	;; [unrolled: 1-line block ×8, first 2 shown]
	s_waitcnt lgkmcnt(6)
	v_perm_b32 v17, v168, v17, s55
	v_perm_b32 v16, v16, v156, s55
	v_cvt_f32_f16_e32 v80, v92
	v_cvt_f32_f16_sdwa v81, v92 dst_sel:DWORD dst_unused:UNUSED_PAD src0_sel:WORD_1
	v_cvt_f32_f16_e32 v82, v165
	v_cvt_f32_f16_sdwa v83, v165 dst_sel:DWORD dst_unused:UNUSED_PAD src0_sel:WORD_1
	v_pack_b32_f16 v92, v74, v75
	v_cvt_f16_f32_e32 v74, v12
	v_mfma_f32_16x16x16f16 v[80:83], v[16:17], v[160:161], v[80:83]
	v_cvt_f16_f32_e32 v79, v14
	v_cvt_f16_f32_e32 v156, v15
	v_pack_b32_f16 v79, v79, v156
	v_cvt_f32_f16_e32 v156, v174
	s_nop 6
	v_cvt_f16_f32_e32 v16, v81
	v_cvt_f16_f32_e32 v17, v82
	;; [unrolled: 1-line block ×4, first 2 shown]
	v_cvt_f32_f16_e32 v81, v16
	v_cvt_f32_f16_e32 v82, v17
	s_waitcnt lgkmcnt(2)
	v_perm_b32 v17, v169, v167, s55
	v_perm_b32 v16, v164, v157, s55
	v_cvt_f32_f16_e32 v80, v12
	v_cvt_f32_f16_e32 v83, v75
	v_cvt_f16_f32_e32 v75, v13
	v_cvt_f32_f16_sdwa v157, v174 dst_sel:DWORD dst_unused:UNUSED_PAD src0_sel:WORD_1
	v_mfma_f32_16x16x16f16 v[12:15], v[16:17], v[162:163], v[80:83]
	s_waitcnt lgkmcnt(0)
	v_perm_b32 v17, v170, v172, s55
	v_perm_b32 v16, v171, v158, s55
	v_cvt_f32_f16_e32 v158, v76
	s_nop 2
	v_cvt_f32_f16_e32 v82, v84
	v_cvt_f32_f16_sdwa v83, v84 dst_sel:DWORD dst_unused:UNUSED_PAD src0_sel:WORD_1
	v_cvt_f32_f16_e32 v84, v166
	v_pack_b32_f16 v80, v74, v75
	v_cvt_f16_f32_e32 v74, v12
	v_mfma_f32_16x16x16f16 v[82:85], v[16:17], v[160:161], v[82:85]
	v_cvt_f16_f32_e32 v168, v15
	s_nop 7
	s_nop 1
	v_cvt_f16_f32_e32 v12, v82
	v_cvt_f16_f32_e32 v16, v83
	;; [unrolled: 1-line block ×4, first 2 shown]
	v_cvt_f32_f16_e32 v82, v12
	v_cvt_f32_f16_e32 v83, v16
	;; [unrolled: 1-line block ×3, first 2 shown]
	ds_read_u16 v12, v138 offset:7680
	ds_read_u16 v16, v139 offset:240
	;; [unrolled: 1-line block ×8, first 2 shown]
	s_waitcnt lgkmcnt(4)
	v_perm_b32 v17, v81, v17, s55
	v_perm_b32 v16, v16, v12, s55
	v_cvt_f32_f16_e32 v85, v75
	v_cvt_f16_f32_e32 v75, v13
	v_cvt_f16_f32_e32 v81, v14
	v_mfma_f32_16x16x16f16 v[12:15], v[16:17], v[162:163], v[82:85]
	s_waitcnt lgkmcnt(2)
	v_perm_b32 v17, v175, v165, s55
	v_perm_b32 v16, v164, v159, s55
	v_cvt_f32_f16_sdwa v159, v76 dst_sel:DWORD dst_unused:UNUSED_PAD src0_sel:WORD_1
	v_pack_b32_f16 v81, v81, v168
	s_nop 1
	v_pack_b32_f16 v82, v74, v75
	s_nop 2
	v_cvt_f16_f32_e32 v74, v12
	v_mfma_f32_16x16x16f16 v[156:159], v[16:17], v[160:161], v[156:159]
	s_nop 7
	s_nop 2
	v_cvt_f16_f32_e32 v12, v156
	v_cvt_f16_f32_e32 v16, v157
	;; [unrolled: 1-line block ×4, first 2 shown]
	v_cvt_f32_f16_e32 v156, v12
	v_cvt_f32_f16_e32 v157, v16
	ds_read_u16 v12, v143 offset:480
	ds_read_u16 v16, v144 offset:7680
	ds_read_u16 v76, v145 offset:240
	ds_read_u16 v83, v145 offset:480
	ds_read_u16 v85, v146 offset:7680
	ds_read_u16 v164, v147 offset:240
	ds_read_u16 v165, v147 offset:480
	ds_read_u16 v168, v148 offset:7680
	v_cvt_f32_f16_e32 v158, v17
	s_waitcnt lgkmcnt(6)
	v_perm_b32 v17, v16, v12, s55
	v_perm_b32 v16, v167, v166, s55
	v_cvt_f32_f16_e32 v159, v75
	v_cvt_f16_f32_e32 v75, v13
	v_cvt_f16_f32_e32 v166, v14
	;; [unrolled: 1-line block ×3, first 2 shown]
	v_mfma_f32_16x16x16f16 v[12:15], v[16:17], v[162:163], v[156:159]
	s_waitcnt lgkmcnt(4)
	v_perm_b32 v17, v173, v83, s55
	v_perm_b32 v16, v76, v176, s55
	v_pack_b32_f16 v84, v74, v75
	v_pack_b32_f16 v83, v166, v167
	s_waitcnt lgkmcnt(0)
	s_nop 0
	v_cvt_f32_f16_e32 v156, v19
	v_cvt_f32_f16_sdwa v157, v19 dst_sel:DWORD dst_unused:UNUSED_PAD src0_sel:WORD_1
	v_cvt_f32_f16_e32 v158, v21
	v_cvt_f32_f16_sdwa v159, v21 dst_sel:DWORD dst_unused:UNUSED_PAD src0_sel:WORD_1
	v_cvt_f16_f32_e32 v19, v12
	v_cvt_f16_f32_e32 v74, v14
	v_mfma_f32_16x16x16f16 v[156:159], v[16:17], v[160:161], v[156:159]
	v_cvt_f16_f32_e32 v75, v15
	s_barrier
	v_pack_b32_f16 v76, v74, v75
	s_nop 7
	v_cvt_f16_f32_e32 v16, v157
	v_cvt_f16_f32_e32 v17, v158
	;; [unrolled: 1-line block ×4, first 2 shown]
	v_cvt_f32_f16_e32 v157, v16
	v_cvt_f32_f16_e32 v158, v17
	v_perm_b32 v17, v168, v165, s55
	v_perm_b32 v16, v164, v85, s55
	v_cvt_f32_f16_e32 v156, v12
	v_cvt_f32_f16_e32 v159, v21
	v_cvt_f16_f32_e32 v21, v13
	v_pack_b32_f16 v85, v19, v21
	v_mfma_f32_16x16x16f16 v[12:15], v[16:17], v[162:163], v[156:159]
	s_nop 7
	s_nop 2
	v_cvt_f16_f32_e32 v12, v12
	v_cvt_f16_f32_e32 v13, v13
	v_cvt_f16_f32_e32 v14, v14
	v_cvt_f16_f32_e32 v15, v15
	v_pack_b32_f16 v75, v12, v13
	v_pack_b32_f16 v74, v14, v15
	s_cbranch_vccz .LBB19_341
; %bb.339:                              ;   in Loop: Header=BB19_326 Depth=1
	v_mov_b32_e32 v156, v88
	v_mov_b32_e32 v88, v18
	s_branch .LBB19_326
.LBB19_340:
	v_mov_b32_e32 v88, 0
	v_mov_b32_e32 v18, 0xfeffffff
	;; [unrolled: 1-line block ×15, first 2 shown]
.LBB19_341:
	s_lshl_b32 s30, s48, 6
	v_readlane_b32 s4, v254, 4
	s_sub_i32 s34, s4, s30
	s_cmp_lg_u64 s[8:9], 0
	s_cselect_b64 s[6:7], -1, 0
	s_ashr_i32 s31, s30, 31
	s_cmp_eq_u64 s[8:9], 0
	v_readlane_b32 s5, v254, 5
	s_cbranch_scc1 .LBB19_359
; %bb.342:
	s_lshl_b64 s[4:5], s[30:31], 1
	s_add_u32 s4, s8, s4
	s_addc_u32 s5, s9, s5
	v_mov_b32_e32 v13, s5
	v_add_co_u32_e64 v12, s[4:5], s4, v103
	v_cmp_gt_i32_e32 vcc, s34, v31
	v_mov_b32_e32 v14, 0
	v_addc_co_u32_e64 v13, s[4:5], 0, v13, s[4:5]
	v_mov_b32_e32 v16, 0
	s_and_saveexec_b64 s[8:9], vcc
	s_cbranch_execz .LBB19_344
; %bb.343:
	v_add_u32_e32 v15, s45, v98
	v_readlane_b32 s4, v254, 10
	v_mul_hi_u32 v16, s4, v15
	v_readlane_b32 s5, v254, 11
	v_add_u32_e32 v16, v15, v16
	v_lshrrev_b32_e32 v16, s5, v16
	v_mul_lo_u32 v16, v16, s64
	v_sub_u32_e32 v15, v15, v16
	v_mad_i64_i32 v[16:17], s[4:5], v15, s62, 0
	v_lshlrev_b64 v[16:17], 1, v[16:17]
	v_add_co_u32_e64 v16, s[4:5], v12, v16
	v_addc_co_u32_e64 v17, s[4:5], v13, v17, s[4:5]
	flat_load_ushort v16, v[16:17]
.LBB19_344:
	s_or_b64 exec, exec, s[8:9]
	s_movk_i32 s4, 0x90
	v_mad_u32_u24 v15, v98, s4, 0
	v_lshl_add_u32 v17, v31, 1, v15
	s_waitcnt vmcnt(0) lgkmcnt(0)
	ds_write_b16 v17, v16 offset:15360
	s_and_saveexec_b64 s[8:9], vcc
	s_cbranch_execz .LBB19_346
; %bb.345:
	v_add3_u32 v14, v98, s45, 4
	v_readlane_b32 s4, v254, 10
	v_mul_hi_u32 v16, s4, v14
	v_readlane_b32 s5, v254, 11
	v_add_u32_e32 v16, v14, v16
	v_lshrrev_b32_e32 v16, s5, v16
	v_mul_lo_u32 v16, v16, s64
	v_sub_u32_e32 v14, v14, v16
	v_mad_i64_i32 v[16:17], s[4:5], v14, s62, 0
	v_lshlrev_b64 v[16:17], 1, v[16:17]
	v_add_co_u32_e64 v16, s[4:5], v12, v16
	v_addc_co_u32_e64 v17, s[4:5], v13, v17, s[4:5]
	flat_load_ushort v14, v[16:17]
.LBB19_346:
	s_or_b64 exec, exec, s[8:9]
	v_add_u32_e32 v15, 0x240, v15
	v_lshl_add_u32 v16, v31, 1, v15
	s_waitcnt vmcnt(0) lgkmcnt(0)
	ds_write_b16 v16, v14 offset:15360
	v_mov_b32_e32 v14, 0
	v_mov_b32_e32 v16, 0
	s_and_saveexec_b64 s[8:9], vcc
	s_cbranch_execz .LBB19_348
; %bb.347:
	v_add3_u32 v16, v98, s45, 8
	v_readlane_b32 s4, v254, 10
	v_mul_hi_u32 v17, s4, v16
	v_readlane_b32 s5, v254, 11
	v_add_u32_e32 v17, v16, v17
	v_lshrrev_b32_e32 v17, s5, v17
	v_mul_lo_u32 v17, v17, s64
	v_sub_u32_e32 v16, v16, v17
	v_mad_i64_i32 v[16:17], s[4:5], v16, s62, 0
	v_lshlrev_b64 v[16:17], 1, v[16:17]
	v_add_co_u32_e64 v16, s[4:5], v12, v16
	v_addc_co_u32_e64 v17, s[4:5], v13, v17, s[4:5]
	flat_load_ushort v16, v[16:17]
.LBB19_348:
	s_or_b64 exec, exec, s[8:9]
	v_add_u32_e32 v15, 0x240, v15
	v_lshl_add_u32 v17, v31, 1, v15
	s_waitcnt vmcnt(0) lgkmcnt(0)
	ds_write_b16 v17, v16 offset:15360
	s_and_saveexec_b64 s[8:9], vcc
	s_cbranch_execz .LBB19_350
; %bb.349:
	v_add3_u32 v14, v98, s45, 12
	v_readlane_b32 s4, v254, 10
	v_mul_hi_u32 v16, s4, v14
	v_readlane_b32 s5, v254, 11
	v_add_u32_e32 v16, v14, v16
	v_lshrrev_b32_e32 v16, s5, v16
	v_mul_lo_u32 v16, v16, s64
	v_sub_u32_e32 v14, v14, v16
	v_mad_i64_i32 v[16:17], s[4:5], v14, s62, 0
	v_lshlrev_b64 v[16:17], 1, v[16:17]
	v_add_co_u32_e64 v16, s[4:5], v12, v16
	v_addc_co_u32_e64 v17, s[4:5], v13, v17, s[4:5]
	flat_load_ushort v14, v[16:17]
.LBB19_350:
	s_or_b64 exec, exec, s[8:9]
	v_add_u32_e32 v15, 0x240, v15
	v_lshl_add_u32 v16, v31, 1, v15
	s_waitcnt vmcnt(0) lgkmcnt(0)
	ds_write_b16 v16, v14 offset:15360
	v_mov_b32_e32 v14, 0
	v_mov_b32_e32 v16, 0
	s_and_saveexec_b64 s[8:9], vcc
	s_cbranch_execz .LBB19_352
; %bb.351:
	v_add3_u32 v16, v98, s45, 16
	v_readlane_b32 s4, v254, 10
	v_mul_hi_u32 v17, s4, v16
	v_readlane_b32 s5, v254, 11
	v_add_u32_e32 v17, v16, v17
	v_lshrrev_b32_e32 v17, s5, v17
	v_mul_lo_u32 v17, v17, s64
	v_sub_u32_e32 v16, v16, v17
	v_mad_i64_i32 v[16:17], s[4:5], v16, s62, 0
	v_lshlrev_b64 v[16:17], 1, v[16:17]
	v_add_co_u32_e64 v16, s[4:5], v12, v16
	v_addc_co_u32_e64 v17, s[4:5], v13, v17, s[4:5]
	flat_load_ushort v16, v[16:17]
.LBB19_352:
	s_or_b64 exec, exec, s[8:9]
	v_add_u32_e32 v15, 0x240, v15
	;; [unrolled: 46-line block ×3, first 2 shown]
	v_lshl_add_u32 v15, v31, 1, v15
	s_waitcnt vmcnt(0) lgkmcnt(0)
	ds_write_b16 v15, v16 offset:15360
	s_and_saveexec_b64 s[4:5], vcc
	s_cbranch_execz .LBB19_358
; %bb.357:
	v_add3_u32 v14, v98, s45, 28
	v_readlane_b32 s8, v254, 10
	v_mul_hi_u32 v16, s8, v14
	v_readlane_b32 s9, v254, 11
	v_add_u32_e32 v16, v14, v16
	v_lshrrev_b32_e32 v16, s9, v16
	v_mul_lo_u32 v16, v16, s64
	v_sub_u32_e32 v14, v14, v16
	v_mad_i64_i32 v[16:17], s[8:9], v14, s62, 0
	v_lshlrev_b64 v[16:17], 1, v[16:17]
	v_add_co_u32_e32 v12, vcc, v12, v16
	v_addc_co_u32_e32 v13, vcc, v13, v17, vcc
	flat_load_ushort v14, v[12:13]
.LBB19_358:
	s_or_b64 exec, exec, s[4:5]
	s_waitcnt vmcnt(0) lgkmcnt(0)
	ds_write_b16 v15, v14 offset:15936
.LBB19_359:
	s_mul_hi_i32 s5, s30, s94
	s_mul_i32 s4, s30, s94
	s_lshl_b64 s[4:5], s[4:5], 2
	s_add_u32 s10, s46, s4
	v_lshl_add_u32 v32, v98, 5, v102
	s_addc_u32 s11, s47, s5
	s_mov_b64 s[4:5], src_private_base
	v_mov_b32_e32 v12, 0
	v_cmp_gt_u32_e64 s[26:27], 64, v32
	buffer_store_dword v12, off, s[0:3], 0
	buffer_store_dword v12, off, s[0:3], 0 offset:4
	buffer_store_dword v12, off, s[0:3], 0 offset:8
	;; [unrolled: 1-line block ×3, first 2 shown]
                                        ; implicit-def: $vgpr35
	s_and_saveexec_b64 s[8:9], s[26:27]
	s_xor_b64 s[8:9], exec, s[8:9]
	s_cbranch_execz .LBB19_361
; %bb.360:
	v_mul_lo_u32 v12, s94, v32
	v_ashrrev_i32_e32 v13, 31, v12
	v_lshlrev_b64 v[12:13], 2, v[12:13]
	v_mov_b32_e32 v14, s11
	v_add_co_u32_e32 v12, vcc, s10, v12
	v_addc_co_u32_e32 v13, vcc, v14, v13, vcc
	v_lshlrev_b32_e32 v14, 4, v31
	v_and_b32_e32 v16, 16, v14
	v_add_co_u32_e32 v12, vcc, v12, v16
	v_addc_co_u32_e32 v13, vcc, 0, v13, vcc
	v_add_co_u32_e32 v12, vcc, 0xc0, v12
	v_addc_co_u32_e32 v13, vcc, 0, v13, vcc
	v_mov_b32_e32 v14, s5
	v_cmp_gt_i32_e32 vcc, s34, v32
	v_cndmask_b32_e32 v13, v14, v13, vcc
	v_mov_b32_e32 v14, 0
	v_cndmask_b32_e32 v12, v14, v12, vcc
	flat_load_dwordx4 v[12:15], v[12:13]
	v_mul_u32_u24_e32 v17, 0xf0, v32
	v_add3_u32 v16, 0, v17, v16
	v_lshlrev_b32_e32 v35, 2, v31
	s_waitcnt vmcnt(0) lgkmcnt(0)
	ds_write_b128 v16, v[12:15] offset:192
.LBB19_361:
	s_andn2_saveexec_b64 s[8:9], s[8:9]
; %bb.362:
	v_lshlrev_b32_e32 v35, 2, v31
; %bb.363:
	s_or_b64 exec, exec, s[8:9]
	v_add_u32_e32 v21, v99, v78
	v_mul_lo_u32 v12, s94, v21
	v_ashrrev_i32_e32 v13, 31, v12
	v_lshlrev_b64 v[12:13], 2, v[12:13]
	v_mov_b32_e32 v14, s11
	v_add_co_u32_e32 v12, vcc, s10, v12
	v_addc_co_u32_e32 v13, vcc, v14, v13, vcc
	v_and_b32_e32 v14, 12, v35
	v_lshlrev_b32_e32 v19, 2, v14
	v_add_co_u32_e32 v12, vcc, v12, v19
	v_addc_co_u32_e32 v13, vcc, 0, v13, vcc
	s_movk_i32 s4, 0x80
	v_add_co_u32_e32 v12, vcc, s4, v12
	v_addc_co_u32_e32 v13, vcc, 0, v13, vcc
	v_mov_b32_e32 v34, s5
	v_cmp_gt_i32_e64 s[22:23], s34, v21
	v_mov_b32_e32 v38, 0
	v_cndmask_b32_e64 v13, v34, v13, s[22:23]
	v_cndmask_b32_e64 v12, v38, v12, s[22:23]
	flat_load_dwordx4 v[12:15], v[12:13]
	v_and_b32_e32 v16, 28, v35
	v_lshlrev_b64 v[28:29], 2, v[28:29]
	v_mov_b32_e32 v27, s11
	v_lshlrev_b32_e32 v17, 2, v16
	v_add_co_u32_e32 v16, vcc, s10, v28
	v_addc_co_u32_e32 v27, vcc, v27, v29, vcc
	v_mul_u32_u24_e32 v36, 0xf0, v21
	v_add_co_u32_e32 v16, vcc, v16, v17
	v_add3_u32 v28, 0, v36, v19
	v_addc_co_u32_e32 v27, vcc, 0, v27, vcc
	v_cmp_gt_i32_e64 s[20:21], s34, v91
	v_cndmask_b32_e64 v37, v34, v27, s[20:21]
	v_cndmask_b32_e64 v36, v38, v16, s[20:21]
	v_ashrrev_i32_e32 v27, 31, v26
	v_lshlrev_b64 v[26:27], 2, v[26:27]
	v_mov_b32_e32 v29, s11
	v_add_co_u32_e32 v26, vcc, s10, v26
	v_addc_co_u32_e32 v27, vcc, v29, v27, vcc
	v_mul_u32_u24_e32 v16, 0xf0, v91
	v_add_co_u32_e32 v26, vcc, v26, v17
	v_add3_u32 v16, 0, v16, v17
	v_addc_co_u32_e32 v27, vcc, 0, v27, vcc
	v_cmp_gt_i32_e64 s[18:19], s34, v77
	v_cndmask_b32_e64 v27, v34, v27, s[18:19]
	v_cndmask_b32_e64 v26, v38, v26, s[18:19]
	s_and_b64 vcc, exec, s[6:7]
	s_waitcnt vmcnt(0) lgkmcnt(0)
	ds_write_b128 v28, v[12:15] offset:128
	flat_load_dwordx4 v[12:15], v[36:37]
	s_waitcnt vmcnt(0) lgkmcnt(0)
	ds_write_b128 v16, v[12:15]
	flat_load_dwordx4 v[12:15], v[26:27]
	v_and_b32_e32 v26, 16, v99
	v_add_u32_e32 v27, 0, v94
	v_mul_u32_u24_e32 v29, 0xf0, v26
	v_add3_u32 v27, v27, v95, v29
	v_add_u32_e32 v29, 0x1800, v27
	s_waitcnt vmcnt(0) lgkmcnt(0)
	ds_write_b128 v16, v[12:15] offset:7680
	s_waitcnt lgkmcnt(0)
	s_barrier
	ds_read2_b64 v[12:15], v27 offset1:4
	ds_read2_b64 v[40:43], v29 offset0:192 offset1:196
	s_waitcnt lgkmcnt(1)
	v_mfma_f32_16x16x16f16 v[36:39], v[12:13], v[8:9], 0
	s_waitcnt lgkmcnt(0)
	v_mfma_f32_16x16x16f16 v[44:47], v[40:41], v[8:9], 0
	v_mfma_f32_16x16x16f16 v[12:15], v[14:15], v[10:11], v[36:39]
	;; [unrolled: 1-line block ×3, first 2 shown]
	s_nop 6
	ds_read2_b64 v[36:39], v27 offset0:8 offset1:12
	ds_read2_b64 v[40:43], v29 offset0:200 offset1:204
	s_waitcnt lgkmcnt(1)
	v_mfma_f32_16x16x16f16 v[12:15], v[36:37], v[4:5], v[12:15]
	s_waitcnt lgkmcnt(0)
	v_mfma_f32_16x16x16f16 v[8:11], v[40:41], v[4:5], v[8:11]
	v_mfma_f32_16x16x16f16 v[12:15], v[38:39], v[6:7], v[12:15]
	ds_read2_b64 v[36:39], v29 offset0:208 offset1:212
	v_mfma_f32_16x16x16f16 v[4:7], v[42:43], v[6:7], v[8:11]
	s_nop 7
	ds_read2_b64 v[8:11], v27 offset0:16 offset1:20
	s_waitcnt lgkmcnt(0)
	v_mfma_f32_16x16x16f16 v[12:15], v[8:9], v[0:1], v[12:15]
	v_mfma_f32_16x16x16f16 v[4:7], v[36:37], v[0:1], v[4:7]
	;; [unrolled: 1-line block ×4, first 2 shown]
	s_nop 7
	s_nop 0
	ds_read_b64 v[4:5], v27 offset:192
	ds_read_b64 v[6:7], v27 offset:7872
	s_waitcnt lgkmcnt(0)
	s_barrier
	v_mfma_f32_16x16x16f16 v[8:11], v[4:5], v[24:25], v[8:11]
	v_mfma_f32_16x16x16f16 v[12:15], v[6:7], v[24:25], v[0:3]
	v_and_b32_e32 v24, 0xfc, v78
	v_add_u32_e32 v25, v26, v24
	v_add_u32_e32 v29, 32, v25
	;; [unrolled: 1-line block ×3, first 2 shown]
	s_cbranch_vccz .LBB19_381
; %bb.364:
	s_movk_i32 s4, 0x90
	s_nop 0
	v_mad_u32_u24 v2, v93, s4, 0
	v_lshlrev_b32_e32 v0, 1, v25
	s_movk_i32 s4, 0x3c00
	v_add_u32_e32 v27, 32, v25
	v_add_u32_e32 v26, 34, v25
	v_add3_u32 v0, v2, v0, s4
	v_lshl_add_u32 v3, v27, 1, v2
	v_lshl_add_u32 v2, v26, 1, v2
	ds_read2_b32 v[0:1], v0 offset1:1
	ds_read_b32 v3, v3 offset:15360
	ds_read_b32 v2, v2 offset:15360
	s_waitcnt lgkmcnt(2)
	v_cvt_f32_f16_e32 v4, v0
	v_cvt_f32_f16_sdwa v5, v0 dst_sel:DWORD dst_unused:UNUSED_PAD src0_sel:WORD_1
	v_cvt_f32_f16_e32 v0, v1
	v_cvt_f32_f16_sdwa v1, v1 dst_sel:DWORD dst_unused:UNUSED_PAD src0_sel:WORD_1
	s_waitcnt lgkmcnt(1)
	v_cvt_f32_f16_e32 v36, v3
	s_waitcnt lgkmcnt(0)
	v_cvt_f32_f16_e32 v6, v2
	v_cvt_f32_f16_sdwa v7, v2 dst_sel:DWORD dst_unused:UNUSED_PAD src0_sel:WORD_1
	v_cvt_f32_f16_sdwa v37, v3 dst_sel:DWORD dst_unused:UNUSED_PAD src0_sel:WORD_1
	v_pk_fma_f32 v[2:3], v[20:21], v[0:1], v[10:11] op_sel_hi:[0,1,1]
	v_pk_fma_f32 v[0:1], v[20:21], v[4:5], v[8:9] op_sel_hi:[0,1,1]
	;; [unrolled: 1-line block ×4, first 2 shown]
	s_cbranch_execnz .LBB19_366
.LBB19_365:
	s_nop 4
	v_pk_mov_b32 v[4:5], v[12:13], v[12:13] op_sel:[0,1]
	v_pk_mov_b32 v[0:1], v[8:9], v[8:9] op_sel:[0,1]
	v_mov_b32_e32 v26, v34
	v_mov_b32_e32 v27, v29
	v_pk_mov_b32 v[6:7], v[14:15], v[14:15] op_sel:[0,1]
	v_pk_mov_b32 v[2:3], v[10:11], v[10:11] op_sel:[0,1]
.LBB19_366:
	v_add_f32_e32 v8, 0x40051340, v0
	v_max_f32_e32 v9, v18, v18
	v_max_f32_e32 v8, v9, v8
	v_cmp_gt_u32_e64 s[24:25], s34, v25
	v_cndmask_b32_e64 v8, v18, v8, s[24:25]
	v_or_b32_e32 v9, 1, v25
	v_add_f32_e32 v10, 0x40051340, v1
	v_max_f32_e32 v11, v8, v8
	v_max_f32_e32 v10, v11, v10
	v_cmp_gt_u32_e64 s[16:17], s34, v9
	v_cndmask_b32_e64 v8, v8, v10, s[16:17]
	v_or_b32_e32 v9, 2, v25
	;; [unrolled: 6-line block ×3, first 2 shown]
	v_add_f32_e32 v10, 0x40051340, v3
	v_max_f32_e32 v11, v8, v8
	v_max_f32_e32 v10, v11, v10
	v_cmp_gt_u32_e64 s[12:13], s34, v9
	v_cndmask_b32_e64 v8, v8, v10, s[12:13]
	v_add_f32_e32 v9, 0x40051340, v4
	v_max_f32_e32 v10, v8, v8
	v_max_f32_e32 v9, v10, v9
	v_cmp_gt_u32_e64 s[10:11], s34, v27
	v_cndmask_b32_e64 v8, v8, v9, s[10:11]
	v_add_u32_e32 v9, 33, v25
	v_add_f32_e32 v10, 0x40051340, v5
	v_max_f32_e32 v11, v8, v8
	v_max_f32_e32 v10, v11, v10
	v_cmp_gt_u32_e64 s[28:29], s34, v9
	v_cndmask_b32_e64 v8, v8, v10, s[28:29]
	v_add_f32_e32 v9, 0x40051340, v6
	v_max_f32_e32 v10, v8, v8
	v_max_f32_e32 v9, v10, v9
	v_cmp_gt_u32_e64 s[6:7], s34, v26
	v_cndmask_b32_e64 v8, v8, v9, s[6:7]
	v_add_u32_e32 v9, 35, v25
	v_add_f32_e32 v10, 0x40051340, v7
	v_max_f32_e32 v11, v8, v8
	v_max_f32_e32 v10, v11, v10
	v_cmp_gt_u32_e64 s[4:5], s34, v9
	v_mbcnt_hi_u32_b32 v11, -1, v87
	v_cndmask_b32_e64 v10, v8, v10, s[4:5]
	v_and_b32_e32 v8, 64, v11
	v_add_u32_e32 v12, 64, v8
	v_xor_b32_e32 v8, 32, v11
	v_cmp_lt_i32_e32 vcc, v8, v12
	v_cndmask_b32_e32 v8, v11, v8, vcc
	v_lshlrev_b32_e32 v26, 2, v8
	ds_bpermute_b32 v13, v26, v10
	v_max_f32_e32 v10, v10, v10
	s_mul_hi_i32 s9, s30, s96
	s_mul_i32 s8, s30, s96
	s_lshl_b64 s[8:9], s[8:9], 2
	s_waitcnt lgkmcnt(0)
	v_max_f32_e32 v13, v13, v13
	v_max_f32_e32 v10, v10, v13
	v_xor_b32_e32 v13, 16, v11
	v_cmp_lt_i32_e32 vcc, v13, v12
	v_cndmask_b32_e32 v11, v11, v13, vcc
	v_lshlrev_b32_e32 v34, 2, v11
	ds_bpermute_b32 v11, v34, v10
	s_add_u32 s33, s33, s8
	s_addc_u32 s35, s44, s9
	s_mov_b64 s[8:9], src_private_base
	v_add_u32_e32 v9, 0x80, v28
	v_add_u32_e32 v8, 0x1e00, v16
	s_mov_b32 s8, 0
	v_mov_b32_e32 v12, 0
	buffer_store_dword v12, off, s[0:3], 0
	buffer_store_dword v12, off, s[0:3], 0 offset:4
	buffer_store_dword v12, off, s[0:3], 0 offset:8
	buffer_store_dword v12, off, s[0:3], 0 offset:12
	s_and_saveexec_b64 s[30:31], s[26:27]
	s_cbranch_execz .LBB19_368
; %bb.367:
	v_lshlrev_b32_e32 v12, 2, v35
	v_and_b32_e32 v20, 16, v12
	v_mul_lo_u32 v12, s96, v32
	v_ashrrev_i32_e32 v13, 31, v12
	v_lshlrev_b64 v[12:13], 2, v[12:13]
	v_mov_b32_e32 v14, s35
	v_add_co_u32_e32 v12, vcc, s33, v12
	v_addc_co_u32_e32 v13, vcc, v14, v13, vcc
	v_add_co_u32_e32 v12, vcc, v12, v20
	v_addc_co_u32_e32 v13, vcc, 0, v13, vcc
	;; [unrolled: 2-line block ×3, first 2 shown]
	v_mov_b32_e32 v14, s9
	v_cmp_gt_i32_e32 vcc, s34, v32
	v_cndmask_b32_e32 v13, v14, v13, vcc
	v_mov_b32_e32 v14, 0
	v_cndmask_b32_e32 v12, v14, v12, vcc
	flat_load_dwordx4 v[12:15], v[12:13]
	v_mul_u32_u24_e32 v25, 0xf0, v32
	v_add3_u32 v20, 0, v25, v20
	s_waitcnt vmcnt(0) lgkmcnt(0)
	ds_write_b128 v20, v[12:15] offset:192
.LBB19_368:
	s_or_b64 exec, exec, s[30:31]
	v_mul_lo_u32 v12, s96, v21
	v_ashrrev_i32_e32 v13, 31, v12
	v_lshlrev_b64 v[12:13], 2, v[12:13]
	v_mov_b32_e32 v14, s35
	v_add_co_u32_e32 v12, vcc, s33, v12
	v_addc_co_u32_e32 v13, vcc, v14, v13, vcc
	v_add_co_u32_e32 v12, vcc, v12, v19
	v_addc_co_u32_e32 v13, vcc, 0, v13, vcc
	s_movk_i32 s26, 0x80
	v_add_co_u32_e32 v12, vcc, s26, v12
	v_addc_co_u32_e32 v13, vcc, 0, v13, vcc
	v_mov_b32_e32 v25, s9
	v_mov_b32_e32 v27, 0
	v_cndmask_b32_e64 v13, v25, v13, s[22:23]
	v_cndmask_b32_e64 v12, v27, v12, s[22:23]
	flat_load_dwordx4 v[12:15], v[12:13]
	s_waitcnt lgkmcnt(0)
	v_max_f32_e32 v19, v11, v11
	v_max_f32_e32 v21, v10, v10
	v_lshlrev_b64 v[28:29], 2, v[22:23]
	v_mov_b32_e32 v23, s35
	v_max_f32_e32 v32, v21, v19
	v_add_co_u32_e32 v19, vcc, s33, v28
	v_addc_co_u32_e32 v23, vcc, v23, v29, vcc
	v_or_b32_e32 v41, 3, v78
	v_mul_u32_u24_e32 v42, 0x78, v24
	v_sub_f32_e32 v29, v0, v32
	v_add_co_u32_e32 v0, vcc, v19, v17
	v_mul_u32_u24_e32 v22, 0xf0, v41
	v_or_b32_e32 v41, v42, v68
	v_sub_f32_e32 v42, v1, v32
	v_addc_co_u32_e32 v1, vcc, 0, v23, vcc
	v_cndmask_b32_e64 v1, v25, v1, s[20:21]
	v_cndmask_b32_e64 v0, v27, v0, s[20:21]
	v_mul_lo_u32 v20, s96, v77
	v_ashrrev_i32_e32 v21, 31, v20
	v_mov_b32_e32 v43, s35
	s_movk_i32 s9, 0x1e0
	s_mov_b32 s27, 0x3fb8aa3b
	v_cndmask_b32_e64 v37, v2, v2, s[16:17]
	v_cndmask_b32_e64 v38, v7, v7, s[10:11]
	v_mul_u32_u24_e32 v24, 0xf0, v24
	v_mad_u32_u24 v28, v73, s9, 0
	v_mul_f32_e32 v23, 0x3fb8aa3b, v29
	v_cndmask_b32_e64 v36, v3, v3, s[16:17]
	v_sub_f32_e32 v37, v37, v32
	v_rndne_f32_e32 v50, v23
	v_sub_f32_e32 v36, v36, v32
	v_cndmask_b32_e64 v40, v5, v5, s[10:11]
	v_sub_f32_e32 v4, v4, v32
	v_mul_f32_e32 v44, 0x3fb8aa3b, v36
	v_cndmask_b32_e64 v39, v6, v6, s[10:11]
	v_sub_f32_e32 v40, v40, v32
	v_mul_f32_e32 v45, 0x3fb8aa3b, v4
	v_fma_f32 v55, v36, s27, -v44
	v_rndne_f32_e32 v56, v44
	v_sub_f32_e32 v39, v39, v32
	v_mul_f32_e32 v46, 0x3fb8aa3b, v40
	v_fma_f32 v57, v4, s27, -v45
	v_rndne_f32_e32 v58, v45
	v_fmac_f32_e32 v55, 0x32a5705f, v36
	v_sub_f32_e32 v44, v44, v56
	v_mul_f32_e32 v47, 0x3fb8aa3b, v39
	v_fma_f32 v59, v40, s27, -v46
	v_rndne_f32_e32 v60, v46
	v_fmac_f32_e32 v57, 0x32a5705f, v4
	v_sub_f32_e32 v45, v45, v58
	s_mov_b32 s26, 0xc2ce8ed0
	v_fma_f32 v61, v39, s27, -v47
	v_rndne_f32_e32 v62, v47
	v_cvt_i32_f32_e32 v56, v56
	v_fmac_f32_e32 v59, 0x32a5705f, v40
	v_sub_f32_e32 v46, v46, v60
	v_cvt_i32_f32_e32 v58, v58
	v_fmac_f32_e32 v61, 0x32a5705f, v39
	v_sub_f32_e32 v47, v47, v62
	v_cvt_i32_f32_e32 v60, v60
	v_cvt_i32_f32_e32 v62, v62
	s_mov_b32 s22, 0x42b17218
	v_mov_b32_e32 v35, 0x7f800000
	s_mov_b32 s23, 0xc1a00000
	v_mov_b32_e32 v6, s8
	v_mov_b32_e32 v7, s8
	;; [unrolled: 1-line block ×7, first 2 shown]
	s_mov_b32 s8, 0x5040100
	s_waitcnt vmcnt(0)
	ds_write_b128 v9, v[12:15]
	flat_load_dwordx4 v[12:15], v[0:1]
	v_sub_f32_e32 v9, v18, v32
	v_lshlrev_b64 v[18:19], 2, v[20:21]
	v_add_co_u32_e32 v18, vcc, s33, v18
	v_addc_co_u32_e32 v19, vcc, v43, v19, vcc
	v_add_co_u32_e32 v17, vcc, v18, v17
	v_addc_co_u32_e32 v18, vcc, 0, v19, vcc
	v_cndmask_b32_e64 v19, v25, v18, s[18:19]
	v_cndmask_b32_e64 v18, v27, v17, s[18:19]
	v_lshlrev_b32_e32 v1, 1, v41
	v_sub_f32_e32 v0, v38, v32
	v_add3_u32 v20, v28, v24, v33
	v_add3_u32 v21, v28, v22, v33
	v_mul_f32_e32 v38, 0x3fb8aa3b, v42
	v_add_u32_e32 v43, v28, v1
	v_fma_f32 v28, v29, s27, -v23
	v_mul_f32_e32 v41, 0x3fb8aa3b, v37
	v_fma_f32 v51, v42, s27, -v38
	v_rndne_f32_e32 v52, v38
	v_fmac_f32_e32 v28, 0x32a5705f, v29
	v_sub_f32_e32 v23, v23, v50
	v_fma_f32 v53, v37, s27, -v41
	v_rndne_f32_e32 v54, v41
	v_fmac_f32_e32 v51, 0x32a5705f, v42
	v_sub_f32_e32 v38, v38, v52
	v_add_f32_e32 v17, v23, v28
	v_cvt_i32_f32_e32 v50, v50
	v_fmac_f32_e32 v53, 0x32a5705f, v37
	v_sub_f32_e32 v41, v41, v54
	v_add_f32_e32 v23, v38, v51
	v_exp_f32_e32 v17, v17
	v_cvt_i32_f32_e32 v52, v52
	v_add_f32_e32 v25, v41, v53
	v_cvt_i32_f32_e32 v54, v54
	v_add_f32_e32 v27, v44, v55
	v_mul_f32_e32 v48, 0x3fb8aa3b, v0
	v_add_f32_e32 v28, v45, v57
	v_mul_f32_e32 v49, 0x3fb8aa3b, v9
	v_fma_f32 v63, v0, s27, -v48
	v_rndne_f32_e32 v64, v48
	v_add_f32_e32 v38, v46, v59
	v_ldexp_f32 v17, v17, v50
	v_cmp_ngt_f32_e32 vcc, s26, v29
	v_fma_f32 v65, v9, s27, -v49
	v_rndne_f32_e32 v66, v49
	v_fmac_f32_e32 v63, 0x32a5705f, v0
	v_sub_f32_e32 v48, v48, v64
	v_add_f32_e32 v41, v47, v61
	v_cndmask_b32_e32 v17, 0, v17, vcc
	v_cmp_ngt_f32_e32 vcc, s26, v42
	v_fmac_f32_e32 v65, 0x32a5705f, v9
	v_sub_f32_e32 v49, v49, v66
	v_add_f32_e32 v44, v48, v63
	v_cvt_i32_f32_e32 v64, v64
	v_cvt_i32_f32_e32 v66, v66
	s_waitcnt vmcnt(0) lgkmcnt(0)
	ds_write_b128 v16, v[12:15]
	flat_load_dwordx4 v[12:15], v[18:19]
	v_exp_f32_e32 v18, v23
	v_exp_f32_e32 v19, v25
	;; [unrolled: 1-line block ×5, first 2 shown]
	v_ldexp_f32 v18, v18, v52
	v_exp_f32_e32 v28, v41
	v_ldexp_f32 v19, v19, v54
	v_cndmask_b32_e32 v18, 0, v18, vcc
	v_cmp_ngt_f32_e32 vcc, s26, v37
	v_add_f32_e32 v16, v49, v65
	v_exp_f32_e32 v38, v44
	v_ldexp_f32 v23, v23, v56
	v_cndmask_b32_e32 v19, 0, v19, vcc
	v_cmp_ngt_f32_e32 vcc, s26, v36
	v_exp_f32_e32 v16, v16
	v_ldexp_f32 v25, v25, v58
	v_cndmask_b32_e32 v23, 0, v23, vcc
	v_cmp_ngt_f32_e32 vcc, s26, v4
	v_ldexp_f32 v27, v27, v60
	v_cndmask_b32_e32 v25, 0, v25, vcc
	v_cmp_ngt_f32_e32 vcc, s26, v40
	v_ldexp_f32 v28, v28, v62
	v_cndmask_b32_e32 v27, 0, v27, vcc
	v_cmp_ngt_f32_e32 vcc, s26, v39
	v_ldexp_f32 v38, v38, v64
	v_cndmask_b32_e32 v28, 0, v28, vcc
	v_cmp_ngt_f32_e32 vcc, s26, v0
	v_ldexp_f32 v16, v16, v66
	v_cndmask_b32_e32 v38, 0, v38, vcc
	v_cmp_ngt_f32_e32 vcc, s26, v9
	v_cndmask_b32_e32 v16, 0, v16, vcc
	v_cmp_nlt_f32_e32 vcc, s22, v29
	v_cndmask_b32_e32 v17, v35, v17, vcc
	v_cmp_nlt_f32_e32 vcc, s22, v42
	;; [unrolled: 2-line block ×9, first 2 shown]
	v_cndmask_b32_e32 v4, v35, v16, vcc
	v_cmp_le_f32_e32 vcc, s23, v9
	v_cndmask_b32_e32 v28, 0, v4, vcc
	v_cvt_f16_f32_e32 v35, v28
	v_cndmask_b32_e64 v6, v6, v47, s[6:7]
	v_cndmask_b32_e64 v0, 0, v17, s[24:25]
	;; [unrolled: 1-line block ×3, first 2 shown]
	v_cvt_f16_f32_e32 v17, v6
	v_cndmask_b32_e64 v11, v11, v29, s[16:17]
	v_cndmask_b32_e64 v2, v2, v37, s[14:15]
	;; [unrolled: 1-line block ×4, first 2 shown]
	v_cvt_f16_f32_e32 v16, v3
	v_cvt_f16_f32_e32 v18, v0
	;; [unrolled: 1-line block ×5, first 2 shown]
	v_pk_mul_f16 v3, v35, v90 op_sel_hi:[0,1]
	v_pk_mul_f16 v5, v35, v89 op_sel_hi:[0,1]
	v_cvt_f32_f16_e32 v2, v3
	v_cvt_f32_f16_sdwa v3, v3 dst_sel:DWORD dst_unused:UNUSED_PAD src0_sel:WORD_1
	v_cvt_f32_f16_e32 v4, v5
	v_cvt_f32_f16_sdwa v5, v5 dst_sel:DWORD dst_unused:UNUSED_PAD src0_sel:WORD_1
	v_pack_b32_f16 v40, v18, v11
	v_pack_b32_f16 v41, v19, v36
	v_cndmask_b32_e64 v10, v10, v25, s[10:11]
	v_cvt_f16_f32_e32 v10, v10
	v_pk_mul_f16 v38, v35, v92 op_sel_hi:[0,1]
	s_waitcnt vmcnt(0) lgkmcnt(0)
	ds_write_b128 v8, v[12:15]
	s_waitcnt lgkmcnt(0)
	s_barrier
	ds_read_u16 v6, v20 offset:480
	ds_read_u16 v8, v20 offset:240
	ds_read_u16 v12, v20 offset:272
	ds_read_u16 v13, v20 offset:304
	ds_read_u16 v39, v20 offset:336
	ds_read_u16 v44, v20 offset:368
	ds_read_u16 v48, v20 offset:400
	ds_read_u16 v7, v21
	ds_read_u16 v14, v21 offset:32
	ds_read_u16 v15, v21 offset:64
	;; [unrolled: 1-line block ×8, first 2 shown]
	s_waitcnt lgkmcnt(8)
	v_perm_b32 v7, v7, v6, s8
	ds_read_u16 v6, v43
	ds_read_u16 v21, v43 offset:32
	ds_read_u16 v53, v43 offset:64
	;; [unrolled: 1-line block ×7, first 2 shown]
	s_waitcnt lgkmcnt(7)
	v_perm_b32 v6, v8, v6, s8
	v_cvt_f16_f32_e32 v8, v9
	v_pack_b32_f16 v43, v17, v8
	v_mfma_f32_16x16x16f16 v[2:5], v[6:7], v[40:41], v[2:5]
	ds_read_u16 v6, v20 offset:7920
	ds_read_u16 v7, v20 offset:8160
	;; [unrolled: 1-line block ×8, first 2 shown]
	v_pk_mul_f16 v20, v35, v86 op_sel_hi:[0,1]
	s_waitcnt lgkmcnt(5)
	v_perm_b32 v11, v14, v9, s8
	v_perm_b32 v6, v6, v57, s8
	;; [unrolled: 1-line block ×3, first 2 shown]
	v_pack_b32_f16 v42, v10, v16
	v_cvt_f16_f32_e32 v2, v2
	v_cvt_f16_f32_e32 v3, v3
	;; [unrolled: 1-line block ×4, first 2 shown]
	v_cvt_f32_f16_e32 v2, v2
	v_cvt_f32_f16_e32 v3, v3
	;; [unrolled: 1-line block ×4, first 2 shown]
	v_perm_b32 v10, v12, v21, s8
	v_cvt_f32_f16_e32 v8, v20
	v_mfma_f32_16x16x16f16 v[2:5], v[6:7], v[42:43], v[2:5]
	v_cvt_f32_f16_e32 v6, v38
	v_cvt_f32_f16_sdwa v7, v38 dst_sel:DWORD dst_unused:UNUSED_PAD src0_sel:WORD_1
	v_cvt_f32_f16_sdwa v9, v20 dst_sel:DWORD dst_unused:UNUSED_PAD src0_sel:WORD_1
	v_mul_u32_u24_e32 v12, 0x1e0, v73
	s_waitcnt lgkmcnt(4)
	v_perm_b32 v15, v15, v18, s8
	s_waitcnt lgkmcnt(3)
	v_perm_b32 v19, v45, v19, s8
	v_perm_b32 v18, v39, v54, s8
	v_mfma_f32_16x16x16f16 v[6:9], v[10:11], v[40:41], v[6:9]
	v_add3_u32 v10, 0, 32, v12
	v_add3_u32 v12, 0, 64, v12
	v_add_u32_e32 v11, v10, v1
	v_add3_u32 v14, v10, v24, v33
	v_add3_u32 v10, v10, v22, v33
	v_add_u32_e32 v16, v12, v1
	v_add3_u32 v17, v12, v24, v33
	s_nop 3
	v_cvt_f16_f32_e32 v6, v6
	v_cvt_f16_f32_e32 v7, v7
	v_cvt_f16_f32_e32 v8, v8
	v_cvt_f16_f32_e32 v9, v9
	v_add3_u32 v12, v12, v22, v33
	ds_read_u16 v20, v11 offset:7680
	ds_read_u16 v21, v14 offset:7920
	;; [unrolled: 1-line block ×8, first 2 shown]
	s_waitcnt lgkmcnt(4)
	v_perm_b32 v11, v10, v11, s8
	v_perm_b32 v10, v21, v20, s8
	v_cvt_f32_f16_e32 v6, v6
	v_cvt_f32_f16_e32 v7, v7
	v_cvt_f32_f16_e32 v8, v8
	v_cvt_f32_f16_e32 v9, v9
	v_pk_mul_f16 v12, v35, v80 op_sel_hi:[0,1]
	v_pk_mul_f16 v20, v35, v79 op_sel_hi:[0,1]
	v_perm_b32 v14, v13, v53, s8
	v_mfma_f32_16x16x16f16 v[6:9], v[10:11], v[42:43], v[6:9]
	v_cvt_f32_f16_e32 v10, v12
	v_cvt_f32_f16_sdwa v11, v12 dst_sel:DWORD dst_unused:UNUSED_PAD src0_sel:WORD_1
	v_cvt_f32_f16_e32 v12, v20
	v_cvt_f32_f16_sdwa v13, v20 dst_sel:DWORD dst_unused:UNUSED_PAD src0_sel:WORD_1
	s_waitcnt lgkmcnt(0)
	v_perm_b32 v17, v57, v17, s8
	v_perm_b32 v16, v38, v16, s8
	v_pk_mul_f16 v20, v35, v81 op_sel_hi:[0,1]
	v_mfma_f32_16x16x16f16 v[10:13], v[14:15], v[40:41], v[10:13]
	v_pk_mul_f16 v15, v35, v82 op_sel_hi:[0,1]
	v_cvt_f32_f16_e32 v14, v15
	v_cvt_f32_f16_sdwa v15, v15 dst_sel:DWORD dst_unused:UNUSED_PAD src0_sel:WORD_1
	s_nop 7
	v_cvt_f16_f32_e32 v10, v10
	v_cvt_f16_f32_e32 v11, v11
	;; [unrolled: 1-line block ×4, first 2 shown]
	v_cvt_f32_f16_e32 v10, v10
	v_cvt_f32_f16_e32 v11, v11
	;; [unrolled: 1-line block ×4, first 2 shown]
	s_nop 1
	v_mfma_f32_16x16x16f16 v[10:13], v[16:17], v[42:43], v[10:13]
	v_cvt_f32_f16_e32 v16, v20
	v_cvt_f32_f16_sdwa v17, v20 dst_sel:DWORD dst_unused:UNUSED_PAD src0_sel:WORD_1
	v_add_f32_e32 v20, v29, v0
	v_cndmask_b32_e64 v0, v0, v20, s[16:17]
	s_add_i32 s16, 0, 0x60
	v_add_f32_e32 v20, v0, v37
	v_cndmask_b32_e64 v0, v0, v20, s[14:15]
	v_mfma_f32_16x16x16f16 v[14:17], v[18:19], v[40:41], v[14:17]
	v_mov_b32_e32 v18, s16
	s_add_i32 s16, 0, 0x80
	v_mov_b32_e32 v29, s16
	v_mad_u32_u24 v18, v73, s9, v18
	v_mad_u32_u24 v29, v73, s9, v29
	v_add_u32_e32 v19, v18, v1
	v_add3_u32 v21, v18, v24, v33
	s_nop 3
	v_cvt_f16_f32_e32 v14, v14
	v_cvt_f16_f32_e32 v15, v15
	;; [unrolled: 1-line block ×4, first 2 shown]
	v_add3_u32 v18, v18, v22, v33
	v_add_u32_e32 v37, v29, v1
	v_add3_u32 v38, v29, v24, v33
	v_add3_u32 v29, v29, v22, v33
	ds_read_u16 v39, v19 offset:7680
	ds_read_u16 v45, v21 offset:7920
	;; [unrolled: 1-line block ×8, first 2 shown]
	s_waitcnt lgkmcnt(4)
	v_perm_b32 v19, v18, v19, s8
	v_perm_b32 v18, v45, v39, s8
	v_cvt_f32_f16_e32 v14, v14
	v_cvt_f32_f16_e32 v15, v15
	;; [unrolled: 1-line block ×4, first 2 shown]
	v_pk_mul_f16 v20, v35, v84 op_sel_hi:[0,1]
	v_pk_mul_f16 v21, v35, v83 op_sel_hi:[0,1]
	v_perm_b32 v37, v49, v36, s8
	v_perm_b32 v36, v44, v55, s8
	v_mfma_f32_16x16x16f16 v[14:17], v[18:19], v[42:43], v[14:17]
	v_cvt_f32_f16_e32 v18, v20
	v_cvt_f32_f16_sdwa v19, v20 dst_sel:DWORD dst_unused:UNUSED_PAD src0_sel:WORD_1
	v_cvt_f32_f16_e32 v20, v21
	v_cvt_f32_f16_sdwa v21, v21 dst_sel:DWORD dst_unused:UNUSED_PAD src0_sel:WORD_1
	v_add_f32_e32 v23, v0, v23
	v_cndmask_b32_e64 v0, v0, v23, s[12:13]
	v_add_f32_e32 v23, v25, v0
	v_mfma_f32_16x16x16f16 v[18:21], v[36:37], v[40:41], v[18:21]
	s_waitcnt lgkmcnt(0)
	v_perm_b32 v37, v29, v38, s8
	v_perm_b32 v36, v54, v53, s8
	v_cndmask_b32_e64 v0, v0, v23, s[10:11]
	v_pk_mul_f16 v23, v35, v85 op_sel_hi:[0,1]
	v_pk_mul_f16 v25, v35, v76 op_sel_hi:[0,1]
	v_perm_b32 v45, v50, v59, s8
	v_perm_b32 v44, v48, v56, s8
	s_nop 2
	v_cvt_f16_f32_e32 v18, v18
	v_cvt_f16_f32_e32 v19, v19
	;; [unrolled: 1-line block ×4, first 2 shown]
	v_cvt_f32_f16_e32 v18, v18
	v_cvt_f32_f16_e32 v19, v19
	;; [unrolled: 1-line block ×5, first 2 shown]
	v_cvt_f32_f16_sdwa v39, v25 dst_sel:DWORD dst_unused:UNUSED_PAD src0_sel:WORD_1
	v_mfma_f32_16x16x16f16 v[18:21], v[36:37], v[42:43], v[18:21]
	v_cvt_f32_f16_e32 v36, v23
	v_cvt_f32_f16_sdwa v37, v23 dst_sel:DWORD dst_unused:UNUSED_PAD src0_sel:WORD_1
	v_add_f32_e32 v23, v46, v0
	v_cndmask_b32_e64 v23, v0, v23, s[28:29]
	s_add_i32 s10, 0, 0xa0
	v_add_f32_e32 v25, v47, v23
	v_mfma_f32_16x16x16f16 v[36:39], v[44:45], v[40:41], v[36:39]
	s_nop 7
	s_nop 2
	v_cvt_f16_f32_e32 v0, v36
	v_cvt_f16_f32_e32 v29, v37
	v_mov_b32_e32 v36, s10
	v_mad_u32_u24 v36, v73, s9, v36
	s_add_i32 s10, 0, 0xc0
	v_cvt_f16_f32_e32 v38, v38
	v_cvt_f16_f32_e32 v39, v39
	v_add_u32_e32 v44, v36, v1
	v_add3_u32 v45, v36, v24, v33
	v_add3_u32 v46, v36, v22, v33
	v_cvt_f32_f16_e32 v36, v0
	v_mov_b32_e32 v0, s10
	v_mad_u32_u24 v0, v73, s9, v0
	v_cvt_f32_f16_e32 v37, v29
	v_add_u32_e32 v1, v0, v1
	v_add3_u32 v24, v0, v24, v33
	v_add3_u32 v0, v0, v22, v33
	ds_read_u16 v22, v44 offset:7680
	ds_read_u16 v29, v45 offset:7920
	;; [unrolled: 1-line block ×8, first 2 shown]
	s_waitcnt lgkmcnt(4)
	v_perm_b32 v1, v44, v33, s8
	v_perm_b32 v0, v29, v22, s8
	v_cvt_f32_f16_e32 v38, v38
	v_cvt_f32_f16_e32 v39, v39
	v_cndmask_b32_e64 v29, v23, v25, s[6:7]
	v_pk_mul_f16 v33, v35, v75 op_sel_hi:[0,1]
	v_pk_mul_f16 v35, v35, v74 op_sel_hi:[0,1]
	v_mfma_f32_16x16x16f16 v[22:25], v[0:1], v[42:43], v[36:39]
	v_perm_b32 v1, v52, v60, s8
	v_perm_b32 v0, v51, v58, s8
	v_add_f32_e32 v27, v27, v29
	s_waitcnt lgkmcnt(0)
	s_barrier
	s_nop 1
	v_cvt_f32_f16_e32 v36, v33
	v_cvt_f32_f16_sdwa v37, v33 dst_sel:DWORD dst_unused:UNUSED_PAD src0_sel:WORD_1
	v_cvt_f32_f16_e32 v38, v35
	v_cvt_f32_f16_sdwa v39, v35 dst_sel:DWORD dst_unused:UNUSED_PAD src0_sel:WORD_1
	v_cndmask_b32_e64 v33, v29, v27, s[4:5]
	v_fmac_f32_e32 v33, v88, v28
	v_mfma_f32_16x16x16f16 v[36:39], v[0:1], v[40:41], v[36:39]
	v_perm_b32 v29, v48, v47, s8
	v_perm_b32 v28, v46, v45, s8
	s_movk_i32 s8, 0xf0
	v_cmp_gt_u32_e64 s[4:5], 16, v31
	s_nop 6
	v_cvt_f16_f32_e32 v0, v36
	v_cvt_f16_f32_e32 v1, v37
	v_cvt_f16_f32_e32 v27, v38
	v_cvt_f16_f32_e32 v35, v39
	v_cvt_f32_f16_e32 v36, v0
	v_cvt_f32_f16_e32 v37, v1
	;; [unrolled: 1-line block ×4, first 2 shown]
	ds_bpermute_b32 v1, v26, v33
	s_waitcnt lgkmcnt(0)
	v_add_f32_e32 v0, v33, v1
	v_mfma_f32_16x16x16f16 v[26:29], v[28:29], v[42:43], v[36:39]
	ds_bpermute_b32 v1, v34, v0
	s_and_saveexec_b64 s[6:7], s[4:5]
	v_readlane_b32 s12, v254, 27
	v_readlane_b32 s18, v254, 33
	v_readlane_b32 s19, v254, 34
	v_readlane_b32 s26, v254, 41
	v_readlane_b32 s27, v254, 42
	s_mov_b64 s[18:19], s[26:27]
	v_readlane_b32 s13, v254, 28
	v_readlane_b32 s14, v254, 29
	;; [unrolled: 1-line block ×11, first 2 shown]
	s_cbranch_execz .LBB19_370
; %bb.369:
	s_waitcnt lgkmcnt(0)
	v_add_f32_e32 v0, v0, v1
	v_or_b32_e32 v1, v99, v31
	v_mad_u32_u24 v1, v1, s8, 0
	ds_write2_b32 v1, v32, v0 offset0:56 offset1:57
.LBB19_370:
	s_or_b64 exec, exec, s[6:7]
	v_cmp_eq_u32_e32 vcc, 0, v101
	v_cmp_eq_u32_e64 s[6:7], 1, v101
	s_waitcnt lgkmcnt(0)
	s_barrier
	s_and_saveexec_b64 s[8:9], s[6:7]
	s_xor_b64 s[6:7], exec, s[8:9]
	s_cbranch_execz .LBB19_372
; %bb.371:
	s_barrier
	s_waitcnt lgkmcnt(0)
                                        ; implicit-def: $vgpr100
                                        ; implicit-def: $vgpr34
.LBB19_372:
	s_andn2_saveexec_b64 s[8:9], s[6:7]
	s_cbranch_execz .LBB19_378
; %bb.373:
	v_or_b32_e32 v1, v99, v30
	s_movk_i32 s6, 0xf0
	v_mad_u32_u24 v0, v1, s6, 0
	ds_read_b64 v[36:37], v0 offset:224
	s_mov_b32 s6, 0x3fb8aa3b
	s_mov_b32 s10, 0x42b17218
	s_waitcnt lgkmcnt(0)
	s_barrier
	ds_bpermute_b32 v0, v34, v36
	v_max_f32_e32 v32, v36, v36
	s_waitcnt lgkmcnt(0)
	v_max_f32_e32 v0, v0, v0
	v_max_f32_e32 v0, v32, v0
	v_sub_f32_e32 v32, v36, v0
	v_mul_f32_e32 v33, 0x3fb8aa3b, v32
	v_fma_f32 v35, v32, s6, -v33
	v_rndne_f32_e32 v36, v33
	v_fmac_f32_e32 v35, 0x32a5705f, v32
	v_sub_f32_e32 v33, v33, v36
	v_add_f32_e32 v33, v33, v35
	v_cvt_i32_f32_e32 v36, v36
	v_exp_f32_e32 v33, v33
	s_mov_b32 s6, 0xc2ce8ed0
	v_cmp_ngt_f32_e64 s[6:7], s6, v32
	v_mov_b32_e32 v35, 0x7f800000
	v_ldexp_f32 v33, v33, v36
	v_cndmask_b32_e64 v33, 0, v33, s[6:7]
	v_cmp_nlt_f32_e64 s[6:7], s10, v32
	v_cndmask_b32_e64 v32, v35, v33, s[6:7]
	v_mul_f32_e32 v33, v37, v32
	ds_bpermute_b32 v33, v34, v33
	v_cmp_gt_u32_e64 s[6:7], 32, v31
	s_waitcnt lgkmcnt(0)
	v_fmac_f32_e32 v33, v37, v32
	s_and_saveexec_b64 s[10:11], s[6:7]
	s_cbranch_execz .LBB19_375
; %bb.374:
	v_mul_u32_u24_e32 v1, 0xf0, v1
	v_add_u32_e32 v1, 0, v1
	ds_write_b64 v1, v[32:33] offset:224
.LBB19_375:
	s_or_b64 exec, exec, s[10:11]
	s_and_saveexec_b64 s[6:7], s[4:5]
	s_cbranch_execz .LBB19_377
; %bb.376:
	s_add_i32 s4, s60, s61
	s_lshl_b32 s4, s4, 5
	s_mov_b32 s5, 0
	s_lshl_b64 s[4:5], s[4:5], 3
	s_add_u32 s4, s18, s4
	v_or_b32_e32 v1, v100, v31
	s_addc_u32 s5, s19, s5
	v_lshlrev_b32_e32 v32, 3, v1
	v_mov_b32_e32 v1, v33
	global_store_dwordx2 v32, v[0:1], s[4:5]
.LBB19_377:
	s_or_b64 exec, exec, s[6:7]
.LBB19_378:
	s_or_b64 exec, exec, s[8:9]
	v_cvt_f16_f32_e32 v0, v2
	v_cvt_f16_f32_e32 v1, v4
	;; [unrolled: 1-line block ×6, first 2 shown]
	v_pack_b32_f16 v1, v1, v2
	v_pack_b32_f16 v0, v0, v3
	v_cvt_f16_f32_e32 v2, v6
	v_cvt_f16_f32_e32 v3, v7
	;; [unrolled: 1-line block ×6, first 2 shown]
	v_pack_b32_f16 v4, v4, v5
	v_pack_b32_f16 v2, v2, v3
	;; [unrolled: 1-line block ×4, first 2 shown]
	v_cvt_f16_f32_e32 v6, v14
	v_cvt_f16_f32_e32 v7, v15
	;; [unrolled: 1-line block ×8, first 2 shown]
	v_pack_b32_f16 v8, v8, v9
	v_pack_b32_f16 v6, v6, v7
	;; [unrolled: 1-line block ×4, first 2 shown]
	v_cvt_f16_f32_e32 v12, v24
	v_cvt_f16_f32_e32 v13, v25
	;; [unrolled: 1-line block ×8, first 2 shown]
	v_pack_b32_f16 v12, v12, v13
	v_pack_b32_f16 v13, v14, v17
	v_or_b32_e32 v14, v99, v68
	v_mad_u32_u24 v14, v14, 60, v72
	s_mov_b32 s7, 0
	v_lshl_add_u32 v14, v14, 2, 0
	v_pack_b32_f16 v10, v10, v11
	v_pack_b32_f16 v11, v15, v16
	ds_write2_b32 v14, v0, v1 offset1:1
	ds_write2_b32 v14, v2, v4 offset0:8 offset1:9
	ds_write2_b32 v14, v5, v3 offset0:16 offset1:17
	;; [unrolled: 1-line block ×6, first 2 shown]
	s_waitcnt lgkmcnt(0)
	s_barrier
	s_and_saveexec_b64 s[4:5], vcc
	s_cbranch_execz .LBB19_380
; %bb.379:
	s_mul_i32 s6, s61, 0x700
	v_add_u32_e32 v12, v71, v98
	s_lshl_b64 s[8:9], s[6:7], 3
	v_lshlrev_b32_e32 v13, 1, v12
	v_and_b32_e32 v14, 15, v12
	s_movk_i32 s6, 0xfe0
	s_add_u32 s10, s18, s8
	v_and_or_b32 v0, v13, s6, v14
	s_movk_i32 s8, 0xf0
	v_mad_u32_u24 v2, v0, s8, 0
	v_lshlrev_b32_e32 v15, 2, v30
	v_add_u32_e32 v0, v2, v15
	ds_read2st64_b32 v[0:1], v0 offset1:15
	v_add_u32_e32 v2, 0xe0, v2
	ds_read2st64_b32 v[2:3], v2 offset1:15
	s_addc_u32 s9, s19, s9
	s_lshl_b32 s6, s60, 6
	s_waitcnt lgkmcnt(1)
	v_cvt_f32_f16_e32 v4, v0
	v_cvt_f32_f16_sdwa v5, v0 dst_sel:DWORD dst_unused:UNUSED_PAD src0_sel:WORD_1
	s_lshl_b64 s[6:7], s[6:7], 3
	s_add_u32 s6, s10, s6
	s_addc_u32 s7, s9, s7
	s_waitcnt lgkmcnt(0)
	v_pk_fma_f32 v[4:5], v[2:3], v[4:5], 0 op_sel_hi:[0,1,0]
	v_add_u32_e32 v2, 4, v12
	v_lshlrev_b32_e32 v6, 1, v2
	v_and_b32_e32 v2, 15, v2
	s_movk_i32 s9, 0x1fe0
	v_and_or_b32 v2, v6, s9, v2
	v_mad_u32_u24 v8, v2, s8, 0
	v_add_u32_e32 v2, v8, v15
	ds_read2st64_b32 v[6:7], v2 offset1:15
	v_cvt_f32_f16_e32 v0, v1
	v_cvt_f32_f16_sdwa v1, v1 dst_sel:DWORD dst_unused:UNUSED_PAD src0_sel:WORD_1
	v_mov_b32_e32 v2, v3
	v_add_u32_e32 v3, 0xe0, v8
	ds_read2st64_b32 v[8:9], v3 offset1:15
	s_waitcnt lgkmcnt(1)
	v_cvt_f32_f16_e32 v10, v6
	v_cvt_f32_f16_sdwa v11, v6 dst_sel:DWORD dst_unused:UNUSED_PAD src0_sel:WORD_1
	v_pk_fma_f32 v[0:1], v[2:3], v[0:1], v[4:5] op_sel_hi:[0,1,1]
	v_add_u32_e32 v3, 8, v12
	v_mul_u32_u24_e32 v16, 56, v12
	v_lshlrev_b32_e32 v4, 1, v3
	v_and_b32_e32 v3, 15, v3
	v_add_lshl_u32 v16, v16, v30, 3
	v_and_or_b32 v3, v4, s9, v3
	global_store_dwordx2 v16, v[0:1], s[6:7]
	s_waitcnt lgkmcnt(0)
	v_pk_fma_f32 v[0:1], v[8:9], v[10:11], 0 op_sel_hi:[0,1,0]
	v_mad_u32_u24 v8, v3, s8, 0
	v_add_u32_e32 v3, v8, v15
	ds_read2st64_b32 v[4:5], v3 offset1:15
	v_cvt_f32_f16_e32 v2, v7
	v_cvt_f32_f16_sdwa v3, v7 dst_sel:DWORD dst_unused:UNUSED_PAD src0_sel:WORD_1
	v_add_u32_e32 v7, 0xe0, v8
	v_mov_b32_e32 v6, v9
	ds_read2st64_b32 v[8:9], v7 offset1:15
	s_waitcnt lgkmcnt(1)
	v_cvt_f32_f16_e32 v10, v4
	v_cvt_f32_f16_sdwa v11, v4 dst_sel:DWORD dst_unused:UNUSED_PAD src0_sel:WORD_1
	v_pk_fma_f32 v[0:1], v[6:7], v[2:3], v[0:1] op_sel_hi:[0,1,1]
	v_add_u32_e32 v3, 12, v12
	v_lshlrev_b32_e32 v4, 1, v3
	v_and_b32_e32 v3, 15, v3
	v_and_or_b32 v3, v4, s9, v3
	global_store_dwordx2 v16, v[0:1], s[6:7] offset:1792
	s_waitcnt lgkmcnt(0)
	v_pk_fma_f32 v[0:1], v[8:9], v[10:11], 0 op_sel_hi:[0,1,0]
	v_mad_u32_u24 v8, v3, s8, 0
	v_add_u32_e32 v3, v8, v15
	ds_read2st64_b32 v[6:7], v3 offset1:15
	v_cvt_f32_f16_e32 v2, v5
	v_cvt_f32_f16_sdwa v3, v5 dst_sel:DWORD dst_unused:UNUSED_PAD src0_sel:WORD_1
	v_add_u32_e32 v5, 0xe0, v8
	v_mov_b32_e32 v4, v9
	ds_read2st64_b32 v[8:9], v5 offset1:15
	s_waitcnt lgkmcnt(1)
	v_cvt_f32_f16_e32 v10, v6
	v_cvt_f32_f16_sdwa v11, v6 dst_sel:DWORD dst_unused:UNUSED_PAD src0_sel:WORD_1
	v_pk_fma_f32 v[0:1], v[4:5], v[2:3], v[0:1] op_sel_hi:[0,1,1]
	v_add_u32_e32 v3, 32, v13
	v_add_u32_e32 v17, 0xe00, v16
	v_and_or_b32 v3, v3, s9, v14
	global_store_dwordx2 v17, v[0:1], s[6:7]
	s_waitcnt lgkmcnt(0)
	v_pk_fma_f32 v[0:1], v[8:9], v[10:11], 0 op_sel_hi:[0,1,0]
	v_mad_u32_u24 v8, v3, s8, 0
	v_add_u32_e32 v3, v8, v15
	ds_read2st64_b32 v[4:5], v3 offset1:15
	v_cvt_f32_f16_e32 v2, v7
	v_cvt_f32_f16_sdwa v3, v7 dst_sel:DWORD dst_unused:UNUSED_PAD src0_sel:WORD_1
	v_add_u32_e32 v7, 0xe0, v8
	v_mov_b32_e32 v6, v9
	ds_read2st64_b32 v[8:9], v7 offset1:15
	s_waitcnt lgkmcnt(1)
	v_cvt_f32_f16_e32 v10, v4
	v_cvt_f32_f16_sdwa v11, v4 dst_sel:DWORD dst_unused:UNUSED_PAD src0_sel:WORD_1
	v_pk_fma_f32 v[0:1], v[6:7], v[2:3], v[0:1] op_sel_hi:[0,1,1]
	v_add_u32_e32 v3, 20, v12
	v_lshlrev_b32_e32 v4, 1, v3
	v_and_b32_e32 v3, 15, v3
	v_add_u32_e32 v17, 0x1500, v16
	v_and_or_b32 v3, v4, s9, v3
	global_store_dwordx2 v17, v[0:1], s[6:7]
	s_waitcnt lgkmcnt(0)
	v_pk_fma_f32 v[0:1], v[8:9], v[10:11], 0 op_sel_hi:[0,1,0]
	v_mad_u32_u24 v8, v3, s8, 0
	v_add_u32_e32 v3, v8, v15
	ds_read2st64_b32 v[6:7], v3 offset1:15
	v_cvt_f32_f16_e32 v2, v5
	v_cvt_f32_f16_sdwa v3, v5 dst_sel:DWORD dst_unused:UNUSED_PAD src0_sel:WORD_1
	v_add_u32_e32 v5, 0xe0, v8
	v_mov_b32_e32 v4, v9
	ds_read2st64_b32 v[8:9], v5 offset1:15
	s_waitcnt lgkmcnt(1)
	v_cvt_f32_f16_e32 v10, v6
	v_cvt_f32_f16_sdwa v11, v6 dst_sel:DWORD dst_unused:UNUSED_PAD src0_sel:WORD_1
	v_pk_fma_f32 v[0:1], v[4:5], v[2:3], v[0:1] op_sel_hi:[0,1,1]
	v_add_u32_e32 v3, 24, v12
	v_lshlrev_b32_e32 v4, 1, v3
	v_and_b32_e32 v3, 15, v3
	v_add_u32_e32 v13, 0x1c00, v16
	v_and_or_b32 v3, v4, s9, v3
	global_store_dwordx2 v13, v[0:1], s[6:7]
	s_waitcnt lgkmcnt(0)
	v_pk_fma_f32 v[0:1], v[8:9], v[10:11], 0 op_sel_hi:[0,1,0]
	v_mad_u32_u24 v8, v3, s8, 0
	v_add_u32_e32 v3, v8, v15
	ds_read2st64_b32 v[4:5], v3 offset1:15
	v_cvt_f32_f16_e32 v2, v7
	v_cvt_f32_f16_sdwa v3, v7 dst_sel:DWORD dst_unused:UNUSED_PAD src0_sel:WORD_1
	v_mov_b32_e32 v6, v9
	v_add_u32_e32 v7, 0xe0, v8
	ds_read2st64_b32 v[8:9], v7 offset1:15
	v_pk_fma_f32 v[0:1], v[6:7], v[2:3], v[0:1] op_sel_hi:[0,1,1]
	s_waitcnt lgkmcnt(1)
	v_cvt_f32_f16_e32 v2, v5
	v_cvt_f32_f16_sdwa v3, v5 dst_sel:DWORD dst_unused:UNUSED_PAD src0_sel:WORD_1
	v_add_u32_e32 v5, 28, v12
	v_lshlrev_b32_e32 v6, 1, v5
	v_and_b32_e32 v5, 15, v5
	v_cvt_f32_f16_e32 v10, v4
	v_cvt_f32_f16_sdwa v11, v4 dst_sel:DWORD dst_unused:UNUSED_PAD src0_sel:WORD_1
	v_and_or_b32 v5, v6, s9, v5
	v_mad_u32_u24 v5, v5, s8, 0
	v_add_u32_e32 v6, v5, v15
	v_add_u32_e32 v13, 0x2300, v16
	ds_read2st64_b32 v[6:7], v6 offset1:15
	global_store_dwordx2 v13, v[0:1], s[6:7]
	s_waitcnt lgkmcnt(1)
	v_pk_fma_f32 v[0:1], v[8:9], v[10:11], 0 op_sel_hi:[0,1,0]
	v_mov_b32_e32 v4, v9
	v_add_u32_e32 v13, 0x2a00, v16
	v_pk_fma_f32 v[0:1], v[4:5], v[2:3], v[0:1] op_sel_hi:[0,1,1]
	global_store_dwordx2 v13, v[0:1], s[6:7]
	v_add_u32_e32 v0, 0xe0, v5
	ds_read2st64_b32 v[0:1], v0 offset1:15
	s_waitcnt lgkmcnt(1)
	v_cvt_f32_f16_e32 v2, v6
	v_cvt_f32_f16_sdwa v3, v6 dst_sel:DWORD dst_unused:UNUSED_PAD src0_sel:WORD_1
	v_cvt_f32_f16_e32 v4, v7
	v_cvt_f32_f16_sdwa v5, v7 dst_sel:DWORD dst_unused:UNUSED_PAD src0_sel:WORD_1
	v_add_u32_e32 v8, v70, v97
	s_waitcnt lgkmcnt(0)
	v_pk_fma_f32 v[2:3], v[0:1], v[2:3], 0 op_sel_hi:[0,1,0]
	v_mov_b32_e32 v0, v1
	v_lshlrev_b32_e32 v9, 1, v8
	v_and_b32_e32 v10, 15, v8
	v_pk_fma_f32 v[0:1], v[0:1], v[4:5], v[2:3] op_sel_hi:[0,1,1]
	v_and_or_b32 v2, v9, s9, v10
	v_mad_u32_u24 v4, v2, s8, 0
	v_lshlrev_b32_e32 v11, 2, v68
	v_add_u32_e32 v2, v4, v11
	v_add_u32_e32 v2, 0x80, v2
	ds_read2st64_b32 v[2:3], v2 offset1:15
	v_add_u32_e32 v6, 0x3100, v16
	global_store_dwordx2 v6, v[0:1], s[6:7]
	v_add_u32_e32 v0, 0xe0, v4
	ds_read2st64_b32 v[0:1], v0 offset1:15
	s_waitcnt lgkmcnt(1)
	v_cvt_f32_f16_e32 v4, v2
	v_cvt_f32_f16_sdwa v5, v2 dst_sel:DWORD dst_unused:UNUSED_PAD src0_sel:WORD_1
	v_cvt_f32_f16_e32 v2, v3
	v_cvt_f32_f16_sdwa v3, v3 dst_sel:DWORD dst_unused:UNUSED_PAD src0_sel:WORD_1
	v_mul_u32_u24_e32 v6, 56, v8
	s_waitcnt lgkmcnt(0)
	v_pk_fma_f32 v[4:5], v[0:1], v[4:5], 0 op_sel_hi:[0,1,0]
	v_mov_b32_e32 v0, v1
	v_add_lshl_u32 v6, v6, v68, 3
	v_pk_fma_f32 v[0:1], v[0:1], v[2:3], v[4:5] op_sel_hi:[0,1,1]
	global_store_dwordx2 v6, v[0:1], s[6:7] offset:256
	v_add_u32_e32 v0, 8, v8
	v_lshlrev_b32_e32 v1, 1, v0
	v_and_b32_e32 v0, 15, v0
	s_movk_i32 s9, 0x3fe0
	v_and_or_b32 v0, v1, s9, v0
	v_mad_u32_u24 v2, v0, s8, 0
	v_mov_b32_e32 v0, 0x1c0
	v_mad_u32_u24 v4, v8, 56, v0
	v_add_u32_e32 v0, 0xe0, v2
	v_add_u32_e32 v2, v2, v11
	;; [unrolled: 1-line block ×3, first 2 shown]
	ds_read2st64_b32 v[2:3], v2 offset1:15
	ds_read2st64_b32 v[0:1], v0 offset1:15
	v_add_co_u32_e32 v4, vcc, v4, v68
	v_addc_co_u32_e64 v5, s[10:11], 0, 0, vcc
	s_waitcnt lgkmcnt(1)
	v_cvt_f32_f16_e32 v6, v2
	v_cvt_f32_f16_sdwa v7, v2 dst_sel:DWORD dst_unused:UNUSED_PAD src0_sel:WORD_1
	v_cvt_f32_f16_e32 v2, v3
	v_cvt_f32_f16_sdwa v3, v3 dst_sel:DWORD dst_unused:UNUSED_PAD src0_sel:WORD_1
	v_lshlrev_b64 v[4:5], 3, v[4:5]
	v_mov_b32_e32 v12, s7
	v_add_co_u32_e32 v4, vcc, s6, v4
	s_waitcnt lgkmcnt(0)
	v_pk_fma_f32 v[6:7], v[0:1], v[6:7], 0 op_sel_hi:[0,1,0]
	v_mov_b32_e32 v0, v1
	v_addc_co_u32_e32 v5, vcc, v12, v5, vcc
	v_pk_fma_f32 v[0:1], v[0:1], v[2:3], v[6:7] op_sel_hi:[0,1,1]
	global_store_dwordx2 v[4:5], v[0:1], off offset:256
	v_add_u32_e32 v0, 32, v9
	v_and_or_b32 v0, v0, s9, v10
	v_mad_u32_u24 v2, v0, s8, 0
	v_mov_b32_e32 v0, 0x380
	v_mad_u32_u24 v4, v8, 56, v0
	v_add_u32_e32 v0, 0xe0, v2
	v_add_u32_e32 v2, v2, v11
	v_add_u32_e32 v2, 0x80, v2
	ds_read2st64_b32 v[2:3], v2 offset1:15
	ds_read2st64_b32 v[0:1], v0 offset1:15
	v_add_co_u32_e32 v4, vcc, v4, v68
	v_addc_co_u32_e64 v5, s[10:11], 0, 0, vcc
	s_waitcnt lgkmcnt(1)
	v_cvt_f32_f16_e32 v6, v2
	v_cvt_f32_f16_sdwa v7, v2 dst_sel:DWORD dst_unused:UNUSED_PAD src0_sel:WORD_1
	v_cvt_f32_f16_e32 v2, v3
	v_cvt_f32_f16_sdwa v3, v3 dst_sel:DWORD dst_unused:UNUSED_PAD src0_sel:WORD_1
	v_lshlrev_b64 v[4:5], 3, v[4:5]
	v_mov_b32_e32 v9, s7
	v_add_co_u32_e32 v4, vcc, s6, v4
	s_waitcnt lgkmcnt(0)
	v_pk_fma_f32 v[6:7], v[0:1], v[6:7], 0 op_sel_hi:[0,1,0]
	v_mov_b32_e32 v0, v1
	v_addc_co_u32_e32 v5, vcc, v9, v5, vcc
	v_pk_fma_f32 v[0:1], v[0:1], v[2:3], v[6:7] op_sel_hi:[0,1,1]
	global_store_dwordx2 v[4:5], v[0:1], off offset:256
	v_add_u32_e32 v0, 24, v8
	v_lshlrev_b32_e32 v1, 1, v0
	v_and_b32_e32 v0, 15, v0
	v_and_or_b32 v0, v1, s9, v0
	v_mad_u32_u24 v2, v0, s8, 0
	v_mov_b32_e32 v0, 0x540
	v_mad_u32_u24 v4, v8, 56, v0
	v_add_u32_e32 v0, 0xe0, v2
	v_add_u32_e32 v2, v2, v11
	;; [unrolled: 1-line block ×3, first 2 shown]
	ds_read2st64_b32 v[2:3], v2 offset1:15
	ds_read2st64_b32 v[0:1], v0 offset1:15
	v_add_u32_e32 v11, v69, v96
	v_lshlrev_b32_e32 v12, 1, v11
	v_and_b32_e32 v13, 15, v11
	s_waitcnt lgkmcnt(1)
	v_cvt_f32_f16_e32 v6, v2
	v_cvt_f32_f16_sdwa v7, v2 dst_sel:DWORD dst_unused:UNUSED_PAD src0_sel:WORD_1
	v_add_co_u32_e32 v4, vcc, v4, v68
	v_and_b32_e32 v10, 7, v31
	s_waitcnt lgkmcnt(0)
	v_pk_fma_f32 v[6:7], v[0:1], v[6:7], 0 op_sel_hi:[0,1,0]
	v_mov_b32_e32 v0, v1
	v_and_or_b32 v1, v12, s9, v13
	v_addc_co_u32_e64 v5, s[10:11], 0, 0, vcc
	v_mad_u32_u24 v14, v1, s8, 0
	v_lshlrev_b32_e32 v15, 2, v10
	v_lshlrev_b64 v[4:5], 3, v[4:5]
	v_cvt_f32_f16_e32 v2, v3
	v_cvt_f32_f16_sdwa v3, v3 dst_sel:DWORD dst_unused:UNUSED_PAD src0_sel:WORD_1
	v_add_u32_e32 v1, v14, v15
	v_mov_b32_e32 v8, s7
	v_add_co_u32_e32 v4, vcc, s6, v4
	v_add_u32_e32 v1, 0xc0, v1
	v_addc_co_u32_e32 v5, vcc, v8, v5, vcc
	ds_read2st64_b32 v[8:9], v1 offset1:15
	v_pk_fma_f32 v[0:1], v[0:1], v[2:3], v[6:7] op_sel_hi:[0,1,1]
	global_store_dwordx2 v[4:5], v[0:1], off offset:256
	v_add_u32_e32 v0, 0xe0, v14
	ds_read2st64_b32 v[0:1], v0 offset1:15
	s_waitcnt lgkmcnt(1)
	v_cvt_f32_f16_e32 v2, v8
	v_cvt_f32_f16_sdwa v3, v8 dst_sel:DWORD dst_unused:UNUSED_PAD src0_sel:WORD_1
	v_mul_u32_u24_e32 v4, 56, v11
	s_movk_i32 s9, 0x7fe0
	v_or_b32_e32 v4, v4, v10
	s_waitcnt lgkmcnt(0)
	v_pk_fma_f32 v[2:3], v[0:1], v[2:3], 0 op_sel_hi:[0,1,0]
	v_mov_b32_e32 v0, v1
	v_add_u32_e32 v1, 32, v12
	v_and_or_b32 v1, v1, s9, v13
	v_lshlrev_b32_e32 v8, 3, v4
	v_cvt_f32_f16_e32 v4, v9
	v_cvt_f32_f16_sdwa v5, v9 dst_sel:DWORD dst_unused:UNUSED_PAD src0_sel:WORD_1
	v_mad_u32_u24 v9, v1, s8, 0
	v_add_u32_e32 v1, v9, v15
	v_add_u32_e32 v1, 0xc0, v1
	ds_read2st64_b32 v[6:7], v1 offset1:15
	v_pk_fma_f32 v[0:1], v[0:1], v[4:5], v[2:3] op_sel_hi:[0,1,1]
	global_store_dwordx2 v8, v[0:1], s[6:7] offset:384
	v_add_u32_e32 v0, 0xe0, v9
	ds_read2st64_b32 v[0:1], v0 offset1:15
	s_waitcnt lgkmcnt(1)
	v_cvt_f32_f16_e32 v2, v6
	v_cvt_f32_f16_sdwa v3, v6 dst_sel:DWORD dst_unused:UNUSED_PAD src0_sel:WORD_1
	v_cvt_f32_f16_e32 v4, v7
	v_cvt_f32_f16_sdwa v5, v7 dst_sel:DWORD dst_unused:UNUSED_PAD src0_sel:WORD_1
	v_add_u32_e32 v6, 0x1c00, v8
	s_waitcnt lgkmcnt(0)
	v_pk_fma_f32 v[2:3], v[0:1], v[2:3], 0 op_sel_hi:[0,1,0]
	v_mov_b32_e32 v0, v1
	v_pk_fma_f32 v[0:1], v[0:1], v[4:5], v[2:3] op_sel_hi:[0,1,1]
	global_store_dwordx2 v6, v[0:1], s[6:7] offset:384
.LBB19_380:
	s_or_b64 exec, exec, s[4:5]
	s_barrier
	s_endpgm
.LBB19_381:
                                        ; implicit-def: $vgpr0_vgpr1_vgpr2_vgpr3
                                        ; implicit-def: $vgpr4_vgpr5_vgpr6_vgpr7
                                        ; implicit-def: $vgpr27
                                        ; implicit-def: $vgpr26
	s_branch .LBB19_365
	.section	.rodata,"a",@progbits
	.p2align	6, 0x0
	.amdhsa_kernel _ZL18flash_attn_ext_f16ILi112ELi112ELi32ELi1ELb0ELb0EEvPKcS1_S1_S1_S1_PKiPfP15HIP_vector_typeIfLj2EEffffjfiS5_IjLj3EEiiiiiiiiiiiliiliiiiil
		.amdhsa_group_segment_fixed_size 0
		.amdhsa_private_segment_fixed_size 48
		.amdhsa_kernarg_size 464
		.amdhsa_user_sgpr_count 8
		.amdhsa_user_sgpr_private_segment_buffer 1
		.amdhsa_user_sgpr_dispatch_ptr 0
		.amdhsa_user_sgpr_queue_ptr 0
		.amdhsa_user_sgpr_kernarg_segment_ptr 1
		.amdhsa_user_sgpr_dispatch_id 0
		.amdhsa_user_sgpr_flat_scratch_init 1
		.amdhsa_user_sgpr_kernarg_preload_length 0
		.amdhsa_user_sgpr_kernarg_preload_offset 0
		.amdhsa_user_sgpr_private_segment_size 0
		.amdhsa_uses_dynamic_stack 0
		.amdhsa_system_sgpr_private_segment_wavefront_offset 1
		.amdhsa_system_sgpr_workgroup_id_x 1
		.amdhsa_system_sgpr_workgroup_id_y 0
		.amdhsa_system_sgpr_workgroup_id_z 0
		.amdhsa_system_sgpr_workgroup_info 0
		.amdhsa_system_vgpr_workitem_id 1
		.amdhsa_next_free_vgpr 256
		.amdhsa_next_free_sgpr 100
		.amdhsa_accum_offset 256
		.amdhsa_reserve_vcc 1
		.amdhsa_reserve_flat_scratch 1
		.amdhsa_float_round_mode_32 0
		.amdhsa_float_round_mode_16_64 0
		.amdhsa_float_denorm_mode_32 3
		.amdhsa_float_denorm_mode_16_64 3
		.amdhsa_dx10_clamp 1
		.amdhsa_ieee_mode 1
		.amdhsa_fp16_overflow 0
		.amdhsa_tg_split 0
		.amdhsa_exception_fp_ieee_invalid_op 0
		.amdhsa_exception_fp_denorm_src 0
		.amdhsa_exception_fp_ieee_div_zero 0
		.amdhsa_exception_fp_ieee_overflow 0
		.amdhsa_exception_fp_ieee_underflow 0
		.amdhsa_exception_fp_ieee_inexact 0
		.amdhsa_exception_int_div_zero 0
	.end_amdhsa_kernel
	.section	.text._ZL18flash_attn_ext_f16ILi112ELi112ELi32ELi1ELb0ELb0EEvPKcS1_S1_S1_S1_PKiPfP15HIP_vector_typeIfLj2EEffffjfiS5_IjLj3EEiiiiiiiiiiiliiliiiiil,"axG",@progbits,_ZL18flash_attn_ext_f16ILi112ELi112ELi32ELi1ELb0ELb0EEvPKcS1_S1_S1_S1_PKiPfP15HIP_vector_typeIfLj2EEffffjfiS5_IjLj3EEiiiiiiiiiiiliiliiiiil,comdat
.Lfunc_end19:
	.size	_ZL18flash_attn_ext_f16ILi112ELi112ELi32ELi1ELb0ELb0EEvPKcS1_S1_S1_S1_PKiPfP15HIP_vector_typeIfLj2EEffffjfiS5_IjLj3EEiiiiiiiiiiiliiliiiiil, .Lfunc_end19-_ZL18flash_attn_ext_f16ILi112ELi112ELi32ELi1ELb0ELb0EEvPKcS1_S1_S1_S1_PKiPfP15HIP_vector_typeIfLj2EEffffjfiS5_IjLj3EEiiiiiiiiiiiliiliiiiil
                                        ; -- End function
	.section	.AMDGPU.csdata,"",@progbits
; Kernel info:
; codeLenInByte = 57516
; NumSgprs: 106
; NumVgprs: 256
; NumAgprs: 0
; TotalNumVgprs: 256
; ScratchSize: 48
; MemoryBound: 0
; FloatMode: 240
; IeeeMode: 1
; LDSByteSize: 0 bytes/workgroup (compile time only)
; SGPRBlocks: 13
; VGPRBlocks: 31
; NumSGPRsForWavesPerEU: 106
; NumVGPRsForWavesPerEU: 256
; AccumOffset: 256
; Occupancy: 2
; WaveLimiterHint : 0
; COMPUTE_PGM_RSRC2:SCRATCH_EN: 1
; COMPUTE_PGM_RSRC2:USER_SGPR: 8
; COMPUTE_PGM_RSRC2:TRAP_HANDLER: 0
; COMPUTE_PGM_RSRC2:TGID_X_EN: 1
; COMPUTE_PGM_RSRC2:TGID_Y_EN: 0
; COMPUTE_PGM_RSRC2:TGID_Z_EN: 0
; COMPUTE_PGM_RSRC2:TIDIG_COMP_CNT: 1
; COMPUTE_PGM_RSRC3_GFX90A:ACCUM_OFFSET: 63
; COMPUTE_PGM_RSRC3_GFX90A:TG_SPLIT: 0
	.section	.text._ZL18flash_attn_ext_f16ILi112ELi112ELi32ELi1ELb1ELb0EEvPKcS1_S1_S1_S1_PKiPfP15HIP_vector_typeIfLj2EEffffjfiS5_IjLj3EEiiiiiiiiiiiliiliiiiil,"axG",@progbits,_ZL18flash_attn_ext_f16ILi112ELi112ELi32ELi1ELb1ELb0EEvPKcS1_S1_S1_S1_PKiPfP15HIP_vector_typeIfLj2EEffffjfiS5_IjLj3EEiiiiiiiiiiiliiliiiiil,comdat
	.globl	_ZL18flash_attn_ext_f16ILi112ELi112ELi32ELi1ELb1ELb0EEvPKcS1_S1_S1_S1_PKiPfP15HIP_vector_typeIfLj2EEffffjfiS5_IjLj3EEiiiiiiiiiiiliiliiiiil ; -- Begin function _ZL18flash_attn_ext_f16ILi112ELi112ELi32ELi1ELb1ELb0EEvPKcS1_S1_S1_S1_PKiPfP15HIP_vector_typeIfLj2EEffffjfiS5_IjLj3EEiiiiiiiiiiiliiliiiiil
	.p2align	8
	.type	_ZL18flash_attn_ext_f16ILi112ELi112ELi32ELi1ELb1ELb0EEvPKcS1_S1_S1_S1_PKiPfP15HIP_vector_typeIfLj2EEffffjfiS5_IjLj3EEiiiiiiiiiiiliiliiiiil,@function
_ZL18flash_attn_ext_f16ILi112ELi112ELi32ELi1ELb1ELb0EEvPKcS1_S1_S1_S1_PKiPfP15HIP_vector_typeIfLj2EEffffjfiS5_IjLj3EEiiiiiiiiiiiliiliiiiil: ; @_ZL18flash_attn_ext_f16ILi112ELi112ELi32ELi1ELb1ELb0EEvPKcS1_S1_S1_S1_PKiPfP15HIP_vector_typeIfLj2EEffffjfiS5_IjLj3EEiiiiiiiiiiiliiliiiiil
; %bb.0:
	s_add_u32 flat_scratch_lo, s6, s9
	s_addc_u32 flat_scratch_hi, s7, 0
	s_add_u32 s0, s0, s9
	s_addc_u32 s1, s1, 0
	s_add_u32 s8, s4, 0xd0
	s_addc_u32 s9, s5, 0
	s_mov_b32 s32, 0
	s_getpc_b64 s[4:5]
	s_add_u32 s4, s4, _ZL14no_device_codePKciS0_iS0_@rel32@lo+4
	s_addc_u32 s5, s5, _ZL14no_device_codePKciS0_iS0_@rel32@hi+12
	s_swappc_b64 s[30:31], s[4:5]
	.section	.rodata,"a",@progbits
	.p2align	6, 0x0
	.amdhsa_kernel _ZL18flash_attn_ext_f16ILi112ELi112ELi32ELi1ELb1ELb0EEvPKcS1_S1_S1_S1_PKiPfP15HIP_vector_typeIfLj2EEffffjfiS5_IjLj3EEiiiiiiiiiiiliiliiiiil
		.amdhsa_group_segment_fixed_size 0
		.amdhsa_private_segment_fixed_size 16
		.amdhsa_kernarg_size 464
		.amdhsa_user_sgpr_count 8
		.amdhsa_user_sgpr_private_segment_buffer 1
		.amdhsa_user_sgpr_dispatch_ptr 0
		.amdhsa_user_sgpr_queue_ptr 0
		.amdhsa_user_sgpr_kernarg_segment_ptr 1
		.amdhsa_user_sgpr_dispatch_id 0
		.amdhsa_user_sgpr_flat_scratch_init 1
		.amdhsa_user_sgpr_kernarg_preload_length 0
		.amdhsa_user_sgpr_kernarg_preload_offset 0
		.amdhsa_user_sgpr_private_segment_size 0
		.amdhsa_uses_dynamic_stack 0
		.amdhsa_system_sgpr_private_segment_wavefront_offset 1
		.amdhsa_system_sgpr_workgroup_id_x 1
		.amdhsa_system_sgpr_workgroup_id_y 0
		.amdhsa_system_sgpr_workgroup_id_z 0
		.amdhsa_system_sgpr_workgroup_info 0
		.amdhsa_system_vgpr_workitem_id 0
		.amdhsa_next_free_vgpr 39
		.amdhsa_next_free_sgpr 34
		.amdhsa_accum_offset 40
		.amdhsa_reserve_vcc 1
		.amdhsa_reserve_flat_scratch 1
		.amdhsa_float_round_mode_32 0
		.amdhsa_float_round_mode_16_64 0
		.amdhsa_float_denorm_mode_32 3
		.amdhsa_float_denorm_mode_16_64 3
		.amdhsa_dx10_clamp 1
		.amdhsa_ieee_mode 1
		.amdhsa_fp16_overflow 0
		.amdhsa_tg_split 0
		.amdhsa_exception_fp_ieee_invalid_op 0
		.amdhsa_exception_fp_denorm_src 0
		.amdhsa_exception_fp_ieee_div_zero 0
		.amdhsa_exception_fp_ieee_overflow 0
		.amdhsa_exception_fp_ieee_underflow 0
		.amdhsa_exception_fp_ieee_inexact 0
		.amdhsa_exception_int_div_zero 0
	.end_amdhsa_kernel
	.section	.text._ZL18flash_attn_ext_f16ILi112ELi112ELi32ELi1ELb1ELb0EEvPKcS1_S1_S1_S1_PKiPfP15HIP_vector_typeIfLj2EEffffjfiS5_IjLj3EEiiiiiiiiiiiliiliiiiil,"axG",@progbits,_ZL18flash_attn_ext_f16ILi112ELi112ELi32ELi1ELb1ELb0EEvPKcS1_S1_S1_S1_PKiPfP15HIP_vector_typeIfLj2EEffffjfiS5_IjLj3EEiiiiiiiiiiiliiliiiiil,comdat
.Lfunc_end20:
	.size	_ZL18flash_attn_ext_f16ILi112ELi112ELi32ELi1ELb1ELb0EEvPKcS1_S1_S1_S1_PKiPfP15HIP_vector_typeIfLj2EEffffjfiS5_IjLj3EEiiiiiiiiiiiliiliiiiil, .Lfunc_end20-_ZL18flash_attn_ext_f16ILi112ELi112ELi32ELi1ELb1ELb0EEvPKcS1_S1_S1_S1_PKiPfP15HIP_vector_typeIfLj2EEffffjfiS5_IjLj3EEiiiiiiiiiiiliiliiiiil
                                        ; -- End function
	.section	.AMDGPU.csdata,"",@progbits
; Kernel info:
; codeLenInByte = 56
; NumSgprs: 40
; NumVgprs: 39
; NumAgprs: 0
; TotalNumVgprs: 39
; ScratchSize: 16
; MemoryBound: 0
; FloatMode: 240
; IeeeMode: 1
; LDSByteSize: 0 bytes/workgroup (compile time only)
; SGPRBlocks: 4
; VGPRBlocks: 4
; NumSGPRsForWavesPerEU: 40
; NumVGPRsForWavesPerEU: 39
; AccumOffset: 40
; Occupancy: 8
; WaveLimiterHint : 1
; COMPUTE_PGM_RSRC2:SCRATCH_EN: 1
; COMPUTE_PGM_RSRC2:USER_SGPR: 8
; COMPUTE_PGM_RSRC2:TRAP_HANDLER: 0
; COMPUTE_PGM_RSRC2:TGID_X_EN: 1
; COMPUTE_PGM_RSRC2:TGID_Y_EN: 0
; COMPUTE_PGM_RSRC2:TGID_Z_EN: 0
; COMPUTE_PGM_RSRC2:TIDIG_COMP_CNT: 0
; COMPUTE_PGM_RSRC3_GFX90A:ACCUM_OFFSET: 9
; COMPUTE_PGM_RSRC3_GFX90A:TG_SPLIT: 0
	.section	.text._ZL33flash_attn_stream_k_fixup_uniformILi112ELi32ELi1EEvPfPK15HIP_vector_typeIfLj2EEiiiiiiS1_IjLj3EES5_S5_,"axG",@progbits,_ZL33flash_attn_stream_k_fixup_uniformILi112ELi32ELi1EEvPfPK15HIP_vector_typeIfLj2EEiiiiiiS1_IjLj3EES5_S5_,comdat
	.globl	_ZL33flash_attn_stream_k_fixup_uniformILi112ELi32ELi1EEvPfPK15HIP_vector_typeIfLj2EEiiiiiiS1_IjLj3EES5_S5_ ; -- Begin function _ZL33flash_attn_stream_k_fixup_uniformILi112ELi32ELi1EEvPfPK15HIP_vector_typeIfLj2EEiiiiiiS1_IjLj3EES5_S5_
	.p2align	8
	.type	_ZL33flash_attn_stream_k_fixup_uniformILi112ELi32ELi1EEvPfPK15HIP_vector_typeIfLj2EEiiiiiiS1_IjLj3EES5_S5_,@function
_ZL33flash_attn_stream_k_fixup_uniformILi112ELi32ELi1EEvPfPK15HIP_vector_typeIfLj2EEiiiiiiS1_IjLj3EES5_S5_: ; @_ZL33flash_attn_stream_k_fixup_uniformILi112ELi32ELi1EEvPfPK15HIP_vector_typeIfLj2EEiiiiiiS1_IjLj3EES5_S5_
; %bb.0:
	s_load_dwordx8 s[12:19], s[4:5], 0x1c
	s_load_dwordx2 s[10:11], s[4:5], 0x10
	s_load_dwordx4 s[0:3], s[4:5], 0x3c
	s_waitcnt lgkmcnt(0)
	s_mul_hi_u32 s9, s15, s6
	s_add_i32 s9, s6, s9
	s_lshr_b32 s9, s9, s16
	s_mul_i32 s15, s9, s17
	s_sub_i32 s16, s6, s15
	s_mul_hi_u32 s15, s16, s18
	s_add_i32 s15, s16, s15
	s_lshr_b32 s15, s15, s19
	s_mul_i32 s0, s15, s0
	s_sub_i32 s0, s16, s0
	;; [unrolled: 5-line block ×3, first 2 shown]
	s_lshl_b32 s0, s16, 5
	s_add_i32 s0, s0, s7
	s_cmp_lt_i32 s0, s10
	s_cselect_b64 s[0:1], -1, 0
	s_add_i32 s17, s17, s8
	s_cmp_lt_i32 s17, s13
	s_cselect_b64 s[2:3], -1, 0
	s_and_b64 s[0:1], s[0:1], s[2:3]
	s_andn2_b64 vcc, exec, s[0:1]
	s_cbranch_vccnz .LBB21_6
; %bb.1:
	s_load_dwordx4 s[0:3], s[4:5], 0x0
	s_mul_i32 s4, s9, s10
	s_mul_i32 s15, s15, s13
	s_add_i32 s4, s4, s7
	s_mul_i32 s4, s4, s11
	s_add_i32 s9, s17, s15
	;; [unrolled: 2-line block ×3, first 2 shown]
	s_mulk_i32 s5, 0xe00
	s_mulk_i32 s4, 0x70
	s_add_i32 s4, s4, s5
	v_add_u32_e32 v2, s4, v0
	v_ashrrev_i32_e32 v3, 31, v2
	v_lshlrev_b64 v[2:3], 2, v[2:3]
	s_waitcnt lgkmcnt(0)
	v_mov_b32_e32 v1, s1
	v_add_co_u32_e32 v2, vcc, s0, v2
	v_addc_co_u32_e32 v3, vcc, v1, v3, vcc
	global_load_dword v8, v[2:3], off
	s_add_i32 s4, s7, s8
	s_mul_i32 s7, s6, s14
	s_add_i32 s5, s7, s14
	s_lshl_b32 s0, s5, 5
	s_add_i32 s0, s4, s0
	s_sub_i32 s0, s0, 32
	s_ashr_i32 s1, s0, 31
	s_lshl_b64 s[0:1], s[0:1], 3
	s_add_u32 s0, s2, s0
	s_addc_u32 s1, s3, s1
	s_load_dword s10, s[0:1], 0x4
	s_add_i32 s8, s5, -2
	s_cmp_lt_i32 s8, s7
	s_cbranch_scc1 .LBB21_4
; %bb.2:
	s_lshl_b32 s8, s12, 7
	s_ashr_i32 s9, s8, 31
	s_lshl_b64 s[8:9], s[8:9], 2
	s_add_u32 s8, s2, s8
	s_addc_u32 s11, s3, s9
	s_load_dword s0, s[0:1], 0x0
	s_add_i32 s6, s6, 1
	s_add_i32 s9, s5, -1
	s_mul_i32 s5, s14, s6
	s_mul_i32 s1, s4, 0x70
	s_lshl_b32 s6, s5, 5
	s_mulk_i32 s5, 0xe00
	s_add_i32 s4, s4, s6
	s_lshl_b32 s6, s12, 5
	s_add_i32 s1, s1, s5
	s_add_i32 s4, s4, s6
	v_add_u32_e32 v0, s1, v0
	s_sub_i32 s4, s4, 64
	v_add_u32_e32 v0, 0xffffe400, v0
	s_waitcnt lgkmcnt(0)
	v_mov_b32_e32 v7, s10
	v_mov_b32_e32 v6, s0
	;; [unrolled: 1-line block ×3, first 2 shown]
	s_mov_b32 s6, 0x3fb8aa3b
	s_mov_b32 s10, 0xc2ce8ed0
	;; [unrolled: 1-line block ×3, first 2 shown]
	v_mov_b32_e32 v5, 0x7f800000
	s_mov_b32 s12, 0xc1a00000
.LBB21_3:                               ; =>This Inner Loop Header: Depth=1
	v_ashrrev_i32_e32 v1, 31, v0
	v_lshlrev_b64 v[10:11], 2, v[0:1]
	v_add_co_u32_e32 v10, vcc, s8, v10
	v_addc_co_u32_e32 v11, vcc, v4, v11, vcc
	global_load_dword v1, v[10:11], off
	s_ashr_i32 s5, s4, 31
	s_lshl_b64 s[0:1], s[4:5], 3
	s_add_u32 s0, s2, s0
	s_addc_u32 s1, s3, s1
	s_load_dwordx2 s[14:15], s[0:1], 0x0
	s_waitcnt vmcnt(1)
	v_mov_b32_e32 v9, v8
	v_max_f32_e32 v8, v6, v6
	v_mov_b32_e32 v10, v7
	s_add_i32 s9, s9, -1
	s_waitcnt lgkmcnt(0)
	v_max_f32_e64 v7, s14, s14
	v_max_f32_e32 v7, v8, v7
	v_sub_f32_e32 v11, s14, v7
	v_sub_f32_e32 v8, v6, v7
	v_mul_f32_e32 v12, 0x3fb8aa3b, v11
	v_mov_b32_e32 v6, v7
	v_mul_f32_e32 v7, 0x3fb8aa3b, v8
	v_fma_f32 v15, v11, s6, -v12
	v_rndne_f32_e32 v16, v12
	v_fma_f32 v13, v8, s6, -v7
	v_rndne_f32_e32 v14, v7
	v_fmac_f32_e32 v15, 0x32a5705f, v11
	v_sub_f32_e32 v12, v12, v16
	v_fmac_f32_e32 v13, 0x32a5705f, v8
	v_sub_f32_e32 v7, v7, v14
	v_add_f32_e32 v12, v12, v15
	v_cvt_i32_f32_e32 v16, v16
	v_add_f32_e32 v7, v7, v13
	v_exp_f32_e32 v12, v12
	v_cvt_i32_f32_e32 v14, v14
	v_exp_f32_e32 v7, v7
	v_cmp_ngt_f32_e32 vcc, s10, v11
	v_ldexp_f32 v12, v12, v16
	v_cmp_ngt_f32_e64 s[0:1], s10, v8
	v_ldexp_f32 v7, v7, v14
	v_cndmask_b32_e32 v12, 0, v12, vcc
	v_cmp_nlt_f32_e32 vcc, s11, v11
	v_cndmask_b32_e64 v7, 0, v7, s[0:1]
	v_cmp_nlt_f32_e64 s[0:1], s11, v8
	v_cndmask_b32_e32 v12, v5, v12, vcc
	v_cmp_le_f32_e32 vcc, s12, v11
	v_cndmask_b32_e64 v7, v5, v7, s[0:1]
	v_cmp_le_f32_e64 s[0:1], s12, v8
	v_cndmask_b32_e32 v8, 0, v12, vcc
	s_sub_i32 s4, s4, 32
	v_cndmask_b32_e64 v11, 0, v7, s[0:1]
	v_mul_f32_e32 v7, s15, v8
	v_add_u32_e32 v0, 0xfffff200, v0
	s_cmp_le_i32 s9, s7
	v_fmac_f32_e32 v7, v10, v11
	s_waitcnt vmcnt(0)
	v_mul_f32_e32 v8, v1, v8
	v_fmac_f32_e32 v8, v9, v11
	s_cbranch_scc0 .LBB21_3
	s_branch .LBB21_5
.LBB21_4:
	s_waitcnt lgkmcnt(0)
	v_mov_b32_e32 v7, s10
.LBB21_5:
	s_waitcnt vmcnt(0)
	v_div_scale_f32 v0, s[0:1], v7, v7, v8
	v_rcp_f32_e32 v1, v0
	v_div_scale_f32 v4, vcc, v8, v7, v8
	v_fma_f32 v5, -v0, v1, 1.0
	v_fmac_f32_e32 v1, v5, v1
	v_mul_f32_e32 v5, v4, v1
	v_fma_f32 v6, -v0, v5, v4
	v_fmac_f32_e32 v5, v6, v1
	v_fma_f32 v0, -v0, v5, v4
	v_div_fmas_f32 v0, v0, v1, v5
	v_div_fixup_f32 v0, v0, v7, v8
	global_store_dword v[2:3], v0, off
.LBB21_6:
	s_endpgm
	.section	.rodata,"a",@progbits
	.p2align	6, 0x0
	.amdhsa_kernel _ZL33flash_attn_stream_k_fixup_uniformILi112ELi32ELi1EEvPfPK15HIP_vector_typeIfLj2EEiiiiiiS1_IjLj3EES5_S5_
		.amdhsa_group_segment_fixed_size 0
		.amdhsa_private_segment_fixed_size 0
		.amdhsa_kernarg_size 76
		.amdhsa_user_sgpr_count 6
		.amdhsa_user_sgpr_private_segment_buffer 1
		.amdhsa_user_sgpr_dispatch_ptr 0
		.amdhsa_user_sgpr_queue_ptr 0
		.amdhsa_user_sgpr_kernarg_segment_ptr 1
		.amdhsa_user_sgpr_dispatch_id 0
		.amdhsa_user_sgpr_flat_scratch_init 0
		.amdhsa_user_sgpr_kernarg_preload_length 0
		.amdhsa_user_sgpr_kernarg_preload_offset 0
		.amdhsa_user_sgpr_private_segment_size 0
		.amdhsa_uses_dynamic_stack 0
		.amdhsa_system_sgpr_private_segment_wavefront_offset 0
		.amdhsa_system_sgpr_workgroup_id_x 1
		.amdhsa_system_sgpr_workgroup_id_y 1
		.amdhsa_system_sgpr_workgroup_id_z 1
		.amdhsa_system_sgpr_workgroup_info 0
		.amdhsa_system_vgpr_workitem_id 0
		.amdhsa_next_free_vgpr 17
		.amdhsa_next_free_sgpr 20
		.amdhsa_accum_offset 20
		.amdhsa_reserve_vcc 1
		.amdhsa_reserve_flat_scratch 0
		.amdhsa_float_round_mode_32 0
		.amdhsa_float_round_mode_16_64 0
		.amdhsa_float_denorm_mode_32 3
		.amdhsa_float_denorm_mode_16_64 3
		.amdhsa_dx10_clamp 1
		.amdhsa_ieee_mode 1
		.amdhsa_fp16_overflow 0
		.amdhsa_tg_split 0
		.amdhsa_exception_fp_ieee_invalid_op 0
		.amdhsa_exception_fp_denorm_src 0
		.amdhsa_exception_fp_ieee_div_zero 0
		.amdhsa_exception_fp_ieee_overflow 0
		.amdhsa_exception_fp_ieee_underflow 0
		.amdhsa_exception_fp_ieee_inexact 0
		.amdhsa_exception_int_div_zero 0
	.end_amdhsa_kernel
	.section	.text._ZL33flash_attn_stream_k_fixup_uniformILi112ELi32ELi1EEvPfPK15HIP_vector_typeIfLj2EEiiiiiiS1_IjLj3EES5_S5_,"axG",@progbits,_ZL33flash_attn_stream_k_fixup_uniformILi112ELi32ELi1EEvPfPK15HIP_vector_typeIfLj2EEiiiiiiS1_IjLj3EES5_S5_,comdat
.Lfunc_end21:
	.size	_ZL33flash_attn_stream_k_fixup_uniformILi112ELi32ELi1EEvPfPK15HIP_vector_typeIfLj2EEiiiiiiS1_IjLj3EES5_S5_, .Lfunc_end21-_ZL33flash_attn_stream_k_fixup_uniformILi112ELi32ELi1EEvPfPK15HIP_vector_typeIfLj2EEiiiiiiS1_IjLj3EES5_S5_
                                        ; -- End function
	.section	.AMDGPU.csdata,"",@progbits
; Kernel info:
; codeLenInByte = 836
; NumSgprs: 24
; NumVgprs: 17
; NumAgprs: 0
; TotalNumVgprs: 17
; ScratchSize: 0
; MemoryBound: 0
; FloatMode: 240
; IeeeMode: 1
; LDSByteSize: 0 bytes/workgroup (compile time only)
; SGPRBlocks: 2
; VGPRBlocks: 2
; NumSGPRsForWavesPerEU: 24
; NumVGPRsForWavesPerEU: 17
; AccumOffset: 20
; Occupancy: 8
; WaveLimiterHint : 0
; COMPUTE_PGM_RSRC2:SCRATCH_EN: 0
; COMPUTE_PGM_RSRC2:USER_SGPR: 6
; COMPUTE_PGM_RSRC2:TRAP_HANDLER: 0
; COMPUTE_PGM_RSRC2:TGID_X_EN: 1
; COMPUTE_PGM_RSRC2:TGID_Y_EN: 1
; COMPUTE_PGM_RSRC2:TGID_Z_EN: 1
; COMPUTE_PGM_RSRC2:TIDIG_COMP_CNT: 0
; COMPUTE_PGM_RSRC3_GFX90A:ACCUM_OFFSET: 4
; COMPUTE_PGM_RSRC3_GFX90A:TG_SPLIT: 0
	.section	.text._ZL33flash_attn_stream_k_fixup_generalILi112ELi32ELi1EEvPfPK15HIP_vector_typeIfLj2EEiiiiS1_IjLj3EES5_S5_S5_,"axG",@progbits,_ZL33flash_attn_stream_k_fixup_generalILi112ELi32ELi1EEvPfPK15HIP_vector_typeIfLj2EEiiiiS1_IjLj3EES5_S5_S5_,comdat
	.globl	_ZL33flash_attn_stream_k_fixup_generalILi112ELi32ELi1EEvPfPK15HIP_vector_typeIfLj2EEiiiiS1_IjLj3EES5_S5_S5_ ; -- Begin function _ZL33flash_attn_stream_k_fixup_generalILi112ELi32ELi1EEvPfPK15HIP_vector_typeIfLj2EEiiiiS1_IjLj3EES5_S5_S5_
	.p2align	8
	.type	_ZL33flash_attn_stream_k_fixup_generalILi112ELi32ELi1EEvPfPK15HIP_vector_typeIfLj2EEiiiiS1_IjLj3EES5_S5_S5_,@function
_ZL33flash_attn_stream_k_fixup_generalILi112ELi32ELi1EEvPfPK15HIP_vector_typeIfLj2EEiiiiS1_IjLj3EES5_S5_S5_: ; @_ZL33flash_attn_stream_k_fixup_generalILi112ELi32ELi1EEvPfPK15HIP_vector_typeIfLj2EEiiiiS1_IjLj3EES5_S5_S5_
; %bb.0:
	s_load_dwordx4 s[12:15], s[4:5], 0x10
	s_load_dword s9, s[4:5], 0x50
	s_mov_b32 s2, 0
	s_waitcnt lgkmcnt(0)
	s_mul_hi_i32 s3, s15, s6
	s_cmp_lg_u64 s[2:3], 0
	s_mul_i32 s2, s15, s6
	s_cbranch_scc0 .LBB22_21
; %bb.1:
	v_cvt_f32_u32_e32 v1, s9
	v_cvt_f32_ubyte0_e32 v2, 0
	s_sub_u32 s10, 0, s9
	s_subb_u32 s11, 0, 0
	v_madmk_f32 v1, v2, 0x4f800000, v1
	v_rcp_f32_e32 v1, v1
	v_mul_f32_e32 v1, 0x5f7ffffc, v1
	v_mul_f32_e32 v2, 0x2f800000, v1
	v_trunc_f32_e32 v2, v2
	v_madmk_f32 v1, v2, 0xcf800000, v1
	v_cvt_u32_f32_e32 v2, v2
	v_cvt_u32_f32_e32 v1, v1
	v_readfirstlane_b32 s16, v2
	v_readfirstlane_b32 s17, v1
	s_mul_i32 s18, s10, s16
	s_mul_hi_u32 s20, s10, s17
	s_mul_i32 s19, s11, s17
	s_add_i32 s18, s20, s18
	s_add_i32 s18, s18, s19
	s_mul_i32 s21, s10, s17
	s_mul_hi_u32 s19, s17, s18
	s_mul_i32 s20, s17, s18
	s_mul_hi_u32 s17, s17, s21
	s_add_u32 s17, s17, s20
	s_addc_u32 s19, 0, s19
	s_mul_hi_u32 s22, s16, s21
	s_mul_i32 s21, s16, s21
	s_add_u32 s17, s17, s21
	s_mul_hi_u32 s20, s16, s18
	s_addc_u32 s17, s19, s22
	s_addc_u32 s19, s20, 0
	s_mul_i32 s18, s16, s18
	s_add_u32 s17, s17, s18
	s_addc_u32 s18, 0, s19
	v_add_co_u32_e32 v1, vcc, s17, v1
	s_cmp_lg_u64 vcc, 0
	s_addc_u32 s16, s16, s18
	v_readfirstlane_b32 s18, v1
	s_mul_i32 s17, s10, s16
	s_mul_hi_u32 s19, s10, s18
	s_add_i32 s17, s19, s17
	s_mul_i32 s11, s11, s18
	s_add_i32 s17, s17, s11
	s_mul_i32 s10, s10, s18
	s_mul_hi_u32 s19, s16, s10
	s_mul_i32 s20, s16, s10
	s_mul_i32 s22, s18, s17
	s_mul_hi_u32 s10, s18, s10
	s_mul_hi_u32 s21, s18, s17
	s_add_u32 s10, s10, s22
	s_addc_u32 s18, 0, s21
	s_add_u32 s10, s10, s20
	s_mul_hi_u32 s11, s16, s17
	s_addc_u32 s10, s18, s19
	s_addc_u32 s11, s11, 0
	s_mul_i32 s17, s16, s17
	s_add_u32 s10, s10, s17
	s_addc_u32 s11, 0, s11
	v_add_co_u32_e32 v1, vcc, s10, v1
	s_cmp_lg_u64 vcc, 0
	s_addc_u32 s18, s16, s11
	s_ashr_i32 s10, s3, 31
	s_add_u32 s16, s2, s10
	s_mov_b32 s11, s10
	s_addc_u32 s17, s3, s10
	s_xor_b64 s[16:17], s[16:17], s[10:11]
	v_readfirstlane_b32 s20, v1
	s_mul_i32 s19, s16, s18
	s_mul_hi_u32 s21, s16, s20
	s_mul_hi_u32 s3, s16, s18
	s_add_u32 s19, s21, s19
	s_addc_u32 s3, 0, s3
	s_mul_hi_u32 s22, s17, s20
	s_mul_i32 s20, s17, s20
	s_add_u32 s19, s19, s20
	s_mul_hi_u32 s21, s17, s18
	s_addc_u32 s3, s3, s22
	s_addc_u32 s19, s21, 0
	s_mul_i32 s18, s17, s18
	s_add_u32 s3, s3, s18
	s_addc_u32 s18, 0, s19
	s_add_u32 s19, s3, 1
	s_addc_u32 s20, s18, 0
	s_add_u32 s21, s3, 2
	s_mul_i32 s23, s9, s18
	s_mul_hi_u32 s24, s9, s3
	s_addc_u32 s22, s18, 0
	s_add_i32 s24, s24, s23
	s_mul_i32 s23, s9, s3
	v_mov_b32_e32 v1, s23
	v_sub_co_u32_e32 v1, vcc, s16, v1
	s_cmp_lg_u64 vcc, 0
	s_subb_u32 s16, s17, s24
	v_subrev_co_u32_e32 v2, vcc, s9, v1
	s_cmp_lg_u64 vcc, 0
	s_subb_u32 s17, s16, 0
	v_readfirstlane_b32 s23, v2
	s_cmp_ge_u32 s23, s9
	s_cselect_b32 s23, -1, 0
	s_cmp_eq_u32 s17, 0
	s_cselect_b32 s17, s23, -1
	s_cmp_lg_u32 s17, 0
	s_cselect_b32 s17, s22, s20
	v_readfirstlane_b32 s20, v1
	s_cselect_b32 s19, s21, s19
	s_cmp_ge_u32 s20, s9
	s_cselect_b32 s20, -1, 0
	s_cmp_eq_u32 s16, 0
	s_cselect_b32 s16, s20, -1
	s_cmp_lg_u32 s16, 0
	s_cselect_b32 s17, s17, s18
	s_cselect_b32 s16, s19, s3
	s_xor_b64 s[16:17], s[16:17], s[10:11]
	s_sub_u32 s20, s16, s10
	s_load_dwordx4 s[16:19], s[4:5], 0x44
	s_cbranch_execnz .LBB22_3
.LBB22_2:
	v_cvt_f32_u32_e32 v1, s9
	s_sub_i32 s0, 0, s9
	v_rcp_iflag_f32_e32 v1, v1
	v_mul_f32_e32 v1, 0x4f7ffffe, v1
	v_cvt_u32_f32_e32 v1, v1
	v_readfirstlane_b32 s1, v1
	s_mul_i32 s0, s0, s1
	s_mul_hi_u32 s0, s1, s0
	s_add_i32 s1, s1, s0
	s_mul_hi_u32 s0, s2, s1
	s_mul_i32 s3, s0, s9
	s_sub_i32 s2, s2, s3
	s_add_i32 s1, s0, 1
	s_sub_i32 s3, s2, s9
	s_cmp_ge_u32 s2, s9
	s_cselect_b32 s0, s1, s0
	s_cselect_b32 s2, s3, s2
	s_add_i32 s1, s0, 1
	s_cmp_ge_u32 s2, s9
	s_cselect_b32 s20, s1, s0
.LBB22_3:
	s_add_i32 s0, s6, 1
	s_mul_hi_i32 s3, s15, s0
	s_mov_b32 s2, 0
	s_cmp_lg_u64 s[2:3], 0
	s_mul_i32 s2, s15, s0
	s_cbranch_scc0 .LBB22_22
; %bb.4:
	v_cvt_f32_u32_e32 v1, s9
	v_cvt_f32_ubyte0_e32 v2, 0
	s_sub_u32 s10, 0, s9
	s_subb_u32 s11, 0, 0
	v_madmk_f32 v1, v2, 0x4f800000, v1
	v_rcp_f32_e32 v1, v1
	v_mul_f32_e32 v1, 0x5f7ffffc, v1
	v_mul_f32_e32 v2, 0x2f800000, v1
	v_trunc_f32_e32 v2, v2
	v_madmk_f32 v1, v2, 0xcf800000, v1
	v_cvt_u32_f32_e32 v2, v2
	v_cvt_u32_f32_e32 v1, v1
	s_waitcnt lgkmcnt(0)
	v_readfirstlane_b32 s19, v2
	v_readfirstlane_b32 s21, v1
	s_mul_i32 s22, s10, s19
	s_mul_hi_u32 s24, s10, s21
	s_mul_i32 s23, s11, s21
	s_add_i32 s22, s24, s22
	s_add_i32 s22, s22, s23
	s_mul_i32 s25, s10, s21
	s_mul_hi_u32 s23, s21, s22
	s_mul_i32 s24, s21, s22
	s_mul_hi_u32 s21, s21, s25
	s_add_u32 s21, s21, s24
	s_addc_u32 s23, 0, s23
	s_mul_hi_u32 s26, s19, s25
	s_mul_i32 s25, s19, s25
	s_add_u32 s21, s21, s25
	s_mul_hi_u32 s24, s19, s22
	s_addc_u32 s21, s23, s26
	s_addc_u32 s23, s24, 0
	s_mul_i32 s22, s19, s22
	s_add_u32 s21, s21, s22
	s_addc_u32 s22, 0, s23
	v_add_co_u32_e32 v1, vcc, s21, v1
	s_cmp_lg_u64 vcc, 0
	s_addc_u32 s19, s19, s22
	v_readfirstlane_b32 s22, v1
	s_mul_i32 s21, s10, s19
	s_mul_hi_u32 s23, s10, s22
	s_add_i32 s21, s23, s21
	s_mul_i32 s11, s11, s22
	s_add_i32 s21, s21, s11
	s_mul_i32 s10, s10, s22
	s_mul_hi_u32 s23, s19, s10
	s_mul_i32 s24, s19, s10
	s_mul_i32 s26, s22, s21
	s_mul_hi_u32 s10, s22, s10
	s_mul_hi_u32 s25, s22, s21
	s_add_u32 s10, s10, s26
	s_addc_u32 s22, 0, s25
	s_add_u32 s10, s10, s24
	s_mul_hi_u32 s11, s19, s21
	s_addc_u32 s10, s22, s23
	s_addc_u32 s11, s11, 0
	s_mul_i32 s21, s19, s21
	s_add_u32 s10, s10, s21
	s_addc_u32 s11, 0, s11
	v_add_co_u32_e32 v1, vcc, s10, v1
	s_cmp_lg_u64 vcc, 0
	s_addc_u32 s19, s19, s11
	s_ashr_i32 s10, s3, 31
	s_add_u32 s22, s2, s10
	s_mov_b32 s11, s10
	s_addc_u32 s23, s3, s10
	s_xor_b64 s[22:23], s[22:23], s[10:11]
	v_readfirstlane_b32 s21, v1
	s_mul_i32 s11, s22, s19
	s_mul_hi_u32 s24, s22, s21
	s_mul_hi_u32 s3, s22, s19
	s_add_u32 s11, s24, s11
	s_addc_u32 s3, 0, s3
	s_mul_hi_u32 s25, s23, s21
	s_mul_i32 s21, s23, s21
	s_add_u32 s11, s11, s21
	s_mul_hi_u32 s24, s23, s19
	s_addc_u32 s3, s3, s25
	s_addc_u32 s11, s24, 0
	s_mul_i32 s19, s23, s19
	s_add_u32 s3, s3, s19
	s_addc_u32 s11, 0, s11
	s_mul_i32 s11, s9, s11
	s_mul_hi_u32 s24, s9, s3
	s_add_i32 s24, s24, s11
	s_mul_i32 s11, s9, s3
	v_mov_b32_e32 v1, s11
	s_add_u32 s19, s3, 1
	s_add_u32 s21, s3, 2
	v_sub_co_u32_e32 v1, vcc, s22, v1
	s_cmp_lg_u64 vcc, 0
	s_subb_u32 s11, s23, s24
	v_subrev_co_u32_e32 v2, vcc, s9, v1
	s_cmp_lg_u64 vcc, 0
	s_subb_u32 s22, s11, 0
	v_cmp_le_u32_e32 vcc, s9, v2
	s_cmp_eq_u32 s22, 0
	v_cndmask_b32_e64 v2, 0, -1, vcc
	s_cselect_b64 vcc, -1, 0
	v_cndmask_b32_e32 v2, -1, v2, vcc
	v_mov_b32_e32 v3, s19
	v_mov_b32_e32 v4, s21
	v_cmp_ne_u32_e32 vcc, 0, v2
	v_cndmask_b32_e32 v2, v3, v4, vcc
	v_cmp_le_u32_e32 vcc, s9, v1
	s_cmp_eq_u32 s11, 0
	v_cndmask_b32_e64 v1, 0, -1, vcc
	s_cselect_b64 vcc, -1, 0
	v_cndmask_b32_e32 v1, -1, v1, vcc
	v_mov_b32_e32 v3, s3
	v_cmp_ne_u32_e32 vcc, 0, v1
	v_cndmask_b32_e32 v1, v3, v2, vcc
	v_xor_b32_e32 v1, s10, v1
	v_subrev_co_u32_e32 v2, vcc, s10, v1
	s_cbranch_execnz .LBB22_6
.LBB22_5:
	v_cvt_f32_u32_e32 v1, s9
	s_sub_i32 s0, 0, s9
	s_mov_b32 s1, 0
	v_rcp_iflag_f32_e32 v1, v1
	v_mul_f32_e32 v1, 0x4f7ffffe, v1
	v_cvt_u32_f32_e32 v1, v1
	v_readfirstlane_b32 s3, v1
	s_mul_i32 s0, s0, s3
	s_mul_hi_u32 s0, s3, s0
	s_add_i32 s3, s3, s0
	s_mul_hi_u32 s0, s2, s3
	s_mul_i32 s10, s0, s9
	s_sub_i32 s2, s2, s10
	s_add_i32 s3, s0, 1
	s_sub_i32 s10, s2, s9
	s_cmp_ge_u32 s2, s9
	s_cselect_b32 s0, s3, s0
	s_cselect_b32 s2, s10, s2
	s_add_i32 s3, s0, 1
	s_cmp_ge_u32 s2, s9
	s_cselect_b32 s0, s3, s0
	v_pk_mov_b32 v[2:3], s[0:1], s[0:1] op_sel:[0,1]
.LBB22_6:
	s_waitcnt lgkmcnt(0)
	s_mul_hi_u32 s0, s20, s16
	s_add_i32 s0, s0, s20
	v_mul_hi_u32 v1, v2, s16
	s_lshr_b32 s19, s0, s17
	v_add_u32_e32 v1, v1, v2
	s_mul_i32 s0, s19, s18
	v_lshrrev_b32_e32 v1, s17, v1
	s_cmp_eq_u32 s0, s20
	v_cmp_eq_u32_e64 s[0:1], s19, v1
	v_mul_lo_u32 v1, v1, s18
	v_cmp_eq_u32_e32 vcc, s20, v2
	s_cselect_b64 s[10:11], -1, 0
	v_cmp_ne_u32_e64 s[2:3], v1, v2
	s_and_b64 s[0:1], s[0:1], s[2:3]
	s_or_b64 s[2:3], vcc, s[10:11]
	s_or_b64 s[0:1], s[2:3], s[0:1]
	s_and_b64 vcc, exec, s[0:1]
	s_cbranch_vccnz .LBB22_24
; %bb.7:
	s_load_dwordx8 s[24:31], s[4:5], 0x20
	s_load_dword s0, s[4:5], 0x40
	s_mov_b32 s10, 0
	s_waitcnt lgkmcnt(0)
	s_mul_hi_u32 s1, s20, s24
	s_add_i32 s1, s1, s20
	s_lshr_b32 s11, s1, s25
	s_mul_i32 s1, s11, s26
	s_sub_i32 s1, s20, s1
	s_mul_hi_u32 s2, s1, s27
	s_add_i32 s2, s1, s2
	s_lshr_b32 s23, s2, s28
	s_mul_i32 s2, s23, s29
	s_sub_i32 s1, s1, s2
	;; [unrolled: 5-line block ×3, first 2 shown]
	s_mul_hi_u32 s1, s0, s16
	s_add_i32 s0, s0, s1
	s_lshr_b32 s24, s0, s17
	s_lshl_b32 s0, s24, 5
	s_add_i32 s0, s0, s7
	s_cmp_lt_i32 s0, s12
	s_cselect_b64 s[0:1], -1, 0
	s_add_i32 s25, s25, s8
	s_cmp_lt_i32 s25, s14
	s_cselect_b64 s[2:3], -1, 0
	s_and_b64 s[0:1], s[0:1], s[2:3]
	s_andn2_b64 vcc, exec, s[0:1]
	s_cbranch_vccnz .LBB22_24
; %bb.8:
	s_load_dwordx4 s[0:3], s[4:5], 0x0
	s_lshl_b32 s4, s9, 7
	s_mov_b32 s5, s10
	s_add_i32 s8, s7, s8
	s_lshl_b64 s[4:5], s[4:5], 2
	s_waitcnt lgkmcnt(0)
	s_add_u32 s21, s2, s4
	s_mul_i32 s4, s11, s12
	s_addc_u32 s22, s3, s5
	s_mul_i32 s23, s23, s14
	s_add_i32 s4, s4, s7
	s_mul_i32 s4, s4, s13
	s_add_i32 s7, s25, s23
	;; [unrolled: 2-line block ×3, first 2 shown]
	s_mulk_i32 s5, 0xe00
	s_mulk_i32 s4, 0x70
	s_add_i32 s5, s5, s4
	v_add_u32_e32 v2, s5, v0
	v_ashrrev_i32_e32 v3, 31, v2
	v_lshlrev_b64 v[2:3], 2, v[2:3]
	v_mov_b32_e32 v1, s1
	v_add_co_u32_e32 v2, vcc, s0, v2
	v_addc_co_u32_e32 v3, vcc, v1, v3, vcc
	global_load_dword v5, v[2:3], off
	s_mul_i32 s4, s8, 0x70
	v_add_u32_e32 v4, s4, v0
	v_cvt_f32_u32_e32 v0, s9
	v_cvt_f32_ubyte0_e32 v1, 0
	s_lshl_b32 s0, s6, 5
	s_add_i32 s0, s0, s8
	v_mac_f32_e32 v0, 0x4f800000, v1
	v_rcp_f32_e32 v0, v0
	v_cvt_f32_u32_e32 v1, s9
	s_ashr_i32 s1, s0, 31
	s_lshl_b64 s[0:1], s[0:1], 3
	v_mul_f32_e32 v0, 0x5f7ffffc, v0
	v_rcp_iflag_f32_e32 v1, v1
	s_add_u32 s0, s2, s0
	v_mul_f32_e32 v9, 0x2f800000, v0
	s_addc_u32 s1, s3, s1
	v_trunc_f32_e32 v10, v9
	s_load_dwordx2 s[0:1], s[0:1], 0x0
	v_mac_f32_e32 v0, 0xcf800000, v10
	v_cvt_u32_f32_e32 v9, v0
	v_mul_f32_e32 v0, 0x4f7ffffe, v1
	v_cvt_u32_f32_e32 v10, v10
	v_cvt_u32_f32_e32 v11, v0
	s_add_i32 s12, s6, -1
	s_waitcnt lgkmcnt(0)
	v_mov_b32_e32 v6, s1
	v_mov_b32_e32 v7, s0
	;; [unrolled: 1-line block ×3, first 2 shown]
	s_mov_b32 s6, 0x3fb8aa3b
	s_mov_b32 s7, 0xc2ce8ed0
	;; [unrolled: 1-line block ×4, first 2 shown]
	v_mov_b32_e32 v12, 0x7f800000
	s_mul_hi_i32 s11, s12, s15
	s_cmp_lg_u64 s[10:11], 0
	s_mul_i32 s4, s12, s15
	s_cbranch_scc0 .LBB22_15
.LBB22_9:
	s_sub_u32 s0, 0, s9
	v_readfirstlane_b32 s5, v9
	v_readfirstlane_b32 s24, v10
	s_subb_u32 s1, 0, 0
	s_mul_hi_u32 s23, s0, s5
	s_mul_i32 s25, s0, s24
	s_mul_i32 s20, s1, s5
	s_add_i32 s23, s23, s25
	s_add_i32 s23, s23, s20
	s_mul_i32 s26, s0, s5
	s_mul_hi_u32 s20, s5, s23
	s_mul_i32 s25, s5, s23
	s_mul_hi_u32 s5, s5, s26
	s_add_u32 s5, s5, s25
	s_addc_u32 s20, 0, s20
	s_mul_hi_u32 s27, s24, s26
	s_mul_i32 s26, s24, s26
	s_add_u32 s5, s5, s26
	s_mul_hi_u32 s25, s24, s23
	s_addc_u32 s5, s20, s27
	s_addc_u32 s20, s25, 0
	s_mul_i32 s23, s24, s23
	s_add_u32 s5, s5, s23
	s_addc_u32 s20, 0, s20
	v_add_co_u32_e32 v0, vcc, s5, v9
	s_cmp_lg_u64 vcc, 0
	s_addc_u32 s5, s24, s20
	v_readfirstlane_b32 s23, v0
	s_mul_i32 s20, s0, s5
	s_mul_hi_u32 s24, s0, s23
	s_add_i32 s20, s24, s20
	s_mul_i32 s1, s1, s23
	s_add_i32 s20, s20, s1
	s_mul_i32 s0, s0, s23
	s_mul_hi_u32 s24, s5, s0
	s_mul_i32 s25, s5, s0
	s_mul_i32 s27, s23, s20
	s_mul_hi_u32 s0, s23, s0
	s_mul_hi_u32 s26, s23, s20
	s_add_u32 s0, s0, s27
	s_addc_u32 s23, 0, s26
	s_add_u32 s0, s0, s25
	s_mul_hi_u32 s1, s5, s20
	s_addc_u32 s0, s23, s24
	s_addc_u32 s1, s1, 0
	s_mul_i32 s20, s5, s20
	s_add_u32 s0, s0, s20
	s_addc_u32 s1, 0, s1
	v_add_co_u32_e32 v0, vcc, s0, v0
	s_cmp_lg_u64 vcc, 0
	s_addc_u32 s5, s5, s1
	s_ashr_i32 s0, s11, 31
	s_add_u32 s24, s4, s0
	s_mov_b32 s1, s0
	s_addc_u32 s25, s11, s0
	s_xor_b64 s[24:25], s[24:25], s[0:1]
	v_readfirstlane_b32 s20, v0
	s_mul_i32 s11, s24, s5
	s_mul_hi_u32 s23, s24, s20
	s_mul_hi_u32 s1, s24, s5
	s_add_u32 s11, s23, s11
	s_addc_u32 s1, 0, s1
	s_mul_hi_u32 s26, s25, s20
	s_mul_i32 s20, s25, s20
	s_add_u32 s11, s11, s20
	s_mul_hi_u32 s23, s25, s5
	s_addc_u32 s1, s1, s26
	s_addc_u32 s11, s23, 0
	s_mul_i32 s5, s25, s5
	s_add_u32 s1, s1, s5
	s_addc_u32 s5, 0, s11
	s_mul_i32 s5, s9, s5
	s_mul_hi_u32 s23, s9, s1
	s_add_i32 s23, s23, s5
	s_mul_i32 s5, s9, s1
	v_mov_b32_e32 v0, s5
	s_add_u32 s11, s1, 1
	s_add_u32 s20, s1, 2
	v_sub_co_u32_e32 v0, vcc, s24, v0
	s_cmp_lg_u64 vcc, 0
	s_subb_u32 s5, s25, s23
	v_subrev_co_u32_e32 v1, vcc, s9, v0
	s_cmp_lg_u64 vcc, 0
	s_subb_u32 s23, s5, 0
	v_cmp_le_u32_e32 vcc, s9, v1
	s_cmp_eq_u32 s23, 0
	v_cndmask_b32_e64 v1, 0, -1, vcc
	s_cselect_b64 vcc, -1, 0
	v_cndmask_b32_e32 v1, -1, v1, vcc
	v_mov_b32_e32 v13, s11
	v_mov_b32_e32 v14, s20
	v_cmp_ne_u32_e32 vcc, 0, v1
	v_cndmask_b32_e32 v1, v13, v14, vcc
	v_cmp_le_u32_e32 vcc, s9, v0
	s_cmp_eq_u32 s5, 0
	v_cndmask_b32_e64 v0, 0, -1, vcc
	s_cselect_b64 vcc, -1, 0
	v_cndmask_b32_e32 v0, -1, v0, vcc
	v_mov_b32_e32 v13, s1
	v_cmp_ne_u32_e32 vcc, 0, v0
	v_cndmask_b32_e32 v0, v13, v1, vcc
	v_xor_b32_e32 v0, s0, v0
	v_subrev_co_u32_e32 v0, vcc, s0, v0
	s_cbranch_execnz .LBB22_11
.LBB22_10:
	s_sub_i32 s0, 0, s9
	v_mul_lo_u32 v0, s0, v11
	v_mul_hi_u32 v0, v11, v0
	v_add_u32_e32 v0, v11, v0
	v_mul_hi_u32 v0, s4, v0
	v_mul_lo_u32 v13, v0, s9
	v_sub_u32_e32 v13, s4, v13
	v_add_u32_e32 v1, 1, v0
	v_subrev_u32_e32 v14, s9, v13
	v_cmp_le_u32_e32 vcc, s9, v13
	v_cndmask_b32_e32 v13, v13, v14, vcc
	v_cndmask_b32_e32 v0, v0, v1, vcc
	v_add_u32_e32 v1, 1, v0
	v_cmp_le_u32_e32 vcc, s9, v13
	v_cndmask_b32_e32 v0, v0, v1, vcc
.LBB22_11:
	v_cmp_ne_u32_e32 vcc, v8, v0
	s_cbranch_vccz .LBB22_14
; %bb.12:
	s_add_i32 s0, s12, s9
	s_lshl_b32 s0, s0, 5
	v_mul_hi_u32 v1, v0, s16
	s_add_i32 s0, s0, s8
	s_mov_b32 s1, s10
	v_add_u32_e32 v1, v1, v0
	s_lshl_b64 s[0:1], s[0:1], 3
	v_lshrrev_b32_e32 v1, s17, v1
	s_add_u32 s4, s2, s0
	v_mul_lo_u32 v13, v1, s18
	s_addc_u32 s5, s3, s1
	v_cmp_eq_u32_e32 vcc, v13, v0
	v_cmp_gt_u32_e64 s[0:1], s19, v1
	s_or_b64 s[0:1], s[0:1], vcc
	s_and_b64 vcc, exec, s[0:1]
	s_cbranch_vccnz .LBB22_16
; %bb.13:
	s_add_i32 s11, s12, -1
	s_mov_b64 s[0:1], 0
	s_branch .LBB22_17
.LBB22_14:
                                        ; implicit-def: $sgpr0_sgpr1
                                        ; implicit-def: $vgpr14
                                        ; implicit-def: $vgpr1
                                        ; implicit-def: $vgpr13
                                        ; implicit-def: $sgpr11
                                        ; implicit-def: $vgpr0
	s_branch .LBB22_18
.LBB22_15:
                                        ; implicit-def: $vgpr0_vgpr1
	s_branch .LBB22_10
.LBB22_16:
	s_mov_b64 s[0:1], -1
	s_mov_b32 s11, s12
	v_mov_b32_e32 v0, v8
.LBB22_17:
	s_mul_i32 s20, s12, 0xe00
	v_add_u32_e32 v14, s20, v4
	v_ashrrev_i32_e32 v15, 31, v14
	v_lshlrev_b64 v[14:15], 2, v[14:15]
	v_mov_b32_e32 v1, s22
	v_add_co_u32_e32 v14, vcc, s21, v14
	v_addc_co_u32_e32 v15, vcc, v1, v15, vcc
	global_load_dword v14, v[14:15], off
	s_load_dwordx2 s[4:5], s[4:5], 0x0
	v_max_f32_e32 v1, v7, v7
	s_waitcnt lgkmcnt(0)
	v_max_f32_e64 v13, s4, s4
	v_max_f32_e32 v1, v1, v13
	v_sub_f32_e32 v13, v7, v1
	v_sub_f32_e32 v15, s4, v1
	v_mul_f32_e32 v16, 0x3fb8aa3b, v13
	v_mul_f32_e32 v17, 0x3fb8aa3b, v15
	v_fma_f32 v18, v13, s6, -v16
	v_rndne_f32_e32 v19, v16
	v_fma_f32 v20, v15, s6, -v17
	v_rndne_f32_e32 v21, v17
	v_fmac_f32_e32 v18, 0x32a5705f, v13
	v_sub_f32_e32 v16, v16, v19
	v_fmac_f32_e32 v20, 0x32a5705f, v15
	v_sub_f32_e32 v17, v17, v21
	v_add_f32_e32 v16, v16, v18
	v_cvt_i32_f32_e32 v19, v19
	v_add_f32_e32 v17, v17, v20
	v_exp_f32_e32 v16, v16
	v_cvt_i32_f32_e32 v21, v21
	v_exp_f32_e32 v17, v17
	v_cmp_ngt_f32_e32 vcc, s7, v13
	v_ldexp_f32 v16, v16, v19
	v_cndmask_b32_e32 v16, 0, v16, vcc
	v_ldexp_f32 v17, v17, v21
	v_cmp_ngt_f32_e32 vcc, s7, v15
	v_cndmask_b32_e32 v17, 0, v17, vcc
	v_cmp_nlt_f32_e32 vcc, s13, v13
	v_cndmask_b32_e32 v16, v12, v16, vcc
	v_cmp_nlt_f32_e32 vcc, s13, v15
	v_cndmask_b32_e32 v17, v12, v17, vcc
	v_cmp_le_f32_e32 vcc, s14, v13
	v_cndmask_b32_e32 v16, 0, v16, vcc
	v_cmp_le_f32_e32 vcc, s14, v15
	v_cndmask_b32_e32 v15, 0, v17, vcc
	v_mul_f32_e32 v13, s5, v15
	v_fmac_f32_e32 v13, v6, v16
	s_waitcnt vmcnt(0)
	v_mul_f32_e32 v14, v14, v15
	v_fmac_f32_e32 v14, v5, v16
	s_cbranch_execnz .LBB22_19
.LBB22_18:
	s_add_i32 s11, s12, -1
	s_mov_b64 s[0:1], 0
	v_mov_b32_e32 v0, v8
	v_mov_b32_e32 v13, v6
	;; [unrolled: 1-line block ×3, first 2 shown]
	s_waitcnt vmcnt(0)
	v_mov_b32_e32 v14, v5
.LBB22_19:
	s_andn2_b64 vcc, exec, s[0:1]
	s_cbranch_vccz .LBB22_23
; %bb.20:
	v_mov_b32_e32 v8, v0
	s_mov_b32 s12, s11
	v_mov_b32_e32 v6, v13
	v_mov_b32_e32 v7, v1
	s_waitcnt vmcnt(0)
	v_mov_b32_e32 v5, v14
	s_mul_hi_i32 s11, s12, s15
	s_cmp_lg_u64 s[10:11], 0
	s_mul_i32 s4, s12, s15
	s_cbranch_scc1 .LBB22_9
	s_branch .LBB22_15
.LBB22_21:
                                        ; implicit-def: $sgpr20_sgpr21
	s_load_dwordx4 s[16:19], s[4:5], 0x44
	s_branch .LBB22_2
.LBB22_22:
                                        ; implicit-def: $vgpr2_vgpr3
	s_branch .LBB22_5
.LBB22_23:
	v_div_scale_f32 v0, s[0:1], v13, v13, v14
	v_rcp_f32_e32 v1, v0
	v_div_scale_f32 v4, vcc, v14, v13, v14
	s_waitcnt vmcnt(0)
	v_fma_f32 v5, -v0, v1, 1.0
	v_fmac_f32_e32 v1, v5, v1
	v_mul_f32_e32 v5, v4, v1
	v_fma_f32 v6, -v0, v5, v4
	v_fmac_f32_e32 v5, v6, v1
	v_fma_f32 v0, -v0, v5, v4
	v_div_fmas_f32 v0, v0, v1, v5
	v_div_fixup_f32 v0, v0, v13, v14
	global_store_dword v[2:3], v0, off
.LBB22_24:
	s_endpgm
	.section	.rodata,"a",@progbits
	.p2align	6, 0x0
	.amdhsa_kernel _ZL33flash_attn_stream_k_fixup_generalILi112ELi32ELi1EEvPfPK15HIP_vector_typeIfLj2EEiiiiS1_IjLj3EES5_S5_S5_
		.amdhsa_group_segment_fixed_size 0
		.amdhsa_private_segment_fixed_size 0
		.amdhsa_kernarg_size 336
		.amdhsa_user_sgpr_count 6
		.amdhsa_user_sgpr_private_segment_buffer 1
		.amdhsa_user_sgpr_dispatch_ptr 0
		.amdhsa_user_sgpr_queue_ptr 0
		.amdhsa_user_sgpr_kernarg_segment_ptr 1
		.amdhsa_user_sgpr_dispatch_id 0
		.amdhsa_user_sgpr_flat_scratch_init 0
		.amdhsa_user_sgpr_kernarg_preload_length 0
		.amdhsa_user_sgpr_kernarg_preload_offset 0
		.amdhsa_user_sgpr_private_segment_size 0
		.amdhsa_uses_dynamic_stack 0
		.amdhsa_system_sgpr_private_segment_wavefront_offset 0
		.amdhsa_system_sgpr_workgroup_id_x 1
		.amdhsa_system_sgpr_workgroup_id_y 1
		.amdhsa_system_sgpr_workgroup_id_z 1
		.amdhsa_system_sgpr_workgroup_info 0
		.amdhsa_system_vgpr_workitem_id 0
		.amdhsa_next_free_vgpr 22
		.amdhsa_next_free_sgpr 32
		.amdhsa_accum_offset 24
		.amdhsa_reserve_vcc 1
		.amdhsa_reserve_flat_scratch 0
		.amdhsa_float_round_mode_32 0
		.amdhsa_float_round_mode_16_64 0
		.amdhsa_float_denorm_mode_32 3
		.amdhsa_float_denorm_mode_16_64 3
		.amdhsa_dx10_clamp 1
		.amdhsa_ieee_mode 1
		.amdhsa_fp16_overflow 0
		.amdhsa_tg_split 0
		.amdhsa_exception_fp_ieee_invalid_op 0
		.amdhsa_exception_fp_denorm_src 0
		.amdhsa_exception_fp_ieee_div_zero 0
		.amdhsa_exception_fp_ieee_overflow 0
		.amdhsa_exception_fp_ieee_underflow 0
		.amdhsa_exception_fp_ieee_inexact 0
		.amdhsa_exception_int_div_zero 0
	.end_amdhsa_kernel
	.section	.text._ZL33flash_attn_stream_k_fixup_generalILi112ELi32ELi1EEvPfPK15HIP_vector_typeIfLj2EEiiiiS1_IjLj3EES5_S5_S5_,"axG",@progbits,_ZL33flash_attn_stream_k_fixup_generalILi112ELi32ELi1EEvPfPK15HIP_vector_typeIfLj2EEiiiiS1_IjLj3EES5_S5_S5_,comdat
.Lfunc_end22:
	.size	_ZL33flash_attn_stream_k_fixup_generalILi112ELi32ELi1EEvPfPK15HIP_vector_typeIfLj2EEiiiiS1_IjLj3EES5_S5_S5_, .Lfunc_end22-_ZL33flash_attn_stream_k_fixup_generalILi112ELi32ELi1EEvPfPK15HIP_vector_typeIfLj2EEiiiiS1_IjLj3EES5_S5_S5_
                                        ; -- End function
	.section	.AMDGPU.csdata,"",@progbits
; Kernel info:
; codeLenInByte = 2820
; NumSgprs: 36
; NumVgprs: 22
; NumAgprs: 0
; TotalNumVgprs: 22
; ScratchSize: 0
; MemoryBound: 0
; FloatMode: 240
; IeeeMode: 1
; LDSByteSize: 0 bytes/workgroup (compile time only)
; SGPRBlocks: 4
; VGPRBlocks: 2
; NumSGPRsForWavesPerEU: 36
; NumVGPRsForWavesPerEU: 22
; AccumOffset: 24
; Occupancy: 8
; WaveLimiterHint : 0
; COMPUTE_PGM_RSRC2:SCRATCH_EN: 0
; COMPUTE_PGM_RSRC2:USER_SGPR: 6
; COMPUTE_PGM_RSRC2:TRAP_HANDLER: 0
; COMPUTE_PGM_RSRC2:TGID_X_EN: 1
; COMPUTE_PGM_RSRC2:TGID_Y_EN: 1
; COMPUTE_PGM_RSRC2:TGID_Z_EN: 1
; COMPUTE_PGM_RSRC2:TIDIG_COMP_CNT: 0
; COMPUTE_PGM_RSRC3_GFX90A:ACCUM_OFFSET: 5
; COMPUTE_PGM_RSRC3_GFX90A:TG_SPLIT: 0
	.section	.text._ZL26flash_attn_combine_resultsILi112EEvPKfPK15HIP_vector_typeIfLj2EEPfi,"axG",@progbits,_ZL26flash_attn_combine_resultsILi112EEvPKfPK15HIP_vector_typeIfLj2EEPfi,comdat
	.globl	_ZL26flash_attn_combine_resultsILi112EEvPKfPK15HIP_vector_typeIfLj2EEPfi ; -- Begin function _ZL26flash_attn_combine_resultsILi112EEvPKfPK15HIP_vector_typeIfLj2EEPfi
	.p2align	8
	.type	_ZL26flash_attn_combine_resultsILi112EEvPKfPK15HIP_vector_typeIfLj2EEPfi,@function
_ZL26flash_attn_combine_resultsILi112EEvPKfPK15HIP_vector_typeIfLj2EEPfi: ; @_ZL26flash_attn_combine_resultsILi112EEvPKfPK15HIP_vector_typeIfLj2EEPfi
; %bb.0:
	s_load_dwordx2 s[0:1], s[4:5], 0x20
	s_load_dword s21, s[4:5], 0x18
	s_load_dwordx4 s[16:19], s[4:5], 0x0
	s_load_dwordx2 s[14:15], s[4:5], 0x10
	s_waitcnt lgkmcnt(0)
	s_mul_i32 s0, s0, s8
	s_add_i32 s0, s0, s6
	s_mul_i32 s20, s0, s1
	s_add_i32 s20, s20, s7
	s_lshl_b32 s10, s21, 1
	s_mul_i32 s0, s20, s21
	v_cmp_gt_i32_e32 vcc, s10, v0
	s_and_saveexec_b64 s[2:3], vcc
	s_cbranch_execz .LBB23_13
; %bb.1:
	v_xad_u32 v1, v0, -1, s10
	s_movk_i32 s4, 0x6f
	s_ashr_i32 s1, s0, 31
	v_cmp_lt_u32_e32 vcc, s4, v1
	s_mov_b64 s[6:7], -1
	v_mov_b32_e32 v2, v0
	s_and_saveexec_b64 s[4:5], vcc
	s_cbranch_execz .LBB23_10
; %bb.2:
	v_lshrrev_b32_e32 v1, 4, v1
	s_mov_b32 s6, 0x24924925
	v_mul_hi_u32 v6, v1, s6
	s_lshl_b64 s[6:7], s[0:1], 3
	v_add_u32_e32 v2, -1, v6
	s_add_u32 s11, s18, s6
	v_add_u32_e32 v1, 0x70, v0
	v_lshrrev_b32_e32 v3, 1, v2
	s_addc_u32 s12, s19, s7
	v_add_u32_e32 v7, 1, v3
	v_cmp_lt_u32_e32 vcc, 13, v2
	v_mov_b32_e32 v4, 0
	v_pk_mov_b32 v[2:3], v[0:1], v[0:1] op_sel:[0,1]
	s_and_saveexec_b64 s[6:7], vcc
	s_cbranch_execz .LBB23_6
; %bb.3:
	v_and_b32_e32 v8, -8, v7
	s_mov_b32 s13, 0
	v_lshl_add_u32 v9, v0, 2, 0
	s_mov_b64 s[8:9], 0
	v_mov_b32_e32 v10, s12
	v_mov_b32_e32 v5, 0
	v_pk_mov_b32 v[2:3], v[0:1], v[0:1] op_sel:[0,1]
.LBB23_4:                               ; =>This Inner Loop Header: Depth=1
	v_mov_b32_e32 v4, v2
	v_lshlrev_b64 v[26:27], 2, v[4:5]
	v_add_u32_e32 v12, 0xe0, v3
	v_mov_b32_e32 v13, v5
	v_add_co_u32_e32 v26, vcc, s11, v26
	v_lshlrev_b64 v[12:13], 2, v[12:13]
	v_addc_co_u32_e32 v27, vcc, v10, v27, vcc
	v_add_u32_e32 v14, 0x1c0, v3
	v_mov_b32_e32 v15, v5
	v_add_co_u32_e32 v12, vcc, s11, v12
	v_lshlrev_b64 v[14:15], 2, v[14:15]
	v_addc_co_u32_e32 v13, vcc, v10, v13, vcc
	;; [unrolled: 5-line block ×7, first 2 shown]
	v_mov_b32_e32 v4, v3
	v_add_co_u32_e32 v24, vcc, s11, v24
	v_lshlrev_b64 v[28:29], 2, v[4:5]
	v_addc_co_u32_e32 v25, vcc, v10, v25, vcc
	v_add_u32_e32 v4, 0xe0, v2
	v_add_co_u32_e32 v28, vcc, s11, v28
	v_addc_co_u32_e32 v29, vcc, v10, v29, vcc
	global_load_dword v1, v[26:27], off
	v_lshlrev_b64 v[26:27], 2, v[4:5]
	v_add_u32_e32 v4, 0x1c0, v2
	v_add_co_u32_e32 v26, vcc, s11, v26
	v_addc_co_u32_e32 v27, vcc, v10, v27, vcc
	v_lshlrev_b64 v[30:31], 2, v[4:5]
	v_add_u32_e32 v4, 0x2a0, v2
	global_load_dword v11, v[28:29], off
	global_load_dword v32, v[26:27], off
	global_load_dword v33, v[12:13], off
	v_add_co_u32_e32 v12, vcc, s11, v30
	v_addc_co_u32_e32 v13, vcc, v10, v31, vcc
	v_lshlrev_b64 v[26:27], 2, v[4:5]
	v_add_u32_e32 v4, 0x380, v2
	v_add_co_u32_e32 v26, vcc, s11, v26
	v_addc_co_u32_e32 v27, vcc, v10, v27, vcc
	v_lshlrev_b64 v[28:29], 2, v[4:5]
	v_add_u32_e32 v4, 0x460, v2
	global_load_dword v30, v[12:13], off
	global_load_dword v31, v[14:15], off
	;; [unrolled: 1-line block ×4, first 2 shown]
	v_add_co_u32_e32 v12, vcc, s11, v28
	v_addc_co_u32_e32 v13, vcc, v10, v29, vcc
	v_lshlrev_b64 v[14:15], 2, v[4:5]
	v_add_u32_e32 v4, 0x540, v2
	v_add_co_u32_e32 v14, vcc, s11, v14
	v_addc_co_u32_e32 v15, vcc, v10, v15, vcc
	v_lshlrev_b64 v[16:17], 2, v[4:5]
	v_add_u32_e32 v4, 0x620, v2
	global_load_dword v26, v[12:13], off
	global_load_dword v27, v[18:19], off
	;; [unrolled: 1-line block ×4, first 2 shown]
	v_add_co_u32_e32 v12, vcc, s11, v16
	v_addc_co_u32_e32 v13, vcc, v10, v17, vcc
	v_lshlrev_b64 v[14:15], 2, v[4:5]
	v_add_co_u32_e32 v14, vcc, s11, v14
	v_addc_co_u32_e32 v15, vcc, v10, v15, vcc
	global_load_dword v16, v[12:13], off
	global_load_dword v17, v[22:23], off
	;; [unrolled: 1-line block ×4, first 2 shown]
	v_add_u32_e32 v8, -8, v8
	s_add_i32 s13, s13, 16
	v_cmp_eq_u32_e32 vcc, 0, v8
	v_add_u32_e32 v12, 0x200, v9
	v_add_u32_e32 v13, 0x600, v9
	;; [unrolled: 1-line block ×8, first 2 shown]
	v_mov_b32_e32 v4, s13
	s_or_b64 s[8:9], vcc, s[8:9]
	v_add_u32_e32 v2, 0x700, v2
	s_waitcnt vmcnt(14)
	ds_write2_b32 v9, v1, v11 offset1:112
	v_add_u32_e32 v9, 0x1c00, v9
	s_waitcnt vmcnt(12)
	ds_write2_b32 v12, v32, v33 offset0:96 offset1:208
	s_waitcnt vmcnt(10)
	ds_write2_b32 v13, v30, v31 offset0:64 offset1:176
	s_waitcnt vmcnt(8)
	ds_write2_b32 v14, v34, v35 offset0:32 offset1:144
	s_waitcnt vmcnt(6)
	ds_write2_b32 v15, v26, v27 offset0:128 offset1:240
	s_waitcnt vmcnt(4)
	ds_write2_b32 v20, v28, v29 offset0:96 offset1:208
	s_waitcnt vmcnt(2)
	ds_write2_b32 v21, v16, v17 offset0:64 offset1:176
	s_waitcnt vmcnt(0)
	ds_write2_b32 v22, v18, v19 offset0:32 offset1:144
	s_andn2_b64 exec, exec, s[8:9]
	s_cbranch_execnz .LBB23_4
; %bb.5:
	s_or_b64 exec, exec, s[8:9]
.LBB23_6:
	s_or_b64 exec, exec, s[6:7]
	v_and_b32_e32 v1, 7, v7
	v_cmp_ne_u32_e32 vcc, 0, v1
	s_and_saveexec_b64 s[6:7], vcc
	s_cbranch_execz .LBB23_9
; %bb.7:
	s_movk_i32 s8, 0x1c0
	v_mul_lo_u32 v4, v4, s8
	v_lshlrev_b32_e32 v5, 2, v0
	v_add3_u32 v7, v4, v5, 0
	s_mov_b64 s[8:9], 0
	v_mov_b32_e32 v8, s12
	v_mov_b32_e32 v5, 0
.LBB23_8:                               ; =>This Inner Loop Header: Depth=1
	v_mov_b32_e32 v4, v2
	v_lshlrev_b64 v[10:11], 2, v[4:5]
	v_mov_b32_e32 v4, v3
	v_add_co_u32_e32 v10, vcc, s11, v10
	v_addc_co_u32_e32 v11, vcc, v8, v11, vcc
	v_lshlrev_b64 v[12:13], 2, v[4:5]
	v_add_co_u32_e32 v12, vcc, s11, v12
	v_addc_co_u32_e32 v13, vcc, v8, v13, vcc
	global_load_dword v4, v[10:11], off
	global_load_dword v9, v[12:13], off
	v_add_u32_e32 v1, -1, v1
	v_cmp_eq_u32_e32 vcc, 0, v1
	v_add_u32_e32 v2, 0xe0, v2
	v_add_u32_e32 v3, 0xe0, v3
	s_or_b64 s[8:9], vcc, s[8:9]
	s_waitcnt vmcnt(0)
	ds_write2_b32 v7, v4, v9 offset1:112
	v_add_u32_e32 v7, 0x380, v7
	s_andn2_b64 exec, exec, s[8:9]
	s_cbranch_execnz .LBB23_8
.LBB23_9:
	s_or_b64 exec, exec, s[6:7]
	v_add_u32_e32 v1, 1, v6
	v_and_b32_e32 v4, 0x7fffffe, v1
	s_movk_i32 s6, 0x70
	v_mad_u64_u32 v[2:3], s[6:7], v4, s6, v[0:1]
	v_cmp_ne_u32_e32 vcc, v1, v4
	s_orn2_b64 s[6:7], vcc, exec
.LBB23_10:
	s_or_b64 exec, exec, s[4:5]
	s_and_b64 exec, exec, s[6:7]
	s_cbranch_execz .LBB23_13
; %bb.11:
	s_lshl_b64 s[4:5], s[0:1], 3
	v_mov_b32_e32 v3, 0
	s_add_u32 s1, s18, s4
	v_lshlrev_b64 v[4:5], 2, v[2:3]
	s_addc_u32 s4, s19, s5
	v_mov_b32_e32 v1, s4
	v_add_co_u32_e32 v4, vcc, s1, v4
	v_addc_co_u32_e32 v5, vcc, v1, v5, vcc
	v_lshl_add_u32 v1, v2, 2, 0
	s_mov_b64 s[4:5], 0
.LBB23_12:                              ; =>This Inner Loop Header: Depth=1
	global_load_dword v3, v[4:5], off
	v_add_co_u32_e32 v4, vcc, 0x1c0, v4
	v_add_u32_e32 v2, 0x70, v2
	v_addc_co_u32_e32 v5, vcc, 0, v5, vcc
	v_cmp_le_i32_e32 vcc, s10, v2
	s_or_b64 s[4:5], vcc, s[4:5]
	s_waitcnt vmcnt(0)
	ds_write_b32 v1, v3
	v_add_u32_e32 v1, 0x1c0, v1
	s_andn2_b64 exec, exec, s[4:5]
	s_cbranch_execnz .LBB23_12
.LBB23_13:
	s_or_b64 exec, exec, s[2:3]
	v_mov_b32_e32 v1, 0
	s_waitcnt lgkmcnt(0)
	s_barrier
	ds_read_b32 v1, v1
	s_cmp_lt_i32 s21, 2
	s_cbranch_scc1 .LBB23_21
; %bb.14:
	s_add_i32 s1, s21, -1
	s_add_i32 s2, s21, -2
	s_cmp_lt_u32 s2, 7
	s_cbranch_scc1 .LBB23_18
; %bb.15:
	s_mov_b32 s4, 0
	s_add_i32 s2, 0, 8
	s_and_b32 s3, s1, -8
.LBB23_16:                              ; =>This Inner Loop Header: Depth=1
	v_mov_b32_e32 v8, s2
	ds_read2_b32 v[2:3], v8 offset1:2
	ds_read2_b32 v[4:5], v8 offset0:4 offset1:6
	ds_read2_b32 v[6:7], v8 offset0:8 offset1:10
	;; [unrolled: 1-line block ×3, first 2 shown]
	s_mov_b32 s5, s4
	s_waitcnt lgkmcnt(3)
	v_max3_f32 v1, v1, v2, v3
	s_waitcnt lgkmcnt(2)
	v_max3_f32 v1, v1, v4, v5
	s_add_i32 s2, s2, 64
	s_add_i32 s4, s4, 8
	s_waitcnt lgkmcnt(1)
	v_max3_f32 v1, v1, v6, v7
	s_cmp_eq_u32 s3, s4
	s_waitcnt lgkmcnt(0)
	v_max3_f32 v1, v1, v8, v9
	s_cbranch_scc0 .LBB23_16
; %bb.17:
	s_add_i32 s2, s5, 9
	s_and_b32 s1, s1, 7
	s_cmp_eq_u32 s1, 0
	s_cbranch_scc0 .LBB23_19
	s_branch .LBB23_21
.LBB23_18:
	s_mov_b32 s2, 1
	s_and_b32 s1, s1, 7
	s_cmp_eq_u32 s1, 0
	s_cbranch_scc1 .LBB23_21
.LBB23_19:
	s_lshl_b32 s2, s2, 3
	s_add_i32 s2, s2, 0
.LBB23_20:                              ; =>This Inner Loop Header: Depth=1
	v_mov_b32_e32 v2, s2
	ds_read_b32 v2, v2
	s_waitcnt lgkmcnt(1)
	v_max_f32_e32 v1, v1, v1
	s_add_i32 s2, s2, 8
	s_add_i32 s1, s1, -1
	s_cmp_lg_u32 s1, 0
	s_waitcnt lgkmcnt(0)
	v_max_f32_e32 v2, v2, v2
	v_max_f32_e32 v1, v1, v2
	s_cbranch_scc1 .LBB23_20
.LBB23_21:
	s_cmp_lt_i32 s21, 1
	s_cbranch_scc1 .LBB23_26
; %bb.22:
	s_mul_i32 s18, s0, 0x70
	s_ashr_i32 s19, s18, 31
	s_cmp_lt_u32 s21, 8
	v_mov_b32_e32 v8, 0
	s_cbranch_scc1 .LBB23_27
; %bb.23:
	s_lshl_b64 s[0:1], s[18:19], 2
	s_add_u32 s23, s16, s0
	s_addc_u32 s0, s17, s1
	v_lshlrev_b32_e32 v2, 2, v0
	v_mov_b32_e32 v10, s0
	v_add_co_u32_e32 v2, vcc, s23, v2
	v_addc_co_u32_e32 v3, vcc, 0, v10, vcc
	v_add_co_u32_e32 v2, vcc, 0x1c0, v2
	s_and_b32 s22, s21, 0x7ffffff8
	v_addc_co_u32_e32 v3, vcc, 0, v3, vcc
	v_add_u32_e32 v4, 0x1c0, v0
	s_mov_b32 s24, 0
	v_mov_b32_e32 v7, 0
	s_mov_b32 s25, 0x3fb8aa3b
	s_mov_b32 s26, 0xc2ce8ed0
	;; [unrolled: 1-line block ×3, first 2 shown]
	v_mov_b32_e32 v11, 0x7f800000
	s_mov_b32 s28, 0
	v_mov_b32_e32 v9, 0
	v_mov_b32_e32 v8, 0
.LBB23_24:                              ; =>This Inner Loop Header: Depth=1
	v_add_u32_e32 v6, 0xfffffe40, v4
	global_load_dword v36, v[2:3], off
	global_load_dword v37, v[2:3], off offset:448
	v_add_co_u32_e32 v2, vcc, 0xe00, v2
	v_lshlrev_b64 v[28:29], 2, v[6:7]
	v_addc_co_u32_e32 v3, vcc, 0, v3, vcc
	v_mov_b32_e32 v5, v7
	v_add_co_u32_e32 v28, vcc, s23, v28
	v_lshlrev_b64 v[30:31], 2, v[4:5]
	v_addc_co_u32_e32 v29, vcc, v10, v29, vcc
	v_add_u32_e32 v6, 0xffffff90, v4
	v_add_co_u32_e32 v30, vcc, s23, v30
	v_mov_b32_e32 v24, s24
	v_lshlrev_b64 v[32:33], 2, v[6:7]
	v_addc_co_u32_e32 v31, vcc, v10, v31, vcc
	ds_read2_b64 v[12:15], v24 offset1:1
	ds_read2_b64 v[16:19], v24 offset0:2 offset1:3
	ds_read2_b64 v[20:23], v24 offset0:4 offset1:5
	;; [unrolled: 1-line block ×3, first 2 shown]
	v_add_u32_e32 v6, 0x70, v4
	global_load_dword v5, v[28:29], off
	v_add_co_u32_e32 v28, vcc, s23, v32
	v_addc_co_u32_e32 v29, vcc, v10, v33, vcc
	v_lshlrev_b64 v[32:33], 2, v[6:7]
	v_add_u32_e32 v6, 0xe0, v4
	v_add_co_u32_e32 v32, vcc, s23, v32
	v_addc_co_u32_e32 v33, vcc, v10, v33, vcc
	v_lshlrev_b64 v[34:35], 2, v[6:7]
	v_add_u32_e32 v6, 0x150, v4
	global_load_dword v38, v[28:29], off
	global_load_dword v39, v[30:31], off
	;; [unrolled: 1-line block ×3, first 2 shown]
	v_add_co_u32_e32 v28, vcc, s23, v34
	v_addc_co_u32_e32 v29, vcc, v10, v35, vcc
	v_lshlrev_b64 v[30:31], 2, v[6:7]
	v_add_co_u32_e32 v30, vcc, s23, v30
	s_waitcnt lgkmcnt(3)
	v_sub_f32_e32 v6, v12, v1
	v_sub_f32_e32 v12, v14, v1
	s_waitcnt lgkmcnt(2)
	v_sub_f32_e32 v14, v16, v1
	v_sub_f32_e32 v16, v18, v1
	;; [unrolled: 3-line block ×4, first 2 shown]
	v_addc_co_u32_e32 v31, vcc, v10, v31, vcc
	global_load_dword v26, v[28:29], off
	v_mul_f32_e32 v32, 0x3fb8aa3b, v14
	global_load_dword v30, v[30:31], off
	v_mul_f32_e32 v28, 0x3fb8aa3b, v6
	v_fma_f32 v31, v6, s25, -v28
	v_rndne_f32_e32 v43, v28
	v_mul_f32_e32 v29, 0x3fb8aa3b, v12
	v_mul_f32_e32 v33, 0x3fb8aa3b, v16
	;; [unrolled: 1-line block ×3, first 2 shown]
	v_fmac_f32_e32 v31, 0x32a5705f, v6
	v_sub_f32_e32 v28, v28, v43
	v_fma_f32 v44, v12, s25, -v29
	v_rndne_f32_e32 v45, v29
	v_fma_f32 v46, v14, s25, -v32
	v_rndne_f32_e32 v47, v32
	v_fma_f32 v48, v16, s25, -v33
	v_rndne_f32_e32 v49, v33
	v_fma_f32 v50, v18, s25, -v34
	v_add_f32_e32 v28, v28, v31
	v_rndne_f32_e32 v31, v34
	v_mul_f32_e32 v35, 0x3fb8aa3b, v20
	v_mul_f32_e32 v41, 0x3fb8aa3b, v22
	v_fmac_f32_e32 v44, 0x32a5705f, v12
	v_sub_f32_e32 v29, v29, v45
	v_fmac_f32_e32 v46, 0x32a5705f, v14
	v_sub_f32_e32 v32, v32, v47
	v_fmac_f32_e32 v48, 0x32a5705f, v16
	v_sub_f32_e32 v33, v33, v49
	v_fmac_f32_e32 v50, 0x32a5705f, v18
	v_sub_f32_e32 v34, v34, v31
	v_add_f32_e32 v29, v29, v44
	v_fma_f32 v44, v20, s25, -v35
	v_add_f32_e32 v32, v32, v46
	v_rndne_f32_e32 v46, v35
	v_add_f32_e32 v33, v33, v48
	v_fma_f32 v48, v22, s25, -v41
	v_add_f32_e32 v34, v34, v50
	v_rndne_f32_e32 v50, v41
	v_mul_f32_e32 v42, 0x3fb8aa3b, v24
	v_fmac_f32_e32 v44, 0x32a5705f, v20
	v_sub_f32_e32 v35, v35, v46
	v_fmac_f32_e32 v48, 0x32a5705f, v22
	v_sub_f32_e32 v41, v41, v50
	v_add_f32_e32 v35, v35, v44
	v_fma_f32 v44, v24, s25, -v42
	v_add_f32_e32 v41, v41, v48
	v_rndne_f32_e32 v48, v42
	v_cvt_i32_f32_e32 v43, v43
	v_fmac_f32_e32 v44, 0x32a5705f, v24
	v_sub_f32_e32 v42, v42, v48
	v_exp_f32_e32 v28, v28
	v_cvt_i32_f32_e32 v45, v45
	v_add_f32_e32 v42, v42, v44
	v_exp_f32_e32 v29, v29
	v_cvt_i32_f32_e32 v47, v47
	v_cvt_i32_f32_e32 v49, v49
	;; [unrolled: 1-line block ×6, first 2 shown]
	v_exp_f32_e32 v32, v32
	v_exp_f32_e32 v33, v33
	;; [unrolled: 1-line block ×6, first 2 shown]
	v_ldexp_f32 v28, v28, v43
	v_cmp_ngt_f32_e64 s[12:13], s26, v6
	v_ldexp_f32 v29, v29, v45
	v_cmp_ngt_f32_e32 vcc, s26, v12
	v_cndmask_b32_e64 v28, 0, v28, s[12:13]
	v_cmp_nlt_f32_e64 s[12:13], s27, v6
	v_ldexp_f32 v32, v32, v47
	v_cmp_ngt_f32_e64 s[0:1], s26, v14
	v_ldexp_f32 v33, v33, v49
	v_cmp_ngt_f32_e64 s[2:3], s26, v16
	;; [unrolled: 2-line block ×6, first 2 shown]
	v_cndmask_b32_e32 v29, 0, v29, vcc
	v_cmp_nlt_f32_e32 vcc, s27, v12
	v_cndmask_b32_e64 v6, v11, v28, s[12:13]
	v_cndmask_b32_e64 v12, 0, v32, s[0:1]
	v_cmp_nlt_f32_e64 s[0:1], s27, v14
	v_cndmask_b32_e64 v14, 0, v33, s[2:3]
	v_cmp_nlt_f32_e64 s[2:3], s27, v16
	v_cndmask_b32_e64 v16, 0, v31, s[4:5]
	v_cmp_nlt_f32_e64 s[4:5], s27, v18
	v_cndmask_b32_e64 v18, 0, v34, s[6:7]
	v_cmp_nlt_f32_e64 s[6:7], s27, v20
	v_cndmask_b32_e64 v20, 0, v35, s[8:9]
	v_cmp_nlt_f32_e64 s[8:9], s27, v22
	v_cndmask_b32_e64 v22, 0, v41, s[10:11]
	v_cmp_nlt_f32_e64 s[10:11], s27, v24
	v_cndmask_b32_e32 v24, v11, v29, vcc
	v_fmac_f32_e32 v9, v6, v13
	s_waitcnt vmcnt(5)
	v_fmac_f32_e32 v8, v5, v6
	v_cndmask_b32_e64 v12, v11, v12, s[0:1]
	v_fmac_f32_e32 v9, v24, v15
	v_fmac_f32_e32 v8, v36, v24
	v_cndmask_b32_e64 v14, v11, v14, s[2:3]
	v_fmac_f32_e32 v9, v12, v17
	;; [unrolled: 3-line block ×3, first 2 shown]
	s_waitcnt vmcnt(4)
	v_fmac_f32_e32 v8, v38, v14
	v_cndmask_b32_e64 v18, v11, v18, s[6:7]
	v_fmac_f32_e32 v9, v16, v21
	s_waitcnt vmcnt(3)
	v_fmac_f32_e32 v8, v39, v16
	v_cndmask_b32_e64 v20, v11, v20, s[8:9]
	v_fmac_f32_e32 v9, v18, v23
	s_waitcnt vmcnt(2)
	v_fmac_f32_e32 v8, v40, v18
	s_add_i32 s28, s28, 8
	s_add_i32 s24, s24, 64
	v_cndmask_b32_e64 v22, v11, v22, s[10:11]
	v_fmac_f32_e32 v9, v20, v25
	s_waitcnt vmcnt(1)
	v_fmac_f32_e32 v8, v26, v20
	s_cmp_eq_u32 s22, s28
	v_add_u32_e32 v4, 0x380, v4
	v_fmac_f32_e32 v9, v22, v27
	s_waitcnt vmcnt(0)
	v_fmac_f32_e32 v8, v30, v22
	s_cbranch_scc0 .LBB23_24
; %bb.25:
	s_and_b32 s0, s21, 7
	s_cmp_eq_u32 s0, 0
	s_cbranch_scc0 .LBB23_28
	s_branch .LBB23_30
.LBB23_26:
	s_waitcnt lgkmcnt(0)
	v_mov_b32_e32 v1, 0x7fc00000
	s_branch .LBB23_31
.LBB23_27:
	s_mov_b32 s22, 0
	v_mov_b32_e32 v9, 0
	s_and_b32 s0, s21, 7
	s_cmp_eq_u32 s0, 0
	s_cbranch_scc1 .LBB23_30
.LBB23_28:
	s_lshl_b64 s[2:3], s[18:19], 2
	s_mul_i32 s1, s22, 0x70
	v_add_u32_e32 v2, s1, v0
	v_mov_b32_e32 v3, 0
	s_add_u32 s1, s16, s2
	v_lshlrev_b64 v[2:3], 2, v[2:3]
	s_addc_u32 s2, s17, s3
	v_mov_b32_e32 v4, s2
	v_add_co_u32_e32 v2, vcc, s1, v2
	s_lshl_b32 s1, s22, 3
	v_addc_co_u32_e32 v3, vcc, v4, v3, vcc
	s_add_i32 s1, s1, 0
	s_mov_b32 s2, 0x3fb8aa3b
	s_mov_b32 s3, 0xc2ce8ed0
	;; [unrolled: 1-line block ×3, first 2 shown]
	v_mov_b32_e32 v4, 0x7f800000
.LBB23_29:                              ; =>This Inner Loop Header: Depth=1
	global_load_dword v5, v[2:3], off
	v_mov_b32_e32 v6, s1
	ds_read_b64 v[6:7], v6
	v_add_co_u32_e32 v2, vcc, 0x1c0, v2
	v_addc_co_u32_e32 v3, vcc, 0, v3, vcc
	s_waitcnt lgkmcnt(0)
	v_sub_f32_e32 v6, v6, v1
	v_mul_f32_e32 v10, 0x3fb8aa3b, v6
	v_fma_f32 v11, v6, s2, -v10
	v_rndne_f32_e32 v12, v10
	v_fmac_f32_e32 v11, 0x32a5705f, v6
	v_sub_f32_e32 v10, v10, v12
	v_add_f32_e32 v10, v10, v11
	v_cvt_i32_f32_e32 v12, v12
	v_exp_f32_e32 v10, v10
	v_cmp_ngt_f32_e32 vcc, s3, v6
	s_add_i32 s1, s1, 8
	s_add_i32 s0, s0, -1
	v_ldexp_f32 v10, v10, v12
	v_cndmask_b32_e32 v10, 0, v10, vcc
	v_cmp_nlt_f32_e32 vcc, s4, v6
	v_cndmask_b32_e32 v6, v4, v10, vcc
	s_cmp_lg_u32 s0, 0
	v_fmac_f32_e32 v9, v6, v7
	s_waitcnt vmcnt(0)
	v_fmac_f32_e32 v8, v5, v6
	s_cbranch_scc1 .LBB23_29
.LBB23_30:
	s_waitcnt lgkmcnt(0)
	v_div_scale_f32 v1, s[0:1], v9, v9, v8
	v_rcp_f32_e32 v2, v1
	v_div_scale_f32 v3, vcc, v8, v9, v8
	v_fma_f32 v4, -v1, v2, 1.0
	v_fmac_f32_e32 v2, v4, v2
	v_mul_f32_e32 v4, v3, v2
	v_fma_f32 v5, -v1, v4, v3
	v_fmac_f32_e32 v4, v5, v2
	v_fma_f32 v1, -v1, v4, v3
	v_div_fmas_f32 v1, v1, v2, v4
	v_div_fixup_f32 v1, v1, v9, v8
.LBB23_31:
	s_mul_i32 s0, s20, 0x70
	s_ashr_i32 s1, s0, 31
	s_lshl_b64 s[0:1], s[0:1], 2
	s_add_u32 s0, s14, s0
	s_addc_u32 s1, s15, s1
	v_lshlrev_b32_e32 v0, 2, v0
	global_store_dword v0, v1, s[0:1]
	s_endpgm
	.section	.rodata,"a",@progbits
	.p2align	6, 0x0
	.amdhsa_kernel _ZL26flash_attn_combine_resultsILi112EEvPKfPK15HIP_vector_typeIfLj2EEPfi
		.amdhsa_group_segment_fixed_size 0
		.amdhsa_private_segment_fixed_size 0
		.amdhsa_kernarg_size 288
		.amdhsa_user_sgpr_count 6
		.amdhsa_user_sgpr_private_segment_buffer 1
		.amdhsa_user_sgpr_dispatch_ptr 0
		.amdhsa_user_sgpr_queue_ptr 0
		.amdhsa_user_sgpr_kernarg_segment_ptr 1
		.amdhsa_user_sgpr_dispatch_id 0
		.amdhsa_user_sgpr_flat_scratch_init 0
		.amdhsa_user_sgpr_kernarg_preload_length 0
		.amdhsa_user_sgpr_kernarg_preload_offset 0
		.amdhsa_user_sgpr_private_segment_size 0
		.amdhsa_uses_dynamic_stack 0
		.amdhsa_system_sgpr_private_segment_wavefront_offset 0
		.amdhsa_system_sgpr_workgroup_id_x 1
		.amdhsa_system_sgpr_workgroup_id_y 1
		.amdhsa_system_sgpr_workgroup_id_z 1
		.amdhsa_system_sgpr_workgroup_info 0
		.amdhsa_system_vgpr_workitem_id 0
		.amdhsa_next_free_vgpr 51
		.amdhsa_next_free_sgpr 29
		.amdhsa_accum_offset 52
		.amdhsa_reserve_vcc 1
		.amdhsa_reserve_flat_scratch 0
		.amdhsa_float_round_mode_32 0
		.amdhsa_float_round_mode_16_64 0
		.amdhsa_float_denorm_mode_32 3
		.amdhsa_float_denorm_mode_16_64 3
		.amdhsa_dx10_clamp 1
		.amdhsa_ieee_mode 1
		.amdhsa_fp16_overflow 0
		.amdhsa_tg_split 0
		.amdhsa_exception_fp_ieee_invalid_op 0
		.amdhsa_exception_fp_denorm_src 0
		.amdhsa_exception_fp_ieee_div_zero 0
		.amdhsa_exception_fp_ieee_overflow 0
		.amdhsa_exception_fp_ieee_underflow 0
		.amdhsa_exception_fp_ieee_inexact 0
		.amdhsa_exception_int_div_zero 0
	.end_amdhsa_kernel
	.section	.text._ZL26flash_attn_combine_resultsILi112EEvPKfPK15HIP_vector_typeIfLj2EEPfi,"axG",@progbits,_ZL26flash_attn_combine_resultsILi112EEvPKfPK15HIP_vector_typeIfLj2EEPfi,comdat
.Lfunc_end23:
	.size	_ZL26flash_attn_combine_resultsILi112EEvPKfPK15HIP_vector_typeIfLj2EEPfi, .Lfunc_end23-_ZL26flash_attn_combine_resultsILi112EEvPKfPK15HIP_vector_typeIfLj2EEPfi
                                        ; -- End function
	.section	.AMDGPU.csdata,"",@progbits
; Kernel info:
; codeLenInByte = 3144
; NumSgprs: 33
; NumVgprs: 51
; NumAgprs: 0
; TotalNumVgprs: 51
; ScratchSize: 0
; MemoryBound: 0
; FloatMode: 240
; IeeeMode: 1
; LDSByteSize: 0 bytes/workgroup (compile time only)
; SGPRBlocks: 4
; VGPRBlocks: 6
; NumSGPRsForWavesPerEU: 33
; NumVGPRsForWavesPerEU: 51
; AccumOffset: 52
; Occupancy: 8
; WaveLimiterHint : 1
; COMPUTE_PGM_RSRC2:SCRATCH_EN: 0
; COMPUTE_PGM_RSRC2:USER_SGPR: 6
; COMPUTE_PGM_RSRC2:TRAP_HANDLER: 0
; COMPUTE_PGM_RSRC2:TGID_X_EN: 1
; COMPUTE_PGM_RSRC2:TGID_Y_EN: 1
; COMPUTE_PGM_RSRC2:TGID_Z_EN: 1
; COMPUTE_PGM_RSRC2:TIDIG_COMP_CNT: 0
; COMPUTE_PGM_RSRC3_GFX90A:ACCUM_OFFSET: 12
; COMPUTE_PGM_RSRC3_GFX90A:TG_SPLIT: 0
	.section	.text._ZL18flash_attn_ext_f16ILi128ELi128ELi32ELi1ELb0ELb0EEvPKcS1_S1_S1_S1_PKiPfP15HIP_vector_typeIfLj2EEffffjfiS5_IjLj3EEiiiiiiiiiiiliiliiiiil,"axG",@progbits,_ZL18flash_attn_ext_f16ILi128ELi128ELi32ELi1ELb0ELb0EEvPKcS1_S1_S1_S1_PKiPfP15HIP_vector_typeIfLj2EEffffjfiS5_IjLj3EEiiiiiiiiiiiliiliiiiil,comdat
	.globl	_ZL18flash_attn_ext_f16ILi128ELi128ELi32ELi1ELb0ELb0EEvPKcS1_S1_S1_S1_PKiPfP15HIP_vector_typeIfLj2EEffffjfiS5_IjLj3EEiiiiiiiiiiiliiliiiiil ; -- Begin function _ZL18flash_attn_ext_f16ILi128ELi128ELi32ELi1ELb0ELb0EEvPKcS1_S1_S1_S1_PKiPfP15HIP_vector_typeIfLj2EEffffjfiS5_IjLj3EEiiiiiiiiiiiliiliiiiil
	.p2align	8
	.type	_ZL18flash_attn_ext_f16ILi128ELi128ELi32ELi1ELb0ELb0EEvPKcS1_S1_S1_S1_PKiPfP15HIP_vector_typeIfLj2EEffffjfiS5_IjLj3EEiiiiiiiiiiiliiliiiiil,@function
_ZL18flash_attn_ext_f16ILi128ELi128ELi32ELi1ELb0ELb0EEvPKcS1_S1_S1_S1_PKiPfP15HIP_vector_typeIfLj2EEffffjfiS5_IjLj3EEiiiiiiiiiiiliiliiiiil: ; @_ZL18flash_attn_ext_f16ILi128ELi128ELi32ELi1ELb0ELb0EEvPKcS1_S1_S1_S1_PKiPfP15HIP_vector_typeIfLj2EEffffjfiS5_IjLj3EEiiiiiiiiiiiliiliiiiil
; %bb.0:
	s_load_dwordx2 s[14:15], s[4:5], 0x80
	s_load_dwordx4 s[80:83], s[4:5], 0x64
	s_add_u32 flat_scratch_lo, s6, s9
	s_addc_u32 flat_scratch_hi, s7, 0
	s_add_u32 s0, s0, s9
	s_addc_u32 s1, s1, 0
	s_waitcnt lgkmcnt(0)
	s_abs_i32 s6, s15
	v_cvt_f32_u32_e32 v1, s6
	s_sub_i32 s10, 0, s6
	s_abs_i32 s9, s81
	s_xor_b32 s7, s81, s15
	v_rcp_iflag_f32_e32 v1, v1
	s_ashr_i32 s7, s7, 31
                                        ; implicit-def: $vgpr254 : SGPR spill to VGPR lane
	s_load_dword s58, s[4:5], 0xd0
	s_mov_b32 s60, s8
	v_mul_f32_e32 v1, 0x4f7ffffe, v1
	v_cvt_u32_f32_e32 v1, v1
	s_mov_b32 s8, 0
	s_waitcnt lgkmcnt(0)
	v_cvt_f32_u32_e32 v2, s58
	v_cvt_f32_ubyte0_e32 v3, 0
	v_readfirstlane_b32 s11, v1
	s_mul_i32 s10, s10, s11
	s_mul_hi_u32 s10, s11, s10
	s_add_i32 s11, s11, s10
	s_mul_hi_u32 s10, s9, s11
	s_mul_i32 s11, s10, s6
	s_sub_i32 s9, s9, s11
	s_add_i32 s12, s10, 1
	s_sub_i32 s11, s9, s6
	s_cmp_ge_u32 s9, s6
	s_cselect_b32 s10, s12, s10
	s_cselect_b32 s9, s11, s9
	s_add_i32 s11, s10, 1
	s_cmp_ge_u32 s9, s6
	s_cselect_b32 s6, s11, s10
	s_add_i32 s9, s14, 63
	s_xor_b32 s6, s6, s7
	s_ashr_i32 s10, s9, 31
	s_sub_i32 s7, s6, s7
	s_lshr_b32 s6, s10, 26
	s_add_i32 s9, s9, s6
	s_add_i32 s6, s80, 31
	s_lshr_b32 s6, s6, 5
	s_ashr_i32 s9, s9, 6
	v_writelane_b32 v254, s6, 0
	v_writelane_b32 v254, s9, 1
	s_mul_i32 s6, s6, s9
	v_writelane_b32 v254, s7, 2
	v_writelane_b32 v254, s6, 3
	s_mul_i32 s7, s6, s7
	s_mov_b32 s6, s14
	v_writelane_b32 v254, s6, 4
	v_writelane_b32 v254, s7, 5
	s_mul_i32 s6, s7, s15
	s_mul_i32 s10, s6, s82
	v_writelane_b32 v254, s7, 6
	s_ashr_i32 s11, s10, 31
	v_writelane_b32 v254, s6, 7
	s_mul_i32 s6, s11, s60
	s_mul_hi_u32 s7, s10, s60
	s_add_i32 s9, s7, s6
	s_mul_i32 s12, s10, s60
	s_cmp_lg_u64 s[8:9], 0
	s_cbranch_scc0 .LBB24_2
; %bb.1:
	v_madmk_f32 v1, v3, 0x4f800000, v2
	v_rcp_f32_e32 v1, v1
	s_sub_u32 s8, 0, s58
	s_subb_u32 s13, 0, 0
	s_mov_b64 s[6:7], 0
	v_mul_f32_e32 v1, 0x5f7ffffc, v1
	v_mul_f32_e32 v4, 0x2f800000, v1
	v_trunc_f32_e32 v4, v4
	v_madmk_f32 v1, v4, 0xcf800000, v1
	v_cvt_u32_f32_e32 v4, v4
	v_cvt_u32_f32_e32 v1, v1
	v_readfirstlane_b32 s14, v4
	v_readfirstlane_b32 s15, v1
	s_mul_hi_u32 s17, s8, s15
	s_mul_i32 s18, s8, s14
	s_mul_i32 s16, s13, s15
	s_add_i32 s17, s17, s18
	s_add_i32 s17, s17, s16
	s_mul_i32 s19, s8, s15
	s_mul_hi_u32 s16, s15, s17
	s_mul_i32 s18, s15, s17
	s_mul_hi_u32 s15, s15, s19
	s_add_u32 s15, s15, s18
	s_addc_u32 s16, 0, s16
	s_mul_hi_u32 s20, s14, s19
	s_mul_i32 s19, s14, s19
	s_add_u32 s15, s15, s19
	s_mul_hi_u32 s18, s14, s17
	s_addc_u32 s15, s16, s20
	s_addc_u32 s16, s18, 0
	s_mul_i32 s17, s14, s17
	s_add_u32 s15, s15, s17
	s_addc_u32 s16, 0, s16
	v_add_co_u32_e32 v1, vcc, s15, v1
	s_cmp_lg_u64 vcc, 0
	s_addc_u32 s14, s14, s16
	v_readfirstlane_b32 s16, v1
	s_mul_i32 s15, s8, s14
	s_mul_hi_u32 s17, s8, s16
	s_add_i32 s15, s17, s15
	s_mul_i32 s13, s13, s16
	s_add_i32 s15, s15, s13
	s_mul_i32 s8, s8, s16
	s_mul_hi_u32 s17, s14, s8
	s_mul_i32 s18, s14, s8
	s_mul_i32 s20, s16, s15
	s_mul_hi_u32 s8, s16, s8
	s_mul_hi_u32 s19, s16, s15
	s_add_u32 s8, s8, s20
	s_addc_u32 s16, 0, s19
	s_add_u32 s8, s8, s18
	s_mul_hi_u32 s13, s14, s15
	s_addc_u32 s8, s16, s17
	s_addc_u32 s13, s13, 0
	s_mul_i32 s15, s14, s15
	s_add_u32 s8, s8, s15
	s_addc_u32 s13, 0, s13
	v_add_co_u32_e32 v1, vcc, s8, v1
	s_cmp_lg_u64 vcc, 0
	s_addc_u32 s13, s14, s13
	s_ashr_i32 s14, s9, 31
	s_add_u32 s8, s12, s14
	s_mov_b32 s15, s14
	s_addc_u32 s9, s9, s14
	s_xor_b64 s[8:9], s[8:9], s[14:15]
	v_readfirstlane_b32 s18, v1
	s_mul_i32 s17, s8, s13
	s_mul_hi_u32 s19, s8, s18
	s_mul_hi_u32 s16, s8, s13
	s_add_u32 s17, s19, s17
	s_addc_u32 s16, 0, s16
	s_mul_hi_u32 s20, s9, s18
	s_mul_i32 s18, s9, s18
	s_add_u32 s17, s17, s18
	s_mul_hi_u32 s19, s9, s13
	s_addc_u32 s16, s16, s20
	s_addc_u32 s17, s19, 0
	s_mul_i32 s13, s9, s13
	s_add_u32 s13, s16, s13
	s_addc_u32 s16, 0, s17
	s_add_u32 s17, s13, 1
	s_addc_u32 s18, s16, 0
	s_add_u32 s19, s13, 2
	s_mul_i32 s21, s58, s16
	s_mul_hi_u32 s22, s58, s13
	s_addc_u32 s20, s16, 0
	s_add_i32 s22, s22, s21
	s_mul_i32 s21, s58, s13
	v_mov_b32_e32 v1, s21
	v_sub_co_u32_e32 v1, vcc, s8, v1
	s_cmp_lg_u64 vcc, 0
	s_subb_u32 s8, s9, s22
	v_subrev_co_u32_e32 v4, vcc, s58, v1
	s_cmp_lg_u64 vcc, 0
	s_subb_u32 s9, s8, 0
	v_readfirstlane_b32 s21, v4
	s_cmp_ge_u32 s21, s58
	s_cselect_b32 s21, -1, 0
	s_cmp_eq_u32 s9, 0
	s_cselect_b32 s9, s21, -1
	s_cmp_lg_u32 s9, 0
	s_cselect_b32 s9, s20, s18
	v_readfirstlane_b32 s18, v1
	s_cselect_b32 s17, s19, s17
	s_cmp_ge_u32 s18, s58
	s_cselect_b32 s18, -1, 0
	s_cmp_eq_u32 s8, 0
	s_cselect_b32 s8, s18, -1
	s_cmp_lg_u32 s8, 0
	s_cselect_b32 s9, s9, s16
	s_cselect_b32 s8, s17, s13
	s_xor_b64 s[8:9], s[8:9], s[14:15]
	s_sub_u32 s88, s8, s14
	s_branch .LBB24_3
.LBB24_2:
	s_mov_b64 s[6:7], -1
                                        ; implicit-def: $sgpr88_sgpr89
.LBB24_3:
	s_load_dwordx2 s[8:9], s[4:5], 0x74
	v_cvt_f32_u32_e32 v1, s58
	s_andn2_b64 vcc, exec, s[6:7]
	s_waitcnt lgkmcnt(0)
	v_writelane_b32 v254, s8, 8
	v_writelane_b32 v254, s9, 9
	s_cbranch_vccnz .LBB24_5
; %bb.4:
	v_rcp_iflag_f32_e32 v4, v1
	s_sub_i32 s6, 0, s58
	v_mul_f32_e32 v4, 0x4f7ffffe, v4
	v_cvt_u32_f32_e32 v4, v4
	v_readfirstlane_b32 s7, v4
	s_mul_i32 s6, s6, s7
	s_mul_hi_u32 s6, s7, s6
	s_add_i32 s7, s7, s6
	s_mul_hi_u32 s6, s12, s7
	s_mul_i32 s8, s6, s58
	s_sub_i32 s8, s12, s8
	s_add_i32 s7, s6, 1
	s_sub_i32 s9, s8, s58
	s_cmp_ge_u32 s8, s58
	s_cselect_b32 s6, s7, s6
	s_cselect_b32 s8, s9, s8
	s_add_i32 s7, s6, 1
	s_cmp_ge_u32 s8, s58
	s_cselect_b32 s88, s7, s6
.LBB24_5:
	s_add_i32 s6, s60, 1
	s_mul_i32 s7, s11, s6
	s_mul_hi_u32 s8, s10, s6
	s_add_i32 s9, s8, s7
	s_mov_b32 s8, 0
	s_cmp_lg_u64 s[8:9], 0
	s_mul_i32 s8, s10, s6
	s_cbranch_scc0 .LBB24_366
; %bb.6:
	v_madmk_f32 v2, v3, 0x4f800000, v2
	v_rcp_f32_e32 v2, v2
	s_sub_u32 s10, 0, s58
	s_subb_u32 s11, 0, 0
	v_mul_f32_e32 v2, 0x5f7ffffc, v2
	v_mul_f32_e32 v3, 0x2f800000, v2
	v_trunc_f32_e32 v3, v3
	v_madmk_f32 v2, v3, 0xcf800000, v2
	v_cvt_u32_f32_e32 v3, v3
	v_cvt_u32_f32_e32 v2, v2
	v_readfirstlane_b32 s12, v3
	v_readfirstlane_b32 s13, v2
	s_mul_hi_u32 s15, s10, s13
	s_mul_i32 s16, s10, s12
	s_mul_i32 s14, s11, s13
	s_add_i32 s15, s15, s16
	s_add_i32 s15, s15, s14
	s_mul_i32 s17, s10, s13
	s_mul_hi_u32 s14, s13, s15
	s_mul_i32 s16, s13, s15
	s_mul_hi_u32 s13, s13, s17
	s_add_u32 s13, s13, s16
	s_addc_u32 s14, 0, s14
	s_mul_hi_u32 s18, s12, s17
	s_mul_i32 s17, s12, s17
	s_add_u32 s13, s13, s17
	s_mul_hi_u32 s16, s12, s15
	s_addc_u32 s13, s14, s18
	s_addc_u32 s14, s16, 0
	s_mul_i32 s15, s12, s15
	s_add_u32 s13, s13, s15
	s_addc_u32 s14, 0, s14
	v_add_co_u32_e32 v2, vcc, s13, v2
	s_cmp_lg_u64 vcc, 0
	s_addc_u32 s12, s12, s14
	v_readfirstlane_b32 s14, v2
	s_mul_i32 s13, s10, s12
	s_mul_hi_u32 s15, s10, s14
	s_add_i32 s13, s15, s13
	s_mul_i32 s11, s11, s14
	s_add_i32 s13, s13, s11
	s_mul_i32 s10, s10, s14
	s_mul_hi_u32 s15, s12, s10
	s_mul_i32 s16, s12, s10
	s_mul_i32 s18, s14, s13
	s_mul_hi_u32 s10, s14, s10
	s_mul_hi_u32 s17, s14, s13
	s_add_u32 s10, s10, s18
	s_addc_u32 s14, 0, s17
	s_add_u32 s10, s10, s16
	s_mul_hi_u32 s11, s12, s13
	s_addc_u32 s10, s14, s15
	s_addc_u32 s11, s11, 0
	s_mul_i32 s13, s12, s13
	s_add_u32 s10, s10, s13
	s_addc_u32 s11, 0, s11
	v_add_co_u32_e32 v2, vcc, s10, v2
	s_cmp_lg_u64 vcc, 0
	s_addc_u32 s14, s12, s11
	s_ashr_i32 s10, s9, 31
	s_add_u32 s12, s8, s10
	s_mov_b32 s11, s10
	s_addc_u32 s13, s9, s10
	s_xor_b64 s[12:13], s[12:13], s[10:11]
	v_readfirstlane_b32 s16, v2
	s_mul_i32 s15, s12, s14
	s_mul_hi_u32 s17, s12, s16
	s_mul_hi_u32 s9, s12, s14
	s_add_u32 s15, s17, s15
	s_addc_u32 s9, 0, s9
	s_mul_hi_u32 s18, s13, s16
	s_mul_i32 s16, s13, s16
	s_add_u32 s15, s15, s16
	s_mul_hi_u32 s17, s13, s14
	s_addc_u32 s9, s9, s18
	s_addc_u32 s15, s17, 0
	s_mul_i32 s14, s13, s14
	s_add_u32 s9, s9, s14
	s_addc_u32 s14, 0, s15
	s_add_u32 s15, s9, 1
	s_addc_u32 s16, s14, 0
	s_add_u32 s17, s9, 2
	s_mul_i32 s19, s58, s14
	s_mul_hi_u32 s20, s58, s9
	s_addc_u32 s18, s14, 0
	s_add_i32 s20, s20, s19
	s_mul_i32 s19, s58, s9
	v_mov_b32_e32 v2, s19
	v_sub_co_u32_e32 v2, vcc, s12, v2
	s_cmp_lg_u64 vcc, 0
	s_subb_u32 s12, s13, s20
	v_subrev_co_u32_e32 v3, vcc, s58, v2
	s_cmp_lg_u64 vcc, 0
	s_subb_u32 s13, s12, 0
	v_readfirstlane_b32 s19, v3
	s_cmp_ge_u32 s19, s58
	s_cselect_b32 s19, -1, 0
	s_cmp_eq_u32 s13, 0
	s_cselect_b32 s13, s19, -1
	s_cmp_lg_u32 s13, 0
	s_cselect_b32 s13, s18, s16
	v_readfirstlane_b32 s16, v2
	s_cselect_b32 s15, s17, s15
	s_cmp_ge_u32 s16, s58
	s_cselect_b32 s16, -1, 0
	s_cmp_eq_u32 s12, 0
	s_cselect_b32 s12, s16, -1
	s_cmp_lg_u32 s12, 0
	s_cselect_b32 s13, s13, s14
	s_cselect_b32 s12, s15, s9
	s_xor_b64 s[12:13], s[12:13], s[10:11]
	s_sub_u32 s10, s12, s10
	v_writelane_b32 v254, s10, 10
	v_writelane_b32 v254, s11, 11
	s_load_dwordx2 s[94:95], s[4:5], 0x5c
	s_cbranch_execnz .LBB24_8
.LBB24_7:
	v_rcp_iflag_f32_e32 v1, v1
	s_sub_i32 s6, 0, s58
	v_mul_f32_e32 v1, 0x4f7ffffe, v1
	v_cvt_u32_f32_e32 v1, v1
	v_readfirstlane_b32 s7, v1
	s_mul_i32 s6, s6, s7
	s_mul_hi_u32 s6, s7, s6
	s_add_i32 s7, s7, s6
	s_mul_hi_u32 s6, s8, s7
	s_mul_i32 s9, s6, s58
	s_sub_i32 s8, s8, s9
	s_add_i32 s7, s6, 1
	s_sub_i32 s9, s8, s58
	s_cmp_ge_u32 s8, s58
	s_cselect_b32 s6, s7, s6
	s_cselect_b32 s8, s9, s8
	s_add_i32 s7, s6, 1
	s_cmp_ge_u32 s8, s58
	s_cselect_b32 s6, s7, s6
	v_writelane_b32 v254, s6, 10
	v_writelane_b32 v254, s7, 11
.LBB24_8:
	s_load_dwordx16 s[64:79], s[4:5], 0x0
	s_load_dwordx4 s[20:23], s[4:5], 0x40
	s_load_dword s6, s[4:5], 0x50
	s_ashr_i32 s50, s83, 3
	v_bfe_u32 v90, v0, 10, 10
	s_mov_b32 s93, 0
	v_lshlrev_b32_e32 v92, 3, v90
	s_waitcnt lgkmcnt(0)
	v_writelane_b32 v254, s6, 12
	s_load_dwordx2 s[6:7], s[4:5], 0x8c
	s_load_dwordx4 s[8:11], s[4:5], 0x98
	s_load_dwordx2 s[12:13], s[4:5], 0xa8
	s_load_dwordx2 s[38:39], s[4:5], 0xb8
	s_nop 0
	s_load_dwordx2 s[4:5], s[4:5], 0xc8
	v_add_u32_e32 v101, 4, v90
	s_waitcnt lgkmcnt(0)
	s_ashr_i32 s82, s6, 2
	s_ashr_i32 s62, s10, 2
	v_writelane_b32 v254, s12, 13
	v_writelane_b32 v254, s13, 14
	;; [unrolled: 1-line block ×4, first 2 shown]
	v_readlane_b32 s12, v254, 1
	s_abs_i32 s89, s12
	v_cvt_f32_u32_e32 v1, s89
	s_mov_b32 s5, s7
	v_writelane_b32 v254, s4, 17
	v_writelane_b32 v254, s5, 18
	v_rcp_iflag_f32_e32 v1, v1
	s_mov_b64 s[4:5], s[8:9]
	s_mov_b32 s7, s11
	v_writelane_b32 v254, s4, 19
	v_mul_f32_e32 v1, 0x4f7ffffe, v1
	v_cvt_u32_f32_e32 v1, v1
	v_writelane_b32 v254, s5, 20
	v_writelane_b32 v254, s6, 21
	;; [unrolled: 1-line block ×3, first 2 shown]
	s_sub_i32 s6, 0, s89
	v_readfirstlane_b32 s7, v1
	s_mul_i32 s6, s6, s7
	s_ashr_i32 s5, s12, 31
	s_mul_hi_u32 s6, s7, s6
	v_writelane_b32 v254, s5, 23
	s_abs_i32 s5, s88
	s_add_i32 s47, s7, s6
	s_mul_hi_u32 s6, s5, s47
	s_mul_i32 s6, s6, s89
	s_sub_i32 s5, s5, s6
	s_ashr_i32 s84, s39, 1
	s_ashr_i32 s4, s88, 31
	s_sub_i32 s6, s5, s89
	s_cmp_ge_u32 s5, s89
	s_cselect_b32 s5, s6, s5
	s_sub_i32 s6, s5, s89
	s_cmp_ge_u32 s5, s89
	s_cselect_b32 s5, s6, s5
	s_xor_b32 s5, s5, s4
	s_sub_i32 s48, s5, s4
	v_readlane_b32 s4, v254, 10
	s_mov_b32 s8, s4
	s_sub_i32 s4, s4, s88
	s_add_i32 s6, s4, s48
	s_min_i32 s86, s12, s6
	s_cmp_gt_i32 s8, s88
	v_readlane_b32 s5, v254, 11
	s_cselect_b64 s[40:41], -1, 0
	s_cmp_le_i32 s8, s88
	v_cvt_f16_f32_e32 v1, s20
	s_cselect_b64 s[4:5], -1, 0
	s_cmp_gt_i32 s12, s6
	s_cselect_b64 s[6:7], -1, 0
	s_or_b64 s[4:5], s[6:7], s[4:5]
	s_and_b64 vcc, exec, s[4:5]
	v_pack_b32_f16 v94, v1, v1
	v_add_u32_e32 v100, 8, v90
	v_add_u32_e32 v99, 12, v90
	;; [unrolled: 1-line block ×6, first 2 shown]
	v_lshlrev_b32_e32 v91, 4, v90
	v_and_b32_e32 v93, 1, v90
	s_cbranch_vccz .LBB24_11
; %bb.9:
	s_andn2_b64 vcc, exec, s[40:41]
	s_cbranch_vccz .LBB24_316
.LBB24_10:
	s_endpgm
.LBB24_11:
	s_cmp_lg_u64 s[70:71], 0
	v_writelane_b32 v254, s58, 24
	s_cselect_b64 s[4:5], -1, 0
	v_writelane_b32 v254, s4, 25
	v_writelane_b32 v254, s5, 26
	s_mul_i32 s4, s80, s81
	s_cmp_eq_u64 s[72:73], 0
	v_writelane_b32 v254, s4, 27
	s_cselect_b64 s[4:5], -1, 0
	v_writelane_b32 v254, s4, 28
	v_and_b32_e32 v26, 0x3ff, v0
	v_writelane_b32 v254, s5, 29
	s_mov_b64 s[6:7], s[22:23]
	s_mov_b32 s5, s21
	v_lshrrev_b32_e32 v3, 3, v26
	v_writelane_b32 v254, s4, 30
	v_and_b32_e32 v1, 15, v26
	v_and_b32_e32 v18, 30, v3
	v_writelane_b32 v254, s5, 31
	v_mul_u32_u24_e32 v2, 0x110, v1
	v_lshlrev_b32_e32 v3, 2, v18
	v_lshrrev_b32_e32 v19, 2, v26
	v_writelane_b32 v254, s6, 32
	v_and_b32_e32 v10, 0x7f0, v92
	s_movk_i32 s30, 0x110
	v_add3_u32 v103, 0, v2, v3
	v_mul_u32_u24_e32 v2, 0x90, v90
	v_lshlrev_b32_e32 v28, 1, v26
	v_and_b32_e32 v11, 16, v91
	v_and_b32_e32 v20, 60, v19
	v_writelane_b32 v254, s7, 33
	v_cmp_nle_f32_e64 s[4:5], s21, 0
	v_mad_u32_u24 v104, v10, s30, v103
	s_movk_i32 s14, 0x90
	v_add3_u32 v105, 0, v2, v28
	v_lshrrev_b32_e32 v2, 4, v26
	v_mul_u32_u24_e32 v121, 0x110, v11
	v_add_u32_e32 v122, v11, v20
	v_or_b32_e32 v10, v10, v1
	v_add_u16_e32 v11, v11, v20
	v_writelane_b32 v254, s4, 34
	s_cmp_lg_u64 s[74:75], 0
	v_lshl_add_u32 v113, v90, 2, v2
	v_mad_u32_u24 v10, v10, s14, 0
	v_lshrrev_b16_e32 v11, 1, v11
	v_add_u32_e32 v124, 32, v122
	v_add_u32_e32 v126, 34, v122
	v_writelane_b32 v254, s5, 35
	s_cselect_b64 s[4:5], -1, 0
	v_lshl_add_u32 v123, v11, 2, v10
	v_lshl_add_u32 v125, v124, 1, v10
	;; [unrolled: 1-line block ×3, first 2 shown]
	v_mul_lo_u32 v10, s62, v113
	s_lshl_b32 s33, s62, 4
	v_add_u32_e32 v16, s33, v10
	v_add_u32_e32 v14, s33, v16
	;; [unrolled: 1-line block ×3, first 2 shown]
	v_and_b32_e32 v21, 8, v92
	v_mul_u32_u24_e32 v22, 0x88, v20
	s_movk_i32 s33, 0x220
	v_or_b32_e32 v22, v22, v1
	v_mul_u32_u24_e32 v23, 0x110, v20
	v_or_b32_e32 v19, 3, v19
	v_mul_u32_u24_e32 v24, 0x220, v21
	v_mad_u32_u24 v25, v21, s33, 0
	v_lshlrev_b32_e32 v27, 1, v1
	v_mul_u32_u24_e32 v19, 0x110, v19
	v_lshlrev_b32_e32 v22, 1, v22
	v_add3_u32 v129, v25, v23, v27
	v_add3_u32 v23, 0, 32, v24
	v_add_u32_e32 v128, v25, v22
	v_add3_u32 v130, v25, v19, v27
	v_add_u32_e32 v133, v23, v22
	v_mad_u32_u24 v25, v20, s30, v23
	v_add3_u32 v136, v23, v19, v27
	v_add3_u32 v23, 0, 64, v24
	s_add_i32 s34, 0, 0x60
	v_add_u32_e32 v138, v23, v22
	v_mad_u32_u24 v24, v20, s30, v23
	v_add3_u32 v141, v23, v19, v27
	v_mov_b32_e32 v23, s34
	s_movk_i32 s31, 0x2200
	v_mad_u32_u24 v23, v21, s33, v23
	s_add_i32 s34, 0, 0x80
	v_add3_u32 v139, v24, v27, s31
	v_add_u32_e32 v143, v23, v22
	v_mad_u32_u24 v24, v20, s30, v23
	v_add3_u32 v146, v23, v19, v27
	v_mov_b32_e32 v23, s34
	v_mad_u32_u24 v23, v21, s33, v23
	s_add_i32 s34, 0, 0xa0
	v_add3_u32 v144, v24, v27, s31
	v_add_u32_e32 v148, v23, v22
	v_mad_u32_u24 v24, v20, s30, v23
	v_add3_u32 v151, v23, v19, v27
	v_mov_b32_e32 v23, s34
	;; [unrolled: 7-line block ×4, first 2 shown]
	v_mad_u32_u24 v21, v21, s33, v23
	v_writelane_b32 v254, s4, 36
	v_mad_u32_u24 v20, v20, s30, v21
	v_writelane_b32 v254, s5, 37
	v_add3_u32 v134, v25, v27, s31
	v_add3_u32 v159, v24, v27, s31
	;; [unrolled: 1-line block ×3, first 2 shown]
	v_cmp_eq_u32_e64 s[30:31], 0, v93
	v_writelane_b32 v254, s30, 38
	v_writelane_b32 v254, s31, 39
	v_cmp_eq_u32_e64 s[30:31], 1, v93
	v_writelane_b32 v254, s30, 40
	v_writelane_b32 v254, s31, 41
	v_cmp_gt_u32_e64 s[30:31], 16, v26
	v_writelane_b32 v254, s30, 42
	v_add3_u32 v166, v21, v19, v27
	v_writelane_b32 v254, s31, 43
	v_add_u32_e32 v19, v91, v26
	v_cmp_gt_u32_e64 s[30:31], 32, v26
	v_mul_u32_u24_e32 v172, 0x110, v19
	v_and_b32_e32 v19, 31, v26
	v_writelane_b32 v254, s30, 44
	s_lshl_b32 s92, s60, 5
	s_ashr_i32 s85, s84, 31
	s_ashr_i32 s83, s82, 31
	;; [unrolled: 1-line block ×3, first 2 shown]
	s_lshl_b32 s15, s82, 4
	v_add_u32_e32 v19, v91, v19
	v_writelane_b32 v254, s31, 45
	s_lshl_b64 s[30:31], s[92:93], 3
	v_mul_u32_u24_e32 v173, 0x110, v19
	s_add_u32 s30, s78, s30
	v_or_b32_e32 v19, v92, v26
	s_addc_u32 s31, s79, s31
	v_lshlrev_b32_e32 v19, 3, v19
	v_add_co_u32_e32 v32, vcc, s30, v19
	v_mov_b32_e32 v19, s31
	v_addc_co_u32_e32 v33, vcc, 0, v19, vcc
	v_or_b32_e32 v19, v91, v1
	s_movk_i32 s30, 0x44
	v_mad_u32_u24 v18, v19, s30, v18
	v_lshl_add_u32 v174, v18, 2, 0
	v_mad_u32_u24 v18, v90, s30, v26
	s_movk_i32 s34, 0xe0
	v_lshl_add_u32 v176, v18, 2, 0
	v_bfe_u32 v18, v90, 1, 4
	v_lshrrev_b32_e32 v175, 1, v90
	v_and_or_b32 v19, v90, s34, v18
	v_writelane_b32 v254, s60, 46
	s_lshl_b32 s31, s81, 6
	v_mul_u32_u24_e32 v177, 0x110, v19
	v_mad_u32_u24 v19, v19, s30, v26
	v_add_u32_e32 v179, 2, v175
	v_writelane_b32 v254, s31, 47
	v_lshl_add_u32 v178, v19, 2, 0
	v_lshlrev_b32_e32 v19, 1, v179
	v_and_b32_e32 v20, 15, v179
	s_movk_i32 s31, 0x1e0
	v_and_or_b32 v19, v19, s31, v20
	v_mul_u32_u24_e32 v180, 0x110, v19
	v_mad_u32_u24 v19, v19, s30, v26
	v_add_u32_e32 v182, 4, v175
	v_lshl_add_u32 v181, v19, 2, 0
	v_lshlrev_b32_e32 v19, 1, v182
	v_and_b32_e32 v20, 15, v182
	v_and_or_b32 v19, v19, s31, v20
	v_mul_u32_u24_e32 v183, 0x110, v19
	v_mad_u32_u24 v19, v19, s30, v26
	v_add_u32_e32 v185, 6, v175
	v_lshl_add_u32 v184, v19, 2, 0
	v_lshlrev_b32_e32 v19, 1, v185
	v_and_b32_e32 v20, 15, v185
	;; [unrolled: 7-line block ×3, first 2 shown]
	v_and_or_b32 v19, v19, s31, v20
	v_mul_u32_u24_e32 v20, 0x110, v19
	v_mad_u32_u24 v19, v19, s30, v26
	v_add_u32_e32 v191, 10, v175
	buffer_store_dword v20, off, s[0:3], 0 offset:16 ; 4-byte Folded Spill
	v_lshl_add_u32 v190, v19, 2, 0
	v_lshlrev_b32_e32 v19, 1, v191
	v_and_b32_e32 v20, 15, v191
	v_and_or_b32 v19, v19, s31, v20
	v_mul_u32_u24_e32 v20, 0x110, v19
	v_mad_u32_u24 v19, v19, s30, v26
	v_lshl_add_u32 v19, v19, 2, 0
	v_add_u32_e32 v189, 12, v175
	buffer_store_dword v20, off, s[0:3], 0 offset:20 ; 4-byte Folded Spill
	buffer_store_dword v19, off, s[0:3], 0 offset:24 ; 4-byte Folded Spill
	v_lshlrev_b32_e32 v19, 1, v189
	v_and_b32_e32 v20, 15, v189
	v_and_or_b32 v19, v19, s31, v20
	v_mul_u32_u24_e32 v20, 0x110, v19
	v_mad_u32_u24 v19, v19, s30, v26
	v_lshl_add_u32 v19, v19, 2, 0
	v_add_u32_e32 v197, 14, v175
	buffer_store_dword v20, off, s[0:3], 0 offset:28 ; 4-byte Folded Spill
	buffer_store_dword v19, off, s[0:3], 0 offset:32 ; 4-byte Folded Spill
	v_lshlrev_b32_e32 v19, 1, v197
	v_and_b32_e32 v20, 15, v197
	v_and_or_b32 v19, v19, s31, v20
	v_mul_u32_u24_e32 v20, 0x110, v19
	v_mad_u32_u24 v19, v19, s30, v26
	v_lshl_add_u32 v19, v19, 2, 0
	v_add_u32_e32 v200, 16, v175
	buffer_store_dword v19, off, s[0:3], 0 offset:40 ; 4-byte Folded Spill
	v_lshlrev_b32_e32 v19, 1, v200
	v_and_or_b32 v18, v19, s31, v18
	v_mul_u32_u24_e32 v19, 0x110, v18
	v_mad_u32_u24 v18, v18, s30, v26
	v_lshl_add_u32 v18, v18, 2, 0
	v_add_u32_e32 v203, 18, v175
	buffer_store_dword v19, off, s[0:3], 0 offset:44 ; 4-byte Folded Spill
	buffer_store_dword v18, off, s[0:3], 0 offset:48 ; 4-byte Folded Spill
	v_lshlrev_b32_e32 v18, 1, v203
	v_and_b32_e32 v19, 15, v203
	v_and_or_b32 v18, v18, s31, v19
	v_mul_u32_u24_e32 v19, 0x110, v18
	v_mad_u32_u24 v18, v18, s30, v26
	v_lshl_add_u32 v18, v18, 2, 0
	v_add_u32_e32 v206, 20, v175
	buffer_store_dword v19, off, s[0:3], 0 offset:52 ; 4-byte Folded Spill
	buffer_store_dword v18, off, s[0:3], 0 offset:56 ; 4-byte Folded Spill
	v_lshlrev_b32_e32 v18, 1, v206
	v_and_b32_e32 v19, 15, v206
	;; [unrolled: 9-line block ×7, first 2 shown]
	v_and_or_b32 v18, v18, s31, v19
	v_mul_u32_u24_e32 v19, 0x110, v18
	v_mad_u32_u24 v18, v18, s30, v26
	v_readlane_b32 s30, v254, 7
	v_lshl_add_u32 v18, v18, 2, 0
	s_ashr_i32 s31, s30, 31
	s_abs_i32 s30, s30
	buffer_store_dword v18, off, s[0:3], 0 offset:104 ; 4-byte Folded Spill
	v_cvt_f32_u32_e32 v18, s30
	v_writelane_b32 v254, s31, 48
	v_writelane_b32 v254, s30, 49
	s_sub_i32 s30, 0, s30
	v_rcp_iflag_f32_e32 v18, v18
	v_ashrrev_i32_e32 v11, 31, v10
	v_lshlrev_b64 v[36:37], 2, v[10:11]
	v_ashrrev_i32_e32 v17, 31, v16
	v_mul_f32_e32 v18, 0x4f7ffffe, v18
	v_cvt_u32_f32_e32 v18, v18
	v_lshlrev_b32_e32 v34, 4, v1
	v_add_co_u32_e32 v225, vcc, s68, v36
	v_readfirstlane_b32 s31, v18
	s_mul_i32 s30, s30, s31
	s_mul_hi_u32 s30, s31, s30
	s_add_i32 s30, s31, s30
	v_writelane_b32 v254, s30, 50
	v_readlane_b32 s30, v254, 6
	s_ashr_i32 s31, s30, 31
	s_abs_i32 s30, s30
	v_cvt_f32_u32_e32 v18, s30
	v_writelane_b32 v254, s31, 51
	v_writelane_b32 v254, s30, 52
	s_sub_i32 s30, 0, s30
	v_rcp_iflag_f32_e32 v18, v18
	v_mov_b32_e32 v1, s69
	v_addc_co_u32_e32 v226, vcc, v1, v37, vcc
	v_mul_f32_e32 v18, 0x4f7ffffe, v18
	v_cvt_u32_f32_e32 v18, v18
	v_lshlrev_b64 v[38:39], 2, v[16:17]
	v_lshlrev_b32_e32 v3, 2, v26
	v_ashrrev_i32_e32 v15, 31, v14
	v_readfirstlane_b32 s31, v18
	s_mul_i32 s30, s30, s31
	s_mul_hi_u32 s30, s31, s30
	s_add_i32 s30, s31, s30
	v_writelane_b32 v254, s30, 53
	v_readlane_b32 s30, v254, 3
	s_ashr_i32 s31, s30, 31
	s_abs_i32 s30, s30
	v_cvt_f32_u32_e32 v18, s30
	v_writelane_b32 v254, s31, 54
	v_writelane_b32 v254, s30, 55
	s_sub_i32 s30, 0, s30
	v_rcp_iflag_f32_e32 v18, v18
	v_add_co_u32_e32 v227, vcc, s68, v38
	v_and_b32_e32 v30, 60, v3
	v_mul_f32_e32 v18, 0x4f7ffffe, v18
	v_cvt_u32_f32_e32 v18, v18
	v_addc_co_u32_e32 v228, vcc, v1, v39, vcc
	v_lshlrev_b64 v[40:41], 2, v[14:15]
	v_readfirstlane_b32 s31, v18
	s_mul_i32 s30, s30, s31
	s_mul_hi_u32 s30, s31, s30
	s_add_i32 s30, s31, s30
	v_writelane_b32 v254, s30, 56
	s_mov_b32 s30, s38
	v_writelane_b32 v254, s30, 57
	v_writelane_b32 v254, s31, 58
	s_abs_i32 s30, s38
	v_cvt_f32_u32_e32 v18, s30
	v_mul_u32_u24_e32 v2, 0x110, v113
	v_lshlrev_b32_e32 v3, 2, v30
	v_ashrrev_i32_e32 v13, 31, v12
	v_rcp_iflag_f32_e32 v18, v18
	v_add_co_u32_e32 v229, vcc, s68, v40
	v_add3_u32 v114, 0, v2, v3
	v_mul_lo_u32 v2, s82, v113
	v_addc_co_u32_e32 v230, vcc, v1, v41, vcc
	v_lshlrev_b64 v[42:43], 2, v[12:13]
	v_ashrrev_i32_e32 v3, 31, v2
	v_add_co_u32_e32 v231, vcc, s68, v42
	v_add_u32_e32 v4, s15, v2
	v_mul_f32_e32 v18, 0x4f7ffffe, v18
	v_addc_co_u32_e32 v232, vcc, v1, v43, vcc
	v_lshlrev_b64 v[44:45], 2, v[2:3]
	v_ashrrev_i32_e32 v5, 31, v4
	v_cvt_u32_f32_e32 v18, v18
	v_add_co_u32_e32 v233, vcc, s66, v44
	v_mov_b32_e32 v1, s67
	v_add_u32_e32 v8, s15, v4
	v_addc_co_u32_e32 v234, vcc, v1, v45, vcc
	v_lshlrev_b64 v[46:47], 2, v[4:5]
	v_ashrrev_i32_e32 v9, 31, v8
	v_add_co_u32_e32 v235, vcc, s66, v46
	v_add_u32_e32 v6, s15, v8
	v_writelane_b32 v254, s30, 59
	s_sub_i32 s30, 0, s30
	v_addc_co_u32_e32 v236, vcc, v1, v47, vcc
	v_lshlrev_b64 v[48:49], 2, v[8:9]
	v_ashrrev_i32_e32 v7, 31, v6
	buffer_store_dword v19, off, s[0:3], 0 offset:100 ; 4-byte Folded Spill
	v_mul_lo_u32 v19, s30, v18
	v_add_co_u32_e32 v237, vcc, s66, v48
	s_mov_b32 s30, s84
	v_addc_co_u32_e32 v238, vcc, v1, v49, vcc
	v_lshlrev_b64 v[50:51], 2, v[6:7]
	v_writelane_b32 v254, s30, 60
	v_add_co_u32_e32 v239, vcc, s66, v50
	v_writelane_b32 v254, s31, 61
	s_lshl_b64 s[30:31], s[84:85], 1
                                        ; implicit-def: $vgpr255 : SGPR spill to VGPR lane
	s_mov_b64 s[8:9], src_private_base
	v_add_u32_e32 v163, v21, v22
	v_mul_hi_u32 v19, v18, v19
	v_addc_co_u32_e32 v240, vcc, v1, v51, vcc
	v_writelane_b32 v254, s30, 62
	v_mbcnt_lo_u32_b32 v1, -1, 0
	v_writelane_b32 v255, s50, 0
	v_mov_b32_e32 v102, 0
	v_cmp_lt_u32_e64 s[4:5], 63, v26
	v_add_u32_e32 v106, 0x240, v105
	v_add_u32_e32 v107, 0x480, v105
	;; [unrolled: 1-line block ×7, first 2 shown]
	s_mov_b32 s8, 0
	v_cmp_gt_u32_e64 s[6:7], 64, v113
	v_add_u32_e32 v115, 16, v113
	v_add_u32_e32 v116, 0x1100, v114
	v_cmp_gt_u32_e64 s[58:59], 48, v113
	v_add_u32_e32 v117, 32, v113
	v_add_u32_e32 v118, 0x2200, v114
	;; [unrolled: 3-line block ×3, first 2 shown]
	v_cmp_gt_u32_e64 s[12:13], 16, v113
	v_cmp_gt_u32_e64 s[14:15], 64, v122
	;; [unrolled: 1-line block ×9, first 2 shown]
	v_add_u32_e32 v131, 0x2200, v129
	v_add_u32_e32 v132, 32, v129
	;; [unrolled: 1-line block ×7, first 2 shown]
	s_movk_i32 s36, 0x80
	v_add_u32_e32 v147, 0x80, v129
	v_add_u32_e32 v150, 0x2200, v148
	;; [unrolled: 1-line block ×8, first 2 shown]
	v_or_b32_e32 v167, 1, v122
	v_or_b32_e32 v168, 2, v122
	;; [unrolled: 1-line block ×3, first 2 shown]
	v_add_u32_e32 v170, 33, v122
	v_add_u32_e32 v171, 35, v122
	;; [unrolled: 1-line block ×3, first 2 shown]
	s_lshl_b64 s[34:35], s[62:63], 8
	s_lshl_b64 s[90:91], s[82:83], 8
	v_writelane_b32 v254, s31, 63
	v_mov_b32_e32 v241, 0x3ecccdef
	s_mov_b32 s97, 0x42b17218
	s_mov_b32 s30, 0x3fb8aa3b
	;; [unrolled: 1-line block ×5, first 2 shown]
	v_mov_b32_e32 v242, 0x37000000
	v_mov_b32_e32 v243, 0x7f800000
	;; [unrolled: 1-line block ×3, first 2 shown]
	v_mbcnt_hi_u32_b32 v245, -1, v1
	v_writelane_b32 v255, s47, 1
	buffer_store_dword v20, off, s[0:3], 0 offset:36 ; 4-byte Folded Spill
	s_branch .LBB24_14
.LBB24_12:                              ;   in Loop: Header=BB24_14 Depth=1
	s_or_b64 exec, exec, s[40:41]
	s_barrier
.LBB24_13:                              ;   in Loop: Header=BB24_14 Depth=1
	v_readlane_b32 s42, v254, 1
	s_add_i32 s33, s88, s42
	s_abs_i32 s38, s33
	v_readlane_b32 s47, v255, 1
	s_mul_hi_u32 s39, s38, s47
	s_mul_i32 s39, s39, s89
	s_sub_i32 s38, s38, s39
	s_ashr_i32 s37, s33, 31
	s_sub_i32 s39, s38, s89
	s_cmp_ge_u32 s38, s89
	s_cselect_b32 s38, s39, s38
	s_sub_i32 s39, s38, s89
	s_cmp_ge_u32 s38, s89
	s_cselect_b32 s38, s39, s38
	s_xor_b32 s38, s38, s37
	s_sub_i32 s37, s37, s38
	s_add_i32 s88, s33, s37
	v_readlane_b32 s38, v254, 10
	s_sub_i32 s33, s38, s88
	s_min_i32 s86, s42, s33
	s_cmp_gt_i32 s38, s88
	v_readlane_b32 s39, v254, 11
	s_cselect_b64 s[40:41], -1, 0
	s_cmp_le_i32 s42, s33
	s_cselect_b64 s[38:39], -1, 0
	s_and_b64 s[38:39], s[38:39], s[40:41]
	s_mov_b32 s48, 0
	s_and_b64 vcc, exec, s[38:39]
	s_cbranch_vccz .LBB24_315
.LBB24_14:                              ; =>This Loop Header: Depth=1
                                        ;     Child Loop BB24_210 Depth 2
                                        ;     Child Loop BB24_56 Depth 2
	s_ashr_i32 s33, s88, 31
	v_readlane_b32 s37, v254, 48
	s_xor_b32 s33, s33, s37
	s_abs_i32 s37, s88
	v_readlane_b32 s38, v254, 50
	s_mul_hi_u32 s38, s37, s38
	v_readlane_b32 s41, v254, 49
	s_mul_i32 s39, s38, s41
	s_sub_i32 s37, s37, s39
	s_add_i32 s39, s38, 1
	s_sub_i32 s40, s37, s41
	s_cmp_ge_u32 s37, s41
	s_cselect_b32 s38, s39, s38
	s_cselect_b32 s37, s40, s37
	s_add_i32 s39, s38, 1
	s_cmp_ge_u32 s37, s41
	s_cselect_b32 s37, s39, s38
	s_xor_b32 s37, s37, s33
	v_readlane_b32 s38, v254, 25
	s_sub_i32 s37, s37, s33
	v_readlane_b32 s39, v254, 26
	s_andn2_b64 vcc, exec, s[38:39]
	s_ashr_i32 s38, s37, 31
	s_cbranch_vccnz .LBB24_16
; %bb.15:                               ;   in Loop: Header=BB24_14 Depth=1
	s_abs_i32 s33, s37
	v_mul_hi_u32 v1, s33, v224
	v_readlane_b32 s39, v254, 59
	v_mul_lo_u32 v1, v1, s39
	v_sub_u32_e32 v1, s33, v1
	v_subrev_u32_e32 v2, s39, v1
	v_cmp_le_u32_e32 vcc, s39, v1
	v_cndmask_b32_e32 v1, v1, v2, vcc
	v_subrev_u32_e32 v2, s39, v1
	v_cmp_le_u32_e32 vcc, s39, v1
	v_cndmask_b32_e32 v1, v1, v2, vcc
	v_xor_b32_e32 v1, s38, v1
	v_readlane_b32 s40, v254, 15
	v_subrev_u32_e32 v1, s38, v1
	v_readlane_b32 s41, v254, 16
	v_ashrrev_i32_e32 v2, 31, v1
	v_mul_lo_u32 v3, v1, s41
	v_mul_hi_u32 v4, v1, s40
	v_add_u32_e32 v3, v4, v3
	v_mul_lo_u32 v2, v2, s40
	v_mul_lo_u32 v1, v1, s40
	v_add_u32_e32 v2, v3, v2
	v_mov_b32_e32 v3, s71
	v_add_co_u32_e32 v54, vcc, s70, v1
	v_addc_co_u32_e32 v55, vcc, v3, v2, vcc
	s_branch .LBB24_17
.LBB24_16:                              ;   in Loop: Header=BB24_14 Depth=1
	v_pk_mov_b32 v[54:55], 0, 0
.LBB24_17:                              ;   in Loop: Header=BB24_14 Depth=1
	v_readlane_b32 s33, v254, 7
	s_mul_i32 s33, s37, s33
	s_sub_i32 s33, s88, s33
	s_ashr_i32 s39, s33, 31
	v_readlane_b32 s40, v254, 51
	s_xor_b32 s39, s39, s40
	s_abs_i32 s40, s33
	v_readlane_b32 s41, v254, 53
	s_mul_hi_u32 s41, s40, s41
	v_readlane_b32 s44, v254, 52
	s_mul_i32 s42, s41, s44
	s_sub_i32 s40, s40, s42
	s_add_i32 s42, s41, 1
	s_sub_i32 s43, s40, s44
	s_cmp_ge_u32 s40, s44
	s_cselect_b32 s41, s42, s41
	s_cselect_b32 s40, s43, s40
	s_add_i32 s42, s41, 1
	s_cmp_ge_u32 s40, s44
	s_cselect_b32 s40, s42, s41
	s_xor_b32 s40, s40, s39
	s_sub_i32 s49, s40, s39
	v_readlane_b32 s39, v254, 6
	s_mul_i32 s39, s49, s39
	s_sub_i32 s33, s33, s39
	s_ashr_i32 s39, s33, 31
	v_readlane_b32 s40, v254, 54
	s_xor_b32 s39, s39, s40
	s_abs_i32 s40, s33
	v_readlane_b32 s41, v254, 56
	s_mul_hi_u32 s41, s40, s41
	v_readlane_b32 s44, v254, 55
	s_mul_i32 s42, s41, s44
	s_sub_i32 s40, s40, s42
	s_add_i32 s42, s41, 1
	s_sub_i32 s43, s40, s44
	s_cmp_ge_u32 s40, s44
	s_cselect_b32 s41, s42, s41
	s_cselect_b32 s40, s43, s40
	s_add_i32 s42, s41, 1
	s_cmp_ge_u32 s40, s44
	s_cselect_b32 s40, s42, s41
	s_xor_b32 s40, s40, s39
	s_sub_i32 s39, s40, s39
	v_readlane_b32 s40, v254, 2
	s_mul_i32 s40, s49, s40
	s_add_i32 s46, s40, s39
	v_readlane_b32 s40, v254, 34
	v_readlane_b32 s41, v254, 35
	s_andn2_b64 vcc, exec, s[40:41]
	v_mov_b32_e32 v52, 1.0
	s_cbranch_vccnz .LBB24_19
; %bb.18:                               ;   in Loop: Header=BB24_14 Depth=1
	v_readlane_b32 s41, v254, 12
	s_sub_i32 s40, s46, s41
	s_lshl_b32 s40, s40, 1
	s_add_i32 s42, s46, 1
	s_or_b32 s43, s40, 1
	s_cmp_lt_u32 s46, s41
	v_readlane_b32 s52, v254, 30
	s_cselect_b64 vcc, -1, 0
	v_readlane_b32 s54, v254, 32
	v_readlane_b32 s55, v254, 33
	s_and_b64 s[40:41], vcc, exec
	v_mov_b32_e32 v1, s55
	v_mov_b32_e32 v2, s54
	s_cselect_b32 s40, s42, s43
	v_cndmask_b32_e32 v18, v1, v2, vcc
	v_cvt_f32_i32_e32 v1, s40
	v_cmp_neq_f32_e32 vcc, 1.0, v18
	s_mov_b32 s40, 0x3f2aaaab
	s_movk_i32 s42, 0x204
	v_cndmask_b32_e32 v19, 1.0, v1, vcc
	v_cmp_eq_f32_e32 vcc, 0, v19
	v_cndmask_b32_e64 v20, |v18|, 1.0, vcc
	v_frexp_mant_f32_e32 v1, v20
	v_cmp_gt_f32_e64 s[40:41], s40, v1
	v_cndmask_b32_e64 v2, 1.0, 2.0, s[40:41]
	v_mul_f32_e32 v1, v1, v2
	v_add_f32_e32 v2, 1.0, v1
	v_rcp_f32_e32 v10, v2
	v_add_f32_e32 v3, -1.0, v2
	v_sub_f32_e32 v5, v1, v3
	v_add_f32_e32 v3, -1.0, v1
	v_mul_f32_e32 v1, v3, v10
	v_mul_f32_e32 v4, v2, v1
	v_fma_f32 v6, v1, v2, -v4
	v_fmac_f32_e32 v6, v1, v5
	v_add_f32_e32 v2, v4, v6
	v_sub_f32_e32 v5, v3, v2
	v_pk_add_f32 v[8:9], v[2:3], v[4:5] neg_lo:[0,1] neg_hi:[0,1]
	v_mov_b32_e32 v7, v2
	v_pk_add_f32 v[2:3], v[8:9], v[6:7] neg_lo:[0,1] neg_hi:[0,1]
	v_add_f32_e32 v2, v2, v3
	v_add_f32_e32 v2, v5, v2
	v_mul_f32_e32 v3, v10, v2
	v_add_f32_e32 v2, v1, v3
	v_sub_f32_e32 v1, v2, v1
	v_sub_f32_e32 v1, v3, v1
	v_mul_f32_e32 v3, v2, v2
	v_fma_f32 v5, v2, v2, -v3
	v_add_f32_e32 v4, v1, v1
	v_fmac_f32_e32 v5, v2, v4
	v_add_f32_e32 v4, v3, v5
	v_mov_b32_e32 v6, 0x3e91f4c4
	v_fmac_f32_e32 v6, 0x3e76c4e1, v4
	v_fma_f32 v6, v4, v6, v241
	v_sub_f32_e32 v3, v4, v3
	v_sub_f32_e32 v12, v5, v3
	v_mul_f32_e32 v3, v4, v6
	v_fma_f32 v5, v4, v6, -v3
	v_fmac_f32_e32 v5, v12, v6
	v_add_f32_e32 v6, v3, v5
	v_add_f32_e32 v7, 0x3f2aaaaa, v6
	v_sub_f32_e32 v3, v6, v3
	v_sub_f32_e32 v3, v5, v3
	v_add_f32_e32 v5, 0xbf2aaaaa, v7
	v_add_f32_e32 v3, 0x31739010, v3
	v_sub_f32_e32 v5, v6, v5
	v_pk_mul_f32 v[8:9], v[2:3], v[4:5]
	v_fma_f32 v6, v4, v2, -v8
	v_pk_add_f32 v[10:11], v[2:3], v[4:5]
	v_fmac_f32_e32 v6, v4, v1
	v_mov_b32_e32 v9, v11
	v_fmac_f32_e32 v6, v12, v2
	v_pk_add_f32 v[4:5], v[8:9], v[6:7]
	v_sub_f32_e32 v3, v4, v8
	v_sub_f32_e32 v3, v6, v3
	;; [unrolled: 1-line block ×3, first 2 shown]
	v_add_f32_e32 v10, v11, v6
	v_mov_b32_e32 v6, v5
	v_pk_mul_f32 v[6:7], v[4:5], v[6:7]
	v_cvt_f64_f32_e32 v[8:9], v20
	v_frexp_exp_i32_f64_e32 v7, v[8:9]
	v_subbrev_co_u32_e64 v7, s[40:41], 0, v7, s[40:41]
	v_cvt_f32_i32_e32 v7, v7
	v_fma_f32 v8, v4, v5, -v6
	v_fmac_f32_e32 v8, v4, v10
	s_mov_b32 s40, 0x3f317218
	v_mul_f32_e32 v4, 0x3f317218, v7
	v_fmac_f32_e32 v8, v3, v5
	v_fma_f32 v10, v7, s40, -v4
	v_fmac_f32_e32 v10, 0xb102e308, v7
	v_ldexp_f32 v11, v2, 1
	v_add_f32_e32 v5, v6, v8
	v_pk_add_f32 v[2:3], v[4:5], v[10:11]
	v_mov_b32_e32 v12, v5
	v_mov_b32_e32 v13, v3
	;; [unrolled: 1-line block ×3, first 2 shown]
	v_pk_add_f32 v[6:7], v[12:13], v[6:7] neg_lo:[0,1] neg_hi:[0,1]
	v_mov_b32_e32 v9, v5
	v_ldexp_f32 v1, v1, 1
	v_pk_add_f32 v[6:7], v[8:9], v[6:7] neg_lo:[0,1] neg_hi:[0,1]
	v_add_f32_e32 v1, v1, v6
	v_add_f32_e32 v5, v1, v7
	v_pk_add_f32 v[6:7], v[2:3], v[4:5] neg_lo:[0,1] neg_hi:[0,1]
	v_pk_add_f32 v[8:9], v[2:3], v[4:5]
	v_mov_b32_e32 v12, v6
	v_mov_b32_e32 v13, v9
	;; [unrolled: 1-line block ×3, first 2 shown]
	v_pk_add_f32 v[12:13], v[10:11], v[12:13]
	v_mov_b32_e32 v4, v13
	v_pk_add_f32 v[14:15], v[4:5], v[2:3] neg_lo:[0,1] neg_hi:[0,1]
	v_mov_b32_e32 v1, v14
	v_mov_b32_e32 v12, v9
	;; [unrolled: 1-line block ×4, first 2 shown]
	v_pk_add_f32 v[6:7], v[10:11], v[6:7] neg_lo:[0,1] neg_hi:[0,1]
	v_pk_add_f32 v[16:17], v[8:9], v[0:1] neg_lo:[0,1] neg_hi:[0,1]
	;; [unrolled: 1-line block ×3, first 2 shown]
	v_mov_b32_e32 v10, v5
	v_pk_add_f32 v[2:3], v[10:11], v[2:3] neg_lo:[0,1] neg_hi:[0,1]
	v_mov_b32_e32 v16, v6
	v_pk_add_f32 v[8:9], v[16:17], v[2:3]
	v_mov_b32_e32 v10, v9
	v_pk_add_f32 v[10:11], v[8:9], v[10:11]
	v_pk_add_f32 v[4:5], v[4:5], v[10:11]
	v_mov_b32_e32 v7, v13
	v_mov_b32_e32 v9, v4
	v_pk_add_f32 v[12:13], v[8:9], v[6:7] neg_lo:[0,1] neg_hi:[0,1]
	v_mov_b32_e32 v3, v10
	v_sub_f32_e32 v1, v8, v12
	v_pk_add_f32 v[2:3], v[2:3], v[12:13] neg_lo:[0,1] neg_hi:[0,1]
	v_sub_f32_e32 v1, v6, v1
	v_add_f32_e32 v1, v2, v1
	v_add_f32_e32 v1, v1, v3
	;; [unrolled: 1-line block ×3, first 2 shown]
	v_sub_f32_e32 v3, v2, v4
	v_sub_f32_e32 v1, v1, v3
	v_mul_f32_e32 v3, v19, v2
	v_fma_f32 v2, v19, v2, -v3
	v_fmac_f32_e32 v2, v19, v1
	v_add_f32_e32 v1, v3, v2
	v_cmp_class_f32_e64 s[40:41], v3, s42
	v_sub_f32_e32 v4, v1, v3
	v_cndmask_b32_e64 v1, v1, v3, s[40:41]
	v_cmp_eq_f32_e64 s[40:41], s97, v1
	v_cndmask_b32_e64 v3, 0, v242, s[40:41]
	v_sub_f32_e32 v2, v2, v4
	v_sub_f32_e32 v4, v1, v3
	v_mul_f32_e32 v5, 0x3fb8aa3b, v4
	v_fma_f32 v6, v4, s30, -v5
	v_rndne_f32_e32 v7, v5
	v_fmac_f32_e32 v6, 0x32a5705f, v4
	v_sub_f32_e32 v5, v5, v7
	v_add_f32_e32 v5, v5, v6
	v_exp_f32_e32 v5, v5
	v_cvt_i32_f32_e32 v6, v7
	s_mov_b32 s43, 0x7f800000
	v_cmp_neq_f32_e64 s[40:41], |v1|, s43
	v_cndmask_b32_e64 v1, 0, v2, s[40:41]
	v_ldexp_f32 v2, v5, v6
	v_cmp_ngt_f32_e64 s[40:41], s31, v4
	v_cndmask_b32_e64 v2, 0, v2, s[40:41]
	v_cmp_nlt_f32_e64 s[40:41], s97, v4
	v_add_f32_e32 v1, v3, v1
	v_cndmask_b32_e64 v2, v243, v2, s[40:41]
	v_fma_f32 v1, v2, v1, v2
	v_cmp_class_f32_e64 s[40:41], v2, s42
	v_trunc_f32_e32 v3, v19
	v_cndmask_b32_e64 v1, v1, v2, s[40:41]
	v_cndmask_b32_e64 v2, v18, 1.0, vcc
	v_cmp_eq_f32_e32 vcc, v3, v19
	v_mul_f32_e32 v3, 0.5, v19
	v_trunc_f32_e32 v4, v3
	v_cmp_neq_f32_e64 s[40:41], v4, v3
	s_and_b64 s[40:41], vcc, s[40:41]
	v_cndmask_b32_e64 v3, 1.0, v2, s[40:41]
	s_brev_b32 s51, -2
	v_bfi_b32 v1, s51, v1, v3
	v_cndmask_b32_e32 v3, v244, v1, vcc
	v_cmp_gt_f32_e32 vcc, 0, v2
	v_cndmask_b32_e32 v1, v1, v3, vcc
	v_cmp_eq_f32_e32 vcc, s43, v20
	v_cmp_eq_f32_e64 s[42:43], 0, v2
	v_cmp_gt_f32_e64 s[44:45], 0, v19
	s_xor_b64 s[44:45], s[44:45], s[42:43]
	v_cndmask_b32_e64 v3, v243, 0, s[44:45]
	v_cndmask_b32_e64 v4, 0, v2, s[40:41]
	v_bfi_b32 v3, s51, v3, v4
	s_or_b64 vcc, vcc, s[42:43]
	v_cndmask_b32_e32 v1, v1, v3, vcc
	v_cmp_o_f32_e32 vcc, v2, v2
	v_cndmask_b32_e32 v52, v244, v1, vcc
	v_readlane_b32 s53, v254, 31
.LBB24_19:                              ;   in Loop: Header=BB24_14 Depth=1
	v_readlane_b32 s40, v254, 3
	s_mul_i32 s39, s39, s40
	s_sub_i32 s33, s33, s39
	s_ashr_i32 s39, s33, 31
	v_readlane_b32 s40, v254, 23
	s_abs_i32 s33, s33
	s_xor_b32 s39, s39, s40
	s_mul_hi_u32 s40, s33, s47
	s_mul_i32 s41, s40, s89
	s_sub_i32 s33, s33, s41
	s_add_i32 s41, s40, 1
	s_sub_i32 s42, s33, s89
	s_cmp_ge_u32 s33, s89
	s_cselect_b32 s40, s41, s40
	s_cselect_b32 s33, s42, s33
	s_add_i32 s41, s40, 1
	s_cmp_ge_u32 s33, s89
	s_cselect_b32 s33, s41, s40
	v_readlane_b32 s40, v254, 36
	s_xor_b32 s33, s33, s39
	v_readlane_b32 s41, v254, 37
	s_andn2_b64 vcc, exec, s[40:41]
	s_sub_i32 s81, s33, s39
	s_cbranch_vccnz .LBB24_21
; %bb.20:                               ;   in Loop: Header=BB24_14 Depth=1
	v_readlane_b32 s33, v254, 0
	s_mul_i32 s33, s37, s33
	s_add_i32 s40, s81, s33
	s_ashr_i32 s41, s40, 31
	s_lshl_b64 s[40:41], s[40:41], 2
	s_add_u32 s40, s74, s40
	s_addc_u32 s41, s75, s41
	global_load_dword v1, v102, s[40:41]
	s_waitcnt vmcnt(0)
	v_readfirstlane_b32 s33, v1
	s_ashr_i32 s39, s33, 31
	s_lshr_b32 s39, s39, 26
	s_add_i32 s33, s33, s39
	s_ashr_i32 s33, s33, 6
	s_min_i32 s86, s86, s33
.LBB24_21:                              ;   in Loop: Header=BB24_14 Depth=1
	v_readlane_b32 s33, v254, 27
	s_mul_i32 s33, s33, s37
	s_add_i32 s33, s46, s33
	s_lshl_b32 s92, s33, 6
	s_lshl_b64 s[40:41], s[92:93], 3
	s_add_u32 s33, s76, s40
	v_writelane_b32 v255, s33, 2
	s_addc_u32 s33, s77, s41
	v_readlane_b32 s40, v254, 13
	v_readlane_b32 s41, v254, 14
	v_writelane_b32 v255, s33, 3
	s_mul_i32 s33, s37, s41
	s_mul_hi_u32 s39, s37, s40
	s_add_i32 s33, s39, s33
	s_mul_i32 s39, s38, s40
	s_add_i32 s39, s33, s39
	s_mul_i32 s33, s37, s40
	v_readlane_b32 s40, v254, 19
	v_readlane_b32 s41, v254, 20
	;; [unrolled: 1-line block ×3, first 2 shown]
	v_writelane_b32 v255, s33, 4
	s_add_u32 s33, s68, s33
	s_mov_b64 s[44:45], s[40:41]
	s_mul_i32 s40, s49, s43
	v_writelane_b32 v255, s39, 5
	s_addc_u32 s39, s69, s39
	s_ashr_i32 s41, s40, 31
	s_add_u32 s87, s33, s40
	v_writelane_b32 v255, s40, 6
	s_addc_u32 s33, s39, s41
	s_ashr_i32 s47, s46, 31
	v_writelane_b32 v255, s41, 7
	s_lshl_b64 s[40:41], s[46:47], 2
	v_readlane_b32 s42, v254, 21
	s_add_u32 s39, s72, s40
	s_addc_u32 s42, s73, s41
	v_readlane_b32 s40, v254, 28
	v_readlane_b32 s41, v254, 29
	s_and_b64 s[40:41], s[40:41], exec
	s_cselect_b32 s99, 0, s42
	v_readlane_b32 s42, v254, 8
	v_readlane_b32 s43, v254, 9
	s_cselect_b32 s98, 0, s39
	s_mul_i32 s39, s37, s43
	s_ashr_i32 s40, s39, 31
	s_add_u32 s39, s64, s39
	s_mul_i32 s41, s46, s42
	s_addc_u32 s40, s65, s40
	s_ashr_i32 s42, s41, 31
	s_add_u32 s39, s39, s41
	s_addc_u32 s96, s40, s42
	s_mul_i32 s40, s37, s45
	s_mul_hi_u32 s41, s37, s44
	s_add_i32 s40, s41, s40
	s_mul_i32 s38, s38, s44
	s_add_i32 s38, s40, s38
	s_mul_i32 s37, s37, s44
	v_readlane_b32 s42, v254, 17
	v_writelane_b32 v255, s37, 8
	s_add_u32 s37, s66, s37
	v_readlane_b32 s43, v254, 18
	v_writelane_b32 v255, s38, 9
	s_addc_u32 s40, s67, s38
	s_mul_i32 s38, s49, s43
	s_ashr_i32 s41, s38, 31
	v_writelane_b32 v255, s38, 10
	s_add_u32 s38, s37, s38
	s_addc_u32 s37, s40, s41
	v_writelane_b32 v255, s41, 11
	s_cmp_lg_u32 s48, 0
	s_cbranch_scc0 .LBB24_66
; %bb.22:                               ;   in Loop: Header=BB24_14 Depth=1
	s_lshl_b32 s92, s81, 5
	v_add_u32_e32 v35, s92, v90
	v_cmp_le_i32_e32 vcc, s80, v35
	s_and_saveexec_b64 s[40:41], vcc
	s_xor_b64 s[40:41], exec, s[40:41]
	s_cbranch_execz .LBB24_24
; %bb.23:                               ;   in Loop: Header=BB24_14 Depth=1
	ds_write_b32 v176, v102
.LBB24_24:                              ;   in Loop: Header=BB24_14 Depth=1
	s_andn2_saveexec_b64 s[40:41], s[40:41]
	s_cbranch_execz .LBB24_26
; %bb.25:                               ;   in Loop: Header=BB24_14 Depth=1
	v_mad_u64_u32 v[2:3], s[42:43], v35, s50, v[26:27]
	v_ashrrev_i32_e32 v3, 31, v2
	v_lshlrev_b64 v[2:3], 3, v[2:3]
	v_mov_b32_e32 v1, s96
	v_add_co_u32_e32 v2, vcc, s39, v2
	v_addc_co_u32_e32 v3, vcc, v1, v3, vcc
	global_load_dwordx2 v[2:3], v[2:3], off
	s_waitcnt vmcnt(0)
	v_cvt_f16_f32_e32 v1, v2
	v_cvt_f16_f32_e32 v2, v3
	v_pack_b32_f16 v1, v1, v2
	v_pk_mul_f16 v1, v94, v1
	ds_write_b32 v176, v1
.LBB24_26:                              ;   in Loop: Header=BB24_14 Depth=1
	s_or_b64 exec, exec, s[40:41]
	v_add_u32_e32 v76, s92, v101
	v_cmp_le_i32_e32 vcc, s80, v76
	s_and_saveexec_b64 s[40:41], vcc
	s_xor_b64 s[40:41], exec, s[40:41]
	s_cbranch_execz .LBB24_28
; %bb.27:                               ;   in Loop: Header=BB24_14 Depth=1
	ds_write_b32 v176, v102 offset:1088
.LBB24_28:                              ;   in Loop: Header=BB24_14 Depth=1
	s_andn2_saveexec_b64 s[40:41], s[40:41]
	s_cbranch_execz .LBB24_30
; %bb.29:                               ;   in Loop: Header=BB24_14 Depth=1
	v_mad_u64_u32 v[2:3], s[42:43], v76, s50, v[26:27]
	v_ashrrev_i32_e32 v3, 31, v2
	v_lshlrev_b64 v[2:3], 3, v[2:3]
	v_mov_b32_e32 v1, s96
	v_add_co_u32_e32 v2, vcc, s39, v2
	v_addc_co_u32_e32 v3, vcc, v1, v3, vcc
	global_load_dwordx2 v[2:3], v[2:3], off
	s_waitcnt vmcnt(0)
	v_cvt_f16_f32_e32 v1, v2
	v_cvt_f16_f32_e32 v2, v3
	v_pack_b32_f16 v1, v1, v2
	v_pk_mul_f16 v1, v94, v1
	ds_write_b32 v176, v1 offset:1088
.LBB24_30:                              ;   in Loop: Header=BB24_14 Depth=1
	s_or_b64 exec, exec, s[40:41]
	v_add_u32_e32 v78, s92, v100
	v_cmp_le_i32_e32 vcc, s80, v78
	s_and_saveexec_b64 s[40:41], vcc
	s_xor_b64 s[40:41], exec, s[40:41]
	s_cbranch_execz .LBB24_32
; %bb.31:                               ;   in Loop: Header=BB24_14 Depth=1
	ds_write_b32 v176, v102 offset:2176
.LBB24_32:                              ;   in Loop: Header=BB24_14 Depth=1
	s_andn2_saveexec_b64 s[40:41], s[40:41]
	s_cbranch_execz .LBB24_34
; %bb.33:                               ;   in Loop: Header=BB24_14 Depth=1
	v_mad_u64_u32 v[2:3], s[42:43], v78, s50, v[26:27]
	v_ashrrev_i32_e32 v3, 31, v2
	v_lshlrev_b64 v[2:3], 3, v[2:3]
	v_mov_b32_e32 v1, s96
	v_add_co_u32_e32 v2, vcc, s39, v2
	v_addc_co_u32_e32 v3, vcc, v1, v3, vcc
	global_load_dwordx2 v[2:3], v[2:3], off
	s_waitcnt vmcnt(0)
	v_cvt_f16_f32_e32 v1, v2
	v_cvt_f16_f32_e32 v2, v3
	v_pack_b32_f16 v1, v1, v2
	v_pk_mul_f16 v1, v94, v1
	ds_write_b32 v176, v1 offset:2176
.LBB24_34:                              ;   in Loop: Header=BB24_14 Depth=1
	;; [unrolled: 26-line block ×7, first 2 shown]
	s_or_b64 exec, exec, s[40:41]
	s_waitcnt lgkmcnt(0)
	s_barrier
	ds_read2_b64 v[14:17], v104 offset1:4
	ds_read2_b64 v[10:13], v104 offset0:8 offset1:12
	ds_read2_b64 v[6:9], v104 offset0:16 offset1:20
	;; [unrolled: 1-line block ×3, first 2 shown]
	s_add_i32 s49, s86, -1
	s_cmp_le_i32 s49, s48
	v_mov_b32_e32 v83, 0
	s_waitcnt lgkmcnt(0)
	s_barrier
	s_cbranch_scc1 .LBB24_67
; %bb.55:                               ;   in Loop: Header=BB24_14 Depth=1
	v_mul_hi_u32 v27, s94, v1
	v_add_u32_e32 v27, v1, v27
	v_lshrrev_b32_e32 v27, s95, v27
	v_readlane_b32 s42, v254, 60
	v_mul_lo_u32 v27, v27, s80
	v_readlane_b32 s43, v254, 61
	s_mov_b32 s44, s42
	v_sub_u32_e32 v27, v1, v27
	v_mad_i64_i32 v[66:67], s[42:43], v27, s44, 0
	v_mul_hi_u32 v27, s94, v31
	v_add_u32_e32 v27, v31, v27
	v_lshrrev_b32_e32 v27, s95, v27
	v_mul_lo_u32 v27, v27, s80
	v_sub_u32_e32 v27, v31, v27
	v_mad_i64_i32 v[68:69], s[42:43], v27, s44, 0
	v_mul_hi_u32 v27, s94, v74
	v_add_u32_e32 v27, v74, v27
	v_lshrrev_b32_e32 v27, s95, v27
	v_mul_lo_u32 v27, v27, s80
	;; [unrolled: 6-line block ×3, first 2 shown]
	v_lshlrev_b32_e32 v18, 1, v26
	v_sub_u32_e32 v27, v77, v27
	v_add_co_u32_e32 v79, vcc, v54, v18
	v_mad_i64_i32 v[72:73], s[42:43], v27, s44, 0
	v_and_b32_e32 v27, 64, v245
	v_addc_co_u32_e32 v80, vcc, 0, v55, vcc
	v_mul_hi_u32 v18, s94, v35
	v_mul_hi_u32 v20, s94, v76
	;; [unrolled: 1-line block ×4, first 2 shown]
	v_add_u32_e32 v27, 64, v27
	v_xor_b32_e32 v29, 32, v245
	v_add_u32_e32 v18, v35, v18
	v_add_u32_e32 v20, v76, v20
	;; [unrolled: 1-line block ×4, first 2 shown]
	v_cmp_lt_i32_e32 vcc, v29, v27
	v_lshrrev_b32_e32 v18, s95, v18
	v_lshrrev_b32_e32 v20, s95, v20
	;; [unrolled: 1-line block ×4, first 2 shown]
	v_cndmask_b32_e32 v29, v245, v29, vcc
	v_mul_lo_u32 v18, v18, s80
	v_mul_lo_u32 v20, v20, s80
	;; [unrolled: 1-line block ×4, first 2 shown]
	v_lshlrev_b32_e32 v81, 2, v29
	v_xor_b32_e32 v29, 16, v245
	v_sub_u32_e32 v18, v35, v18
	v_sub_u32_e32 v20, v76, v20
	;; [unrolled: 1-line block ×4, first 2 shown]
	v_cmp_lt_i32_e32 vcc, v29, v27
	v_mad_i64_i32 v[18:19], s[42:43], v18, s44, 0
	v_mad_i64_i32 v[20:21], s[42:43], v20, s44, 0
	;; [unrolled: 1-line block ×4, first 2 shown]
	v_cndmask_b32_e32 v27, v245, v29, vcc
	v_cmp_ne_u64_e64 s[40:41], 0, v[54:55]
	v_mov_b32_e32 v204, 0
	v_lshlrev_b32_e32 v82, 2, v27
	v_mov_b32_e32 v56, v52
	v_mov_b32_e32 v57, v52
	s_lshl_b32 s44, s48, 6
	v_mov_b32_e32 v201, 0
	v_mov_b32_e32 v202, 0xfeffffff
	v_lshlrev_b64 v[58:59], 1, v[18:19]
	v_lshlrev_b64 v[60:61], 1, v[20:21]
	;; [unrolled: 1-line block ×8, first 2 shown]
	v_mov_b32_e32 v217, 0
	v_mov_b32_e32 v208, 0
	v_mov_b32_e32 v207, 0
	v_mov_b32_e32 v211, 0
	v_mov_b32_e32 v210, 0
	v_mov_b32_e32 v214, 0
	v_mov_b32_e32 v213, 0
	v_mov_b32_e32 v216, 0
	v_mov_b32_e32 v89, 0
	v_mov_b32_e32 v88, 0
	v_mov_b32_e32 v87, 0
	v_mov_b32_e32 v86, 0
	v_mov_b32_e32 v85, 0
	v_mov_b32_e32 v84, 0
	v_mov_b32_e32 v83, 0
.LBB24_56:                              ;   Parent Loop BB24_14 Depth=1
                                        ; =>  This Inner Loop Header: Depth=2
	s_nop 0
	v_cndmask_b32_e64 v18, 0, 1, s[40:41]
	v_cmp_ne_u32_e64 s[42:43], 1, v18
	s_andn2_b64 vcc, exec, s[40:41]
	s_ashr_i32 s45, s44, 31
	s_cbranch_vccnz .LBB24_62
; %bb.57:                               ;   in Loop: Header=BB24_56 Depth=2
                                        ; implicit-def: $sgpr50
	s_and_saveexec_b64 s[46:47], s[4:5]
	s_xor_b64 s[46:47], exec, s[46:47]
	s_cbranch_execz .LBB24_59
; %bb.58:                               ;   in Loop: Header=BB24_56 Depth=2
	ds_write_b16 v105, v102 offset:17408
	ds_write_b16 v106, v102 offset:17408
	;; [unrolled: 1-line block ×4, first 2 shown]
	s_mov_b32 s50, 0
.LBB24_59:                              ;   in Loop: Header=BB24_56 Depth=2
	s_or_saveexec_b64 s[46:47], s[46:47]
	v_mov_b32_e32 v18, s50
	v_mov_b32_e32 v19, s50
	;; [unrolled: 1-line block ×4, first 2 shown]
	s_xor_b64 exec, exec, s[46:47]
	s_cbranch_execz .LBB24_61
; %bb.60:                               ;   in Loop: Header=BB24_56 Depth=2
	s_lshl_b64 s[50:51], s[44:45], 1
	v_add_co_u32_e32 v22, vcc, s50, v79
	v_mov_b32_e32 v18, s51
	v_addc_co_u32_e32 v23, vcc, v80, v18, vcc
	v_add_co_u32_e32 v18, vcc, v22, v58
	v_addc_co_u32_e32 v19, vcc, v23, v59, vcc
	flat_load_ushort v20, v[18:19]
	v_add_co_u32_e32 v18, vcc, v22, v60
	v_addc_co_u32_e32 v19, vcc, v23, v61, vcc
	flat_load_ushort v21, v[18:19]
	;; [unrolled: 3-line block ×4, first 2 shown]
	s_waitcnt vmcnt(0) lgkmcnt(0)
	ds_write_b16 v105, v20 offset:17408
	ds_write_b16 v106, v21 offset:17408
	;; [unrolled: 1-line block ×4, first 2 shown]
	v_add_co_u32_e32 v18, vcc, v22, v66
	v_addc_co_u32_e32 v19, vcc, v23, v67, vcc
	v_add_co_u32_e32 v20, vcc, v22, v68
	v_addc_co_u32_e32 v21, vcc, v23, v69, vcc
	flat_load_ushort v18, v[18:19]
	s_nop 0
	flat_load_ushort v19, v[20:21]
	v_add_co_u32_e32 v20, vcc, v22, v70
	v_addc_co_u32_e32 v21, vcc, v23, v71, vcc
	v_add_co_u32_e32 v22, vcc, v22, v72
	v_addc_co_u32_e32 v23, vcc, v23, v73, vcc
	flat_load_ushort v20, v[20:21]
	s_nop 0
	flat_load_ushort v21, v[22:23]
.LBB24_61:                              ;   in Loop: Header=BB24_56 Depth=2
	s_or_b64 exec, exec, s[46:47]
	s_waitcnt vmcnt(0) lgkmcnt(0)
	ds_write_b16 v109, v18 offset:17408
	ds_write_b16 v110, v19 offset:17408
	;; [unrolled: 1-line block ×4, first 2 shown]
.LBB24_62:                              ;   in Loop: Header=BB24_56 Depth=2
	s_mul_hi_i32 s47, s44, s82
	s_mul_i32 s46, s44, s82
	s_lshl_b64 s[46:47], s[46:47], 2
	s_add_u32 s45, s38, s46
	s_addc_u32 s46, s37, s47
	v_add_co_u32_e32 v18, vcc, s45, v44
	v_mov_b32_e32 v19, s46
	v_addc_co_u32_e32 v19, vcc, v19, v45, vcc
	v_lshlrev_b32_e32 v198, 2, v30
	v_add_co_u32_e32 v18, vcc, v18, v198
	v_addc_co_u32_e32 v19, vcc, 0, v19, vcc
	v_mov_b32_e32 v22, s9
	v_mov_b32_e32 v23, s8
	buffer_store_dword v102, off, s[0:3], 0
	buffer_store_dword v102, off, s[0:3], 0 offset:4
	buffer_store_dword v102, off, s[0:3], 0 offset:8
	;; [unrolled: 1-line block ×3, first 2 shown]
	v_cndmask_b32_e64 v19, v22, v19, s[6:7]
	v_cndmask_b32_e64 v18, v23, v18, s[6:7]
	flat_load_dwordx4 v[18:21], v[18:19]
	v_add_u32_e32 v27, v103, v121
	s_waitcnt vmcnt(0) lgkmcnt(0)
	ds_write_b128 v114, v[18:21]
	v_add_co_u32_e32 v18, vcc, s45, v46
	v_mov_b32_e32 v19, s46
	v_addc_co_u32_e32 v19, vcc, v19, v47, vcc
	v_add_co_u32_e32 v18, vcc, v18, v198
	v_addc_co_u32_e32 v19, vcc, 0, v19, vcc
	v_cndmask_b32_e64 v19, v22, v19, s[58:59]
	v_cndmask_b32_e64 v18, v23, v18, s[58:59]
	flat_load_dwordx4 v[18:21], v[18:19]
	s_waitcnt vmcnt(0) lgkmcnt(0)
	ds_write_b128 v116, v[18:21]
	v_add_co_u32_e32 v18, vcc, s45, v48
	v_mov_b32_e32 v19, s46
	v_addc_co_u32_e32 v19, vcc, v19, v49, vcc
	v_add_co_u32_e32 v18, vcc, v18, v198
	v_addc_co_u32_e32 v19, vcc, 0, v19, vcc
	v_cndmask_b32_e64 v19, v22, v19, s[10:11]
	v_cndmask_b32_e64 v18, v23, v18, s[10:11]
	flat_load_dwordx4 v[18:21], v[18:19]
	;; [unrolled: 10-line block ×3, first 2 shown]
	s_and_b64 vcc, exec, s[42:43]
	s_waitcnt vmcnt(0) lgkmcnt(0)
	ds_write_b128 v120, v[18:21]
	s_waitcnt lgkmcnt(0)
	s_barrier
	ds_read2_b64 v[18:21], v27 offset1:4
	s_waitcnt lgkmcnt(0)
	v_mfma_f32_16x16x16f16 v[22:25], v[18:19], v[14:15], 0
	v_mfma_f32_16x16x16f16 v[18:21], v[20:21], v[16:17], v[22:25]
	s_nop 7
	s_nop 1
	ds_read2_b64 v[22:25], v27 offset0:8 offset1:12
	s_waitcnt lgkmcnt(0)
	v_mfma_f32_16x16x16f16 v[18:21], v[22:23], v[10:11], v[18:21]
	v_mfma_f32_16x16x16f16 v[18:21], v[24:25], v[12:13], v[18:21]
	ds_read2_b64 v[22:25], v27 offset0:16 offset1:20
	s_waitcnt lgkmcnt(0)
	v_mfma_f32_16x16x16f16 v[18:21], v[22:23], v[6:7], v[18:21]
	v_mfma_f32_16x16x16f16 v[18:21], v[24:25], v[8:9], v[18:21]
	ds_read2_b64 v[22:25], v27 offset0:24 offset1:28
	v_add_u32_e32 v27, 0x2000, v27
	s_waitcnt lgkmcnt(0)
	v_mfma_f32_16x16x16f16 v[18:21], v[22:23], v[2:3], v[18:21]
	v_mfma_f32_16x16x16f16 v[18:21], v[24:25], v[4:5], v[18:21]
	ds_read2_b64 v[22:25], v27 offset0:64 offset1:68
	s_waitcnt lgkmcnt(0)
	v_mfma_f32_16x16x16f16 v[192:195], v[22:23], v[14:15], 0
	v_mfma_f32_16x16x16f16 v[22:25], v[24:25], v[16:17], v[192:195]
	s_nop 7
	s_nop 1
	ds_read2_b64 v[192:195], v27 offset0:72 offset1:76
	s_waitcnt lgkmcnt(0)
	v_mfma_f32_16x16x16f16 v[22:25], v[192:193], v[10:11], v[22:25]
	v_mfma_f32_16x16x16f16 v[22:25], v[194:195], v[12:13], v[22:25]
	ds_read2_b64 v[192:195], v27 offset0:80 offset1:84
	s_waitcnt lgkmcnt(0)
	v_mfma_f32_16x16x16f16 v[22:25], v[192:193], v[6:7], v[22:25]
	v_mfma_f32_16x16x16f16 v[22:25], v[194:195], v[8:9], v[22:25]
	ds_read2_b64 v[192:195], v27 offset0:88 offset1:92
	s_waitcnt lgkmcnt(0)
	s_barrier
	v_mfma_f32_16x16x16f16 v[22:25], v[192:193], v[2:3], v[22:25]
	v_mfma_f32_16x16x16f16 v[22:25], v[194:195], v[4:5], v[22:25]
	s_cbranch_vccnz .LBB24_64
; %bb.63:                               ;   in Loop: Header=BB24_56 Depth=2
	v_add_u32_e32 v27, 0x4400, v123
	ds_read2_b32 v[186:187], v27 offset1:1
	ds_read_b32 v27, v125 offset:17408
	v_mov_b32_e32 v53, v52
	s_waitcnt lgkmcnt(1)
	v_cvt_f32_f16_e32 v192, v186
	v_cvt_f32_f16_sdwa v193, v186 dst_sel:DWORD dst_unused:UNUSED_PAD src0_sel:WORD_1
	v_cvt_f32_f16_e32 v186, v187
	v_cvt_f32_f16_sdwa v187, v187 dst_sel:DWORD dst_unused:UNUSED_PAD src0_sel:WORD_1
	v_pk_fma_f32 v[18:19], v[56:57], v[192:193], v[18:19]
	v_pk_fma_f32 v[20:21], v[52:53], v[186:187], v[20:21]
	s_waitcnt lgkmcnt(0)
	v_cvt_f32_f16_sdwa v187, v27 dst_sel:DWORD dst_unused:UNUSED_PAD src0_sel:WORD_1
	v_cvt_f32_f16_e32 v186, v27
	ds_read_b32 v27, v127 offset:17408
	v_pk_fma_f32 v[22:23], v[56:57], v[186:187], v[22:23]
	s_waitcnt lgkmcnt(0)
	v_cvt_f32_f16_sdwa v193, v27 dst_sel:DWORD dst_unused:UNUSED_PAD src0_sel:WORD_1
	v_cvt_f32_f16_e32 v192, v27
	v_pk_fma_f32 v[24:25], v[52:53], v[192:193], v[24:25]
.LBB24_64:                              ;   in Loop: Header=BB24_56 Depth=2
	v_add_f32_e32 v27, 0x40051340, v18
	v_max_f32_e32 v29, v202, v202
	v_max_f32_e32 v27, v29, v27
	v_cndmask_b32_e64 v27, v202, v27, s[14:15]
	v_add_f32_e32 v29, 0x40051340, v19
	v_max_f32_e32 v53, v27, v27
	v_max_f32_e32 v29, v53, v29
	v_cndmask_b32_e64 v27, v27, v29, s[16:17]
	;; [unrolled: 4-line block ×8, first 2 shown]
	ds_bpermute_b32 v29, v81, v27
	v_max_f32_e32 v27, v27, v27
	v_cndmask_b32_e64 v20, v20, v20, s[16:17]
	v_cndmask_b32_e64 v21, v21, v21, s[16:17]
	;; [unrolled: 1-line block ×3, first 2 shown]
	s_waitcnt lgkmcnt(0)
	v_max_f32_e32 v29, v29, v29
	v_max_f32_e32 v27, v27, v29
	ds_bpermute_b32 v29, v82, v27
	v_cndmask_b32_e64 v24, v24, v24, s[22:23]
	v_cndmask_b32_e64 v25, v25, v25, s[22:23]
	s_mul_hi_i32 s43, s44, s62
	s_mul_i32 s42, s44, s62
	s_waitcnt lgkmcnt(0)
	v_max_f32_e32 v29, v29, v29
	v_max_f32_e32 v29, v27, v29
	v_sub_f32_e32 v18, v18, v29
	v_mul_f32_e32 v27, 0x3fb8aa3b, v18
	v_fma_f32 v53, v18, s30, -v27
	v_rndne_f32_e32 v186, v27
	v_fmac_f32_e32 v53, 0x32a5705f, v18
	v_sub_f32_e32 v27, v27, v186
	v_add_f32_e32 v27, v27, v53
	v_exp_f32_e32 v27, v27
	v_cvt_i32_f32_e32 v53, v186
	v_cmp_ngt_f32_e32 vcc, s31, v18
	v_sub_f32_e32 v19, v19, v29
	v_sub_f32_e32 v20, v20, v29
	v_ldexp_f32 v27, v27, v53
	v_cndmask_b32_e32 v27, 0, v27, vcc
	v_cmp_nlt_f32_e32 vcc, s97, v18
	v_cndmask_b32_e32 v18, v243, v27, vcc
	v_mul_f32_e32 v27, 0x3fb8aa3b, v19
	v_fma_f32 v53, v19, s30, -v27
	v_rndne_f32_e32 v186, v27
	v_fmac_f32_e32 v53, 0x32a5705f, v19
	v_sub_f32_e32 v27, v27, v186
	v_add_f32_e32 v27, v27, v53
	v_exp_f32_e32 v27, v27
	v_cvt_i32_f32_e32 v53, v186
	v_cmp_ngt_f32_e32 vcc, s31, v19
	v_cndmask_b32_e64 v18, 0, v18, s[14:15]
	s_lshl_b64 s[42:43], s[42:43], 2
	v_ldexp_f32 v27, v27, v53
	v_cndmask_b32_e32 v27, 0, v27, vcc
	v_cmp_nlt_f32_e32 vcc, s97, v19
	v_cndmask_b32_e32 v27, v243, v27, vcc
	v_mov_b32_e32 v19, s93
	v_add_f32_e32 v53, v27, v18
	v_cndmask_b32_e64 v186, v19, v27, s[16:17]
	v_mul_f32_e32 v27, 0x3fb8aa3b, v20
	v_cndmask_b32_e64 v19, v18, v53, s[16:17]
	v_fma_f32 v53, v20, s30, -v27
	v_rndne_f32_e32 v187, v27
	v_fmac_f32_e32 v53, 0x32a5705f, v20
	v_sub_f32_e32 v27, v27, v187
	v_add_f32_e32 v27, v27, v53
	v_exp_f32_e32 v27, v27
	v_cvt_i32_f32_e32 v53, v187
	v_cmp_ngt_f32_e32 vcc, s31, v20
	v_cvt_f16_f32_e32 v18, v18
	s_add_u32 s42, s87, s42
	v_ldexp_f32 v27, v27, v53
	v_cndmask_b32_e32 v27, 0, v27, vcc
	v_cmp_nlt_f32_e32 vcc, s97, v20
	v_cndmask_b32_e32 v27, v243, v27, vcc
	v_add_f32_e32 v53, v19, v27
	v_mov_b32_e32 v20, s93
	v_cndmask_b32_e64 v187, v20, v27, s[18:19]
	v_cndmask_b32_e64 v20, v19, v53, s[18:19]
	v_sub_f32_e32 v19, v21, v29
	v_mul_f32_e32 v21, 0x3fb8aa3b, v19
	v_fma_f32 v27, v19, s30, -v21
	v_rndne_f32_e32 v53, v21
	v_fmac_f32_e32 v27, 0x32a5705f, v19
	v_sub_f32_e32 v21, v21, v53
	v_add_f32_e32 v21, v21, v27
	v_exp_f32_e32 v21, v21
	v_cvt_i32_f32_e32 v27, v53
	v_cmp_ngt_f32_e32 vcc, s31, v19
	s_addc_u32 s43, s33, s43
	v_mov_b32_e32 v193, s8
	v_ldexp_f32 v21, v21, v27
	v_cndmask_b32_e32 v21, 0, v21, vcc
	v_cmp_nlt_f32_e32 vcc, s97, v19
	v_cndmask_b32_e32 v21, v243, v21, vcc
	v_add_f32_e32 v27, v20, v21
	v_mov_b32_e32 v19, s93
	v_cndmask_b32_e64 v21, v19, v21, s[20:21]
	v_cndmask_b32_e64 v19, v20, v27, s[20:21]
	v_sub_f32_e32 v20, v22, v29
	v_mul_f32_e32 v22, 0x3fb8aa3b, v20
	v_fma_f32 v27, v20, s30, -v22
	v_rndne_f32_e32 v53, v22
	v_fmac_f32_e32 v27, 0x32a5705f, v20
	v_sub_f32_e32 v22, v22, v53
	v_add_f32_e32 v22, v22, v27
	v_exp_f32_e32 v22, v22
	v_cvt_i32_f32_e32 v27, v53
	v_cmp_ngt_f32_e32 vcc, s31, v20
	v_cvt_f16_f32_e32 v21, v21
	buffer_store_dword v102, off, s[0:3], 0
	buffer_store_dword v102, off, s[0:3], 0 offset:4
	buffer_store_dword v102, off, s[0:3], 0 offset:8
	;; [unrolled: 1-line block ×3, first 2 shown]
	v_ldexp_f32 v22, v22, v27
	v_cndmask_b32_e32 v22, 0, v22, vcc
	v_cmp_nlt_f32_e32 vcc, s97, v20
	v_cndmask_b32_e32 v22, v243, v22, vcc
	v_add_f32_e32 v27, v22, v19
	v_mov_b32_e32 v20, s93
	v_cndmask_b32_e64 v22, v20, v22, s[22:23]
	v_cndmask_b32_e64 v20, v19, v27, s[22:23]
	v_sub_f32_e32 v19, v23, v29
	v_mul_f32_e32 v23, 0x3fb8aa3b, v19
	v_fma_f32 v27, v19, s30, -v23
	v_rndne_f32_e32 v53, v23
	v_fmac_f32_e32 v27, 0x32a5705f, v19
	v_sub_f32_e32 v23, v23, v53
	v_add_f32_e32 v23, v23, v27
	v_exp_f32_e32 v23, v23
	v_cvt_i32_f32_e32 v27, v53
	v_cmp_ngt_f32_e32 vcc, s31, v19
	s_add_i32 s48, s48, 1
	s_add_i32 s44, s44, 64
	v_ldexp_f32 v23, v23, v27
	v_cndmask_b32_e32 v23, 0, v23, vcc
	v_cmp_nlt_f32_e32 vcc, s97, v19
	v_cndmask_b32_e32 v23, v243, v23, vcc
	v_add_f32_e32 v27, v23, v20
	v_mov_b32_e32 v19, s93
	v_cndmask_b32_e64 v23, v19, v23, s[24:25]
	v_cndmask_b32_e64 v19, v20, v27, s[24:25]
	v_sub_f32_e32 v20, v24, v29
	v_mul_f32_e32 v24, 0x3fb8aa3b, v20
	v_fma_f32 v27, v20, s30, -v24
	v_rndne_f32_e32 v53, v24
	v_fmac_f32_e32 v27, 0x32a5705f, v20
	v_sub_f32_e32 v24, v24, v53
	v_add_f32_e32 v24, v24, v27
	v_exp_f32_e32 v24, v24
	v_cvt_i32_f32_e32 v27, v53
	v_cmp_ngt_f32_e32 vcc, s31, v20
	s_cmp_lt_i32 s48, s49
	v_ldexp_f32 v24, v24, v27
	v_cndmask_b32_e32 v24, 0, v24, vcc
	v_cmp_nlt_f32_e32 vcc, s97, v20
	v_cndmask_b32_e32 v24, v243, v24, vcc
	v_add_f32_e32 v27, v24, v19
	v_mov_b32_e32 v20, s93
	v_cndmask_b32_e64 v24, v20, v24, s[26:27]
	v_cndmask_b32_e64 v20, v19, v27, s[26:27]
	v_sub_f32_e32 v19, v25, v29
	v_mul_f32_e32 v25, 0x3fb8aa3b, v19
	v_fma_f32 v27, v19, s30, -v25
	v_rndne_f32_e32 v53, v25
	v_fmac_f32_e32 v27, 0x32a5705f, v19
	v_sub_f32_e32 v25, v25, v53
	v_add_f32_e32 v25, v25, v27
	v_exp_f32_e32 v25, v25
	v_cvt_i32_f32_e32 v27, v53
	v_cmp_ngt_f32_e32 vcc, s31, v19
	v_ldexp_f32 v25, v25, v27
	v_cndmask_b32_e32 v25, 0, v25, vcc
	v_cmp_nlt_f32_e32 vcc, s97, v19
	v_cndmask_b32_e32 v25, v243, v25, vcc
	v_add_f32_e32 v27, v25, v20
	v_mov_b32_e32 v19, s93
	v_cndmask_b32_e64 v27, v20, v27, s[28:29]
	v_sub_f32_e32 v20, v202, v29
	v_cndmask_b32_e64 v19, v19, v25, s[28:29]
	v_mul_f32_e32 v25, 0x3fb8aa3b, v20
	v_fma_f32 v53, v20, s30, -v25
	v_rndne_f32_e32 v192, v25
	v_fmac_f32_e32 v53, 0x32a5705f, v20
	v_sub_f32_e32 v25, v25, v192
	v_add_f32_e32 v25, v25, v53
	v_exp_f32_e32 v25, v25
	v_cvt_i32_f32_e32 v53, v192
	v_cmp_ngt_f32_e32 vcc, s31, v20
	v_cvt_f16_f32_e32 v19, v19
	v_mov_b32_e32 v192, s9
	v_ldexp_f32 v25, v25, v53
	v_cndmask_b32_e32 v25, 0, v25, vcc
	v_cmp_nlt_f32_e32 vcc, s97, v20
	v_cndmask_b32_e32 v25, v243, v25, vcc
	v_cmp_le_f32_e32 vcc, s84, v20
	v_cndmask_b32_e32 v20, 0, v25, vcc
	v_fmac_f32_e32 v27, v201, v20
	v_cvt_f16_f32_e32 v20, v20
	v_pk_mul_f16 v84, v20, v84 op_sel_hi:[0,1]
	v_pk_mul_f16 v83, v20, v83 op_sel_hi:[0,1]
	;; [unrolled: 1-line block ×16, first 2 shown]
	v_cvt_f16_f32_e32 v20, v186
	v_pack_b32_f16 v20, v18, v20
	v_cvt_f16_f32_e32 v18, v187
	v_pack_b32_f16 v21, v18, v21
	v_cvt_f16_f32_e32 v18, v22
	v_cvt_f16_f32_e32 v22, v23
	v_mov_b32_e32 v23, s43
	v_pack_b32_f16 v18, v18, v22
	v_cvt_f16_f32_e32 v22, v24
	v_pack_b32_f16 v19, v22, v19
	v_add_co_u32_e32 v22, vcc, s42, v36
	v_addc_co_u32_e32 v23, vcc, v23, v37, vcc
	v_add_co_u32_e32 v22, vcc, v22, v198
	v_addc_co_u32_e32 v23, vcc, 0, v23, vcc
	v_cndmask_b32_e64 v187, v192, v23, s[6:7]
	v_cndmask_b32_e64 v186, v193, v22, s[6:7]
	v_add_co_u32_e32 v22, vcc, s42, v38
	v_mov_b32_e32 v23, s43
	v_addc_co_u32_e32 v23, vcc, v23, v39, vcc
	v_add_co_u32_e32 v22, vcc, v22, v198
	v_addc_co_u32_e32 v23, vcc, 0, v23, vcc
	v_cndmask_b32_e64 v223, v192, v23, s[58:59]
	v_cndmask_b32_e64 v222, v193, v22, s[58:59]
	v_add_co_u32_e32 v22, vcc, s42, v40
	v_mov_b32_e32 v23, s43
	;; [unrolled: 7-line block ×3, first 2 shown]
	v_addc_co_u32_e32 v23, vcc, v23, v43, vcc
	v_add_co_u32_e32 v22, vcc, v22, v198
	v_addc_co_u32_e32 v23, vcc, 0, v23, vcc
	v_cndmask_b32_e64 v23, v192, v23, s[12:13]
	v_cndmask_b32_e64 v22, v193, v22, s[12:13]
	flat_load_dwordx4 v[192:195], v[186:187]
	s_waitcnt vmcnt(0) lgkmcnt(0)
	ds_write_b128 v114, v[192:195]
	flat_load_dwordx4 v[192:195], v[222:223]
	s_waitcnt vmcnt(0) lgkmcnt(0)
	ds_write_b128 v116, v[192:195]
	flat_load_dwordx4 v[192:195], v[24:25]
	s_waitcnt vmcnt(0) lgkmcnt(0)
	ds_write_b128 v118, v[192:195]
	flat_load_dwordx4 v[22:25], v[22:23]
	s_waitcnt vmcnt(0) lgkmcnt(0)
	ds_write_b128 v120, v[22:25]
	s_waitcnt lgkmcnt(0)
	s_barrier
	ds_read_u16 v186, v129 offset:272
	ds_read_u16 v187, v129 offset:544
	v_cvt_f32_f16_e32 v24, v83
	v_cvt_f32_f16_sdwa v25, v83 dst_sel:DWORD dst_unused:UNUSED_PAD src0_sel:WORD_1
	ds_read_u16 v83, v130
	ds_read_u16 v192, v130 offset:32
	v_cvt_f32_f16_e32 v22, v84
	v_cvt_f32_f16_sdwa v23, v84 dst_sel:DWORD dst_unused:UNUSED_PAD src0_sel:WORD_1
	s_waitcnt lgkmcnt(1)
	v_perm_b32 v187, v83, v187, s85
	ds_read_u16 v83, v128
	ds_read_u16 v193, v128 offset:32
	s_waitcnt lgkmcnt(1)
	v_perm_b32 v186, v186, v83, s85
	s_nop 1
	v_mfma_f32_16x16x16f16 v[22:25], v[186:187], v[20:21], v[22:25]
	ds_read_u16 v83, v128 offset:8704
	ds_read_u16 v84, v131 offset:272
	;; [unrolled: 1-line block ×4, first 2 shown]
	s_waitcnt lgkmcnt(0)
	v_perm_b32 v187, v187, v186, s85
	v_perm_b32 v186, v84, v83, s85
	s_nop 3
	v_cvt_f16_f32_e32 v22, v22
	v_cvt_f16_f32_e32 v23, v23
	;; [unrolled: 1-line block ×4, first 2 shown]
	v_cvt_f32_f16_e32 v22, v22
	v_cvt_f32_f16_e32 v23, v23
	;; [unrolled: 1-line block ×4, first 2 shown]
	s_nop 1
	v_mfma_f32_16x16x16f16 v[22:25], v[186:187], v[18:19], v[22:25]
	ds_read_u16 v186, v132 offset:272
	ds_read_u16 v187, v132 offset:544
	s_waitcnt lgkmcnt(1)
	v_perm_b32 v186, v186, v193, s85
	s_waitcnt lgkmcnt(0)
	v_perm_b32 v187, v192, v187, s85
	s_nop 4
	v_cvt_f16_f32_e32 v22, v22
	v_cvt_f16_f32_e32 v23, v23
	;; [unrolled: 1-line block ×4, first 2 shown]
	v_pack_b32_f16 v84, v22, v23
	v_cvt_f32_f16_e32 v22, v86
	v_pack_b32_f16 v83, v24, v25
	v_cvt_f32_f16_sdwa v23, v86 dst_sel:DWORD dst_unused:UNUSED_PAD src0_sel:WORD_1
	v_cvt_f32_f16_e32 v24, v85
	v_cvt_f32_f16_sdwa v25, v85 dst_sel:DWORD dst_unused:UNUSED_PAD src0_sel:WORD_1
	s_nop 1
	v_mfma_f32_16x16x16f16 v[22:25], v[186:187], v[20:21], v[22:25]
	ds_read_u16 v85, v133 offset:8704
	ds_read_u16 v86, v134 offset:272
	;; [unrolled: 1-line block ×4, first 2 shown]
	s_waitcnt lgkmcnt(0)
	v_perm_b32 v187, v187, v186, s85
	v_perm_b32 v186, v86, v85, s85
	s_nop 3
	v_cvt_f16_f32_e32 v22, v22
	v_cvt_f16_f32_e32 v23, v23
	;; [unrolled: 1-line block ×4, first 2 shown]
	v_cvt_f32_f16_e32 v22, v22
	v_cvt_f32_f16_e32 v23, v23
	;; [unrolled: 1-line block ×4, first 2 shown]
	s_nop 1
	v_mfma_f32_16x16x16f16 v[22:25], v[186:187], v[18:19], v[22:25]
	ds_read_u16 v186, v128 offset:64
	ds_read_u16 v192, v137 offset:272
	;; [unrolled: 1-line block ×4, first 2 shown]
	s_waitcnt lgkmcnt(2)
	v_perm_b32 v186, v192, v186, s85
	s_waitcnt lgkmcnt(0)
	v_perm_b32 v187, v193, v187, s85
	s_nop 2
	v_cvt_f16_f32_e32 v22, v22
	v_cvt_f16_f32_e32 v23, v23
	;; [unrolled: 1-line block ×4, first 2 shown]
	v_pack_b32_f16 v86, v22, v23
	v_cvt_f32_f16_e32 v22, v88
	v_pack_b32_f16 v85, v24, v25
	v_cvt_f32_f16_sdwa v23, v88 dst_sel:DWORD dst_unused:UNUSED_PAD src0_sel:WORD_1
	v_cvt_f32_f16_e32 v24, v87
	v_cvt_f32_f16_sdwa v25, v87 dst_sel:DWORD dst_unused:UNUSED_PAD src0_sel:WORD_1
	s_nop 1
	v_mfma_f32_16x16x16f16 v[22:25], v[186:187], v[20:21], v[22:25]
	ds_read_u16 v87, v138 offset:8704
	ds_read_u16 v88, v139 offset:272
	;; [unrolled: 1-line block ×4, first 2 shown]
	s_waitcnt lgkmcnt(0)
	v_perm_b32 v187, v187, v186, s85
	v_perm_b32 v186, v88, v87, s85
	s_nop 3
	v_cvt_f16_f32_e32 v22, v22
	v_cvt_f16_f32_e32 v23, v23
	v_cvt_f16_f32_e32 v24, v24
	v_cvt_f16_f32_e32 v25, v25
	v_cvt_f32_f16_e32 v22, v22
	v_cvt_f32_f16_e32 v23, v23
	v_cvt_f32_f16_e32 v24, v24
	v_cvt_f32_f16_e32 v25, v25
	s_nop 1
	v_mfma_f32_16x16x16f16 v[22:25], v[186:187], v[18:19], v[22:25]
	ds_read_u16 v186, v128 offset:96
	ds_read_u16 v192, v142 offset:272
	ds_read_u16 v187, v142 offset:544
	ds_read_u16 v193, v130 offset:96
	s_waitcnt lgkmcnt(2)
	v_perm_b32 v186, v192, v186, s85
	s_waitcnt lgkmcnt(0)
	v_perm_b32 v187, v193, v187, s85
	s_nop 2
	v_cvt_f16_f32_e32 v22, v22
	v_cvt_f16_f32_e32 v23, v23
	v_cvt_f16_f32_e32 v24, v24
	v_cvt_f16_f32_e32 v25, v25
	v_pack_b32_f16 v88, v22, v23
	v_cvt_f32_f16_e32 v22, v216
	v_pack_b32_f16 v87, v24, v25
	v_cvt_f32_f16_sdwa v23, v216 dst_sel:DWORD dst_unused:UNUSED_PAD src0_sel:WORD_1
	v_cvt_f32_f16_e32 v24, v89
	v_cvt_f32_f16_sdwa v25, v89 dst_sel:DWORD dst_unused:UNUSED_PAD src0_sel:WORD_1
	s_nop 1
	v_mfma_f32_16x16x16f16 v[22:25], v[186:187], v[20:21], v[22:25]
	ds_read_u16 v89, v143 offset:8704
	ds_read_u16 v186, v144 offset:272
	ds_read_u16 v187, v145 offset:544
	ds_read_u16 v192, v146 offset:8704
	s_waitcnt lgkmcnt(2)
	v_perm_b32 v186, v186, v89, s85
	s_waitcnt lgkmcnt(0)
	v_perm_b32 v187, v192, v187, s85
	s_nop 2
	v_cvt_f16_f32_e32 v22, v22
	v_cvt_f16_f32_e32 v23, v23
	v_cvt_f16_f32_e32 v24, v24
	v_cvt_f16_f32_e32 v25, v25
	v_cvt_f32_f16_e32 v22, v22
	v_cvt_f32_f16_e32 v23, v23
	v_cvt_f32_f16_e32 v24, v24
	v_cvt_f32_f16_e32 v25, v25
	s_nop 1
	v_mfma_f32_16x16x16f16 v[22:25], v[186:187], v[18:19], v[22:25]
	ds_read_u16 v186, v128 offset:128
	ds_read_u16 v192, v147 offset:272
	ds_read_u16 v187, v147 offset:544
	ds_read_u16 v193, v130 offset:128
	s_waitcnt lgkmcnt(2)
	v_perm_b32 v186, v192, v186, s85
	s_waitcnt lgkmcnt(0)
	v_perm_b32 v187, v193, v187, s85
	s_nop 2
	v_cvt_f16_f32_e32 v22, v22
	v_cvt_f16_f32_e32 v23, v23
	v_cvt_f16_f32_e32 v24, v24
	v_cvt_f16_f32_e32 v25, v25
	v_pack_b32_f16 v216, v22, v23
	v_cvt_f32_f16_e32 v22, v214
	v_pack_b32_f16 v89, v24, v25
	v_cvt_f32_f16_sdwa v23, v214 dst_sel:DWORD dst_unused:UNUSED_PAD src0_sel:WORD_1
	v_cvt_f32_f16_e32 v24, v213
	v_cvt_f32_f16_sdwa v25, v213 dst_sel:DWORD dst_unused:UNUSED_PAD src0_sel:WORD_1
	s_nop 1
	v_mfma_f32_16x16x16f16 v[22:25], v[186:187], v[20:21], v[22:25]
	ds_read_u16 v186, v148 offset:8704
	ds_read_u16 v192, v149 offset:272
	ds_read_u16 v187, v150 offset:544
	ds_read_u16 v193, v151 offset:8704
	s_waitcnt lgkmcnt(2)
	v_perm_b32 v186, v192, v186, s85
	s_waitcnt lgkmcnt(0)
	;; [unrolled: 40-line block ×4, first 2 shown]
	v_perm_b32 v187, v193, v187, s85
	s_nop 2
	v_cvt_f16_f32_e32 v22, v22
	v_cvt_f16_f32_e32 v23, v23
	;; [unrolled: 1-line block ×4, first 2 shown]
	v_cvt_f32_f16_e32 v22, v22
	v_cvt_f32_f16_e32 v23, v23
	;; [unrolled: 1-line block ×4, first 2 shown]
	s_nop 1
	v_mfma_f32_16x16x16f16 v[22:25], v[186:187], v[18:19], v[22:25]
	ds_read_u16 v186, v128 offset:224
	ds_read_u16 v192, v162 offset:272
	;; [unrolled: 1-line block ×4, first 2 shown]
	s_waitcnt lgkmcnt(2)
	v_perm_b32 v186, v192, v186, s85
	s_waitcnt lgkmcnt(0)
	v_perm_b32 v187, v193, v187, s85
	s_nop 2
	v_cvt_f16_f32_e32 v22, v22
	v_cvt_f16_f32_e32 v23, v23
	;; [unrolled: 1-line block ×4, first 2 shown]
	v_pack_b32_f16 v208, v22, v23
	v_cvt_f32_f16_e32 v22, v204
	v_pack_b32_f16 v207, v24, v25
	v_cvt_f32_f16_sdwa v23, v204 dst_sel:DWORD dst_unused:UNUSED_PAD src0_sel:WORD_1
	v_cvt_f32_f16_e32 v24, v53
	v_cvt_f32_f16_sdwa v25, v53 dst_sel:DWORD dst_unused:UNUSED_PAD src0_sel:WORD_1
	s_nop 1
	v_mfma_f32_16x16x16f16 v[20:23], v[186:187], v[20:21], v[22:25]
	s_nop 6
	ds_read_u16 v24, v163 offset:8704
	ds_read_u16 v53, v164 offset:272
	;; [unrolled: 1-line block ×4, first 2 shown]
	s_waitcnt lgkmcnt(0)
	s_barrier
	v_perm_b32 v24, v53, v24, s85
	v_perm_b32 v25, v186, v25, s85
	v_cvt_f16_f32_e32 v20, v20
	v_cvt_f16_f32_e32 v21, v21
	;; [unrolled: 1-line block ×4, first 2 shown]
	v_cvt_f32_f16_e32 v20, v20
	v_cvt_f32_f16_e32 v21, v21
	;; [unrolled: 1-line block ×4, first 2 shown]
	s_nop 1
	v_mfma_f32_16x16x16f16 v[18:21], v[24:25], v[18:19], v[20:23]
	s_nop 7
	s_nop 2
	v_cvt_f16_f32_e32 v18, v18
	v_cvt_f16_f32_e32 v19, v19
	;; [unrolled: 1-line block ×4, first 2 shown]
	v_pack_b32_f16 v204, v18, v19
	v_pack_b32_f16 v217, v20, v21
	s_cbranch_scc0 .LBB24_68
; %bb.65:                               ;   in Loop: Header=BB24_56 Depth=2
	v_mov_b32_e32 v201, v27
	v_mov_b32_e32 v202, v29
	s_branch .LBB24_56
.LBB24_66:                              ;   in Loop: Header=BB24_14 Depth=1
	s_cbranch_execz .LBB24_13
	s_branch .LBB24_171
.LBB24_67:                              ;   in Loop: Header=BB24_14 Depth=1
	v_mov_b32_e32 v27, 0
	v_mov_b32_e32 v29, 0xfeffffff
	;; [unrolled: 1-line block ×17, first 2 shown]
.LBB24_68:                              ;   in Loop: Header=BB24_14 Depth=1
	s_lshl_b32 s50, s48, 6
	v_readlane_b32 s40, v254, 4
	v_cmp_eq_u64_e32 vcc, 0, v[54:55]
	s_sub_i32 s60, s40, s50
	v_cmp_ne_u64_e64 s[48:49], 0, v[54:55]
	s_ashr_i32 s51, s50, 31
	v_readlane_b32 s41, v254, 5
	s_cbranch_vccnz .LBB24_78
; %bb.69:                               ;   in Loop: Header=BB24_14 Depth=1
	v_cmp_le_i32_e32 vcc, s60, v26
                                        ; implicit-def: $sgpr44
	s_and_saveexec_b64 s[40:41], vcc
	s_xor_b64 s[40:41], exec, s[40:41]
	s_cbranch_execz .LBB24_71
; %bb.70:                               ;   in Loop: Header=BB24_14 Depth=1
	ds_write_b16 v105, v102 offset:17408
	ds_write_b16 v106, v102 offset:17408
	s_mov_b32 s44, 0
                                        ; implicit-def: $vgpr35
                                        ; implicit-def: $vgpr76
                                        ; implicit-def: $vgpr78
                                        ; implicit-def: $vgpr75
.LBB24_71:                              ;   in Loop: Header=BB24_14 Depth=1
	s_or_saveexec_b64 s[42:43], s[40:41]
	s_lshl_b64 s[40:41], s[50:51], 1
	v_mov_b32_e32 v18, s41
	v_add_co_u32_e64 v19, s[40:41], s40, v54
	v_addc_co_u32_e64 v20, s[40:41], v55, v18, s[40:41]
	v_lshlrev_b32_e32 v18, 1, v26
	v_add_co_u32_e64 v18, s[40:41], v19, v18
	v_addc_co_u32_e64 v19, s[40:41], 0, v20, s[40:41]
	v_mov_b32_e32 v20, s44
	v_mov_b32_e32 v21, s44
	s_xor_b64 exec, exec, s[42:43]
	s_cbranch_execz .LBB24_73
; %bb.72:                               ;   in Loop: Header=BB24_14 Depth=1
	v_mul_hi_u32 v20, s94, v35
	v_add_u32_e32 v20, v35, v20
	v_lshrrev_b32_e32 v20, s95, v20
	v_mul_lo_u32 v20, v20, s80
	v_readlane_b32 s40, v254, 60
	v_sub_u32_e32 v20, v35, v20
	v_readlane_b32 s41, v254, 61
	s_mov_b32 s44, s40
	v_mad_i64_i32 v[20:21], s[40:41], v20, s44, 0
	v_lshlrev_b64 v[20:21], 1, v[20:21]
	v_add_co_u32_e64 v20, s[40:41], v18, v20
	v_addc_co_u32_e64 v21, s[40:41], v19, v21, s[40:41]
	flat_load_ushort v22, v[20:21]
	v_mul_hi_u32 v20, s94, v76
	v_add_u32_e32 v20, v76, v20
	v_lshrrev_b32_e32 v20, s95, v20
	v_mul_lo_u32 v20, v20, s80
	v_sub_u32_e32 v20, v76, v20
	v_mad_i64_i32 v[20:21], s[40:41], v20, s44, 0
	v_lshlrev_b64 v[20:21], 1, v[20:21]
	v_add_co_u32_e64 v20, s[40:41], v18, v20
	v_addc_co_u32_e64 v21, s[40:41], v19, v21, s[40:41]
	flat_load_ushort v20, v[20:21]
	s_waitcnt vmcnt(0) lgkmcnt(0)
	ds_write_b16 v105, v22 offset:17408
	ds_write_b16 v106, v20 offset:17408
	v_mul_hi_u32 v20, s94, v78
	v_add_u32_e32 v20, v78, v20
	v_lshrrev_b32_e32 v20, s95, v20
	v_mul_lo_u32 v20, v20, s80
	v_sub_u32_e32 v20, v78, v20
	v_mad_i64_i32 v[20:21], s[40:41], v20, s44, 0
	v_lshlrev_b64 v[20:21], 1, v[20:21]
	v_add_co_u32_e64 v20, s[40:41], v18, v20
	v_addc_co_u32_e64 v21, s[40:41], v19, v21, s[40:41]
	flat_load_ushort v20, v[20:21]
	v_mul_hi_u32 v21, s94, v75
	v_add_u32_e32 v21, v75, v21
	v_lshrrev_b32_e32 v21, s95, v21
	v_mul_lo_u32 v21, v21, s80
	v_sub_u32_e32 v21, v75, v21
	v_mad_i64_i32 v[22:23], s[40:41], v21, s44, 0
	v_lshlrev_b64 v[22:23], 1, v[22:23]
	v_add_co_u32_e64 v22, s[40:41], v18, v22
	v_addc_co_u32_e64 v23, s[40:41], v19, v23, s[40:41]
	flat_load_ushort v21, v[22:23]
.LBB24_73:                              ;   in Loop: Header=BB24_14 Depth=1
	s_or_b64 exec, exec, s[42:43]
	s_waitcnt vmcnt(0) lgkmcnt(0)
	ds_write_b16 v107, v20 offset:17408
	ds_write_b16 v108, v21 offset:17408
                                        ; implicit-def: $sgpr42
	s_and_saveexec_b64 s[40:41], vcc
	s_xor_b64 s[40:41], exec, s[40:41]
	s_cbranch_execz .LBB24_75
; %bb.74:                               ;   in Loop: Header=BB24_14 Depth=1
	ds_write_b16 v109, v102 offset:17408
	ds_write_b16 v110, v102 offset:17408
	s_mov_b32 s42, 0
                                        ; implicit-def: $vgpr1
                                        ; implicit-def: $vgpr18
                                        ; implicit-def: $vgpr19
                                        ; implicit-def: $vgpr31
                                        ; implicit-def: $vgpr74
                                        ; implicit-def: $vgpr77
.LBB24_75:                              ;   in Loop: Header=BB24_14 Depth=1
	s_or_saveexec_b64 s[40:41], s[40:41]
	v_mov_b32_e32 v20, s42
	v_mov_b32_e32 v21, s42
	s_xor_b64 exec, exec, s[40:41]
	s_cbranch_execz .LBB24_77
; %bb.76:                               ;   in Loop: Header=BB24_14 Depth=1
	v_mul_hi_u32 v20, s94, v1
	v_add_u32_e32 v20, v1, v20
	v_lshrrev_b32_e32 v20, s95, v20
	v_mul_lo_u32 v20, v20, s80
	v_readlane_b32 s42, v254, 60
	v_sub_u32_e32 v1, v1, v20
	v_readlane_b32 s43, v254, 61
	s_mov_b32 s44, s42
	v_mad_i64_i32 v[20:21], s[42:43], v1, s44, 0
	v_lshlrev_b64 v[20:21], 1, v[20:21]
	v_add_co_u32_e32 v20, vcc, v18, v20
	v_addc_co_u32_e32 v21, vcc, v19, v21, vcc
	flat_load_ushort v1, v[20:21]
	v_mul_hi_u32 v20, s94, v31
	v_add_u32_e32 v20, v31, v20
	v_lshrrev_b32_e32 v20, s95, v20
	v_mul_lo_u32 v20, v20, s80
	v_sub_u32_e32 v20, v31, v20
	v_mad_i64_i32 v[20:21], s[42:43], v20, s44, 0
	v_lshlrev_b64 v[20:21], 1, v[20:21]
	v_add_co_u32_e32 v20, vcc, v18, v20
	v_addc_co_u32_e32 v21, vcc, v19, v21, vcc
	flat_load_ushort v20, v[20:21]
	s_waitcnt vmcnt(0) lgkmcnt(0)
	ds_write_b16 v109, v1 offset:17408
	ds_write_b16 v110, v20 offset:17408
	v_mul_hi_u32 v1, s94, v74
	v_add_u32_e32 v1, v74, v1
	v_lshrrev_b32_e32 v1, s95, v1
	v_mul_lo_u32 v1, v1, s80
	v_sub_u32_e32 v1, v74, v1
	v_mad_i64_i32 v[20:21], s[42:43], v1, s44, 0
	v_mul_hi_u32 v1, s94, v77
	v_add_u32_e32 v1, v77, v1
	v_lshrrev_b32_e32 v1, s95, v1
	v_mul_lo_u32 v1, v1, s80
	v_lshlrev_b64 v[20:21], 1, v[20:21]
	v_sub_u32_e32 v1, v77, v1
	v_add_co_u32_e32 v20, vcc, v18, v20
	v_mad_i64_i32 v[22:23], s[42:43], v1, s44, 0
	v_addc_co_u32_e32 v21, vcc, v19, v21, vcc
	v_lshlrev_b64 v[22:23], 1, v[22:23]
	v_add_co_u32_e32 v18, vcc, v18, v22
	v_addc_co_u32_e32 v19, vcc, v19, v23, vcc
	flat_load_ushort v20, v[20:21]
	s_nop 0
	flat_load_ushort v21, v[18:19]
.LBB24_77:                              ;   in Loop: Header=BB24_14 Depth=1
	s_or_b64 exec, exec, s[40:41]
	s_waitcnt vmcnt(0) lgkmcnt(0)
	ds_write_b16 v111, v20 offset:17408
	ds_write_b16 v112, v21 offset:17408
.LBB24_78:                              ;   in Loop: Header=BB24_14 Depth=1
	s_mul_hi_i32 s41, s50, s82
	s_mul_i32 s40, s50, s82
	s_lshl_b64 s[40:41], s[40:41], 2
	s_add_u32 s42, s38, s40
	s_addc_u32 s43, s37, s41
	v_mov_b32_e32 v1, s43
	v_add_co_u32_e32 v19, vcc, s42, v44
	v_addc_co_u32_e32 v1, vcc, v1, v45, vcc
	v_lshlrev_b32_e32 v18, 2, v30
	v_add_co_u32_e32 v19, vcc, v19, v18
	v_addc_co_u32_e32 v1, vcc, 0, v1, vcc
	v_mov_b32_e32 v31, s9
	v_cmp_gt_i32_e64 s[46:47], s60, v113
	v_cndmask_b32_e64 v21, v31, v1, s[46:47]
	v_mov_b32_e32 v1, s8
	buffer_store_dword v102, off, s[0:3], 0
	buffer_store_dword v102, off, s[0:3], 0 offset:4
	buffer_store_dword v102, off, s[0:3], 0 offset:8
	;; [unrolled: 1-line block ×3, first 2 shown]
	v_cndmask_b32_e64 v20, v1, v19, s[46:47]
	flat_load_dwordx4 v[20:23], v[20:21]
	v_mov_b32_e32 v19, s43
	v_add_co_u32_e32 v24, vcc, s42, v46
	v_addc_co_u32_e32 v19, vcc, v19, v47, vcc
	v_add_co_u32_e32 v24, vcc, v24, v18
	v_addc_co_u32_e32 v19, vcc, 0, v19, vcc
	v_cmp_gt_i32_e64 s[44:45], s60, v115
	v_cndmask_b32_e64 v25, v31, v19, s[44:45]
	v_cndmask_b32_e64 v24, v1, v24, s[44:45]
	v_mov_b32_e32 v19, s43
	v_cmp_gt_i32_e64 s[40:41], s60, v117
	s_waitcnt vmcnt(0) lgkmcnt(0)
	ds_write_b128 v114, v[20:23]
	flat_load_dwordx4 v[20:23], v[24:25]
	v_add_co_u32_e32 v24, vcc, s42, v48
	v_addc_co_u32_e32 v19, vcc, v19, v49, vcc
	v_add_co_u32_e32 v24, vcc, v24, v18
	v_addc_co_u32_e32 v19, vcc, 0, v19, vcc
	v_cndmask_b32_e64 v25, v31, v19, s[40:41]
	v_cndmask_b32_e64 v24, v1, v24, s[40:41]
	v_mov_b32_e32 v19, s43
	s_waitcnt vmcnt(0) lgkmcnt(0)
	ds_write_b128 v116, v[20:23]
	flat_load_dwordx4 v[20:23], v[24:25]
	v_add_co_u32_e32 v24, vcc, s42, v50
	v_addc_co_u32_e32 v19, vcc, v19, v51, vcc
	v_add_co_u32_e32 v24, vcc, v24, v18
	v_addc_co_u32_e32 v19, vcc, 0, v19, vcc
	v_cmp_gt_i32_e64 s[42:43], s60, v119
	v_cndmask_b32_e64 v25, v31, v19, s[42:43]
	v_cndmask_b32_e64 v24, v1, v24, s[42:43]
	v_add_u32_e32 v1, v103, v121
	v_add_u32_e32 v19, 0x2000, v1
	s_andn2_b64 vcc, exec, s[48:49]
	s_waitcnt vmcnt(0) lgkmcnt(0)
	ds_write_b128 v118, v[20:23]
	flat_load_dwordx4 v[20:23], v[24:25]
	s_waitcnt vmcnt(0) lgkmcnt(0)
	ds_write_b128 v120, v[20:23]
	s_waitcnt lgkmcnt(0)
	s_barrier
	ds_read2_b64 v[20:23], v1 offset1:4
	ds_read2_b64 v[60:63], v19 offset0:64 offset1:68
	s_waitcnt lgkmcnt(1)
	v_mfma_f32_16x16x16f16 v[56:59], v[20:21], v[14:15], 0
	s_waitcnt lgkmcnt(0)
	v_mfma_f32_16x16x16f16 v[64:67], v[60:61], v[14:15], 0
	v_mfma_f32_16x16x16f16 v[20:23], v[22:23], v[16:17], v[56:59]
	v_mfma_f32_16x16x16f16 v[14:17], v[62:63], v[16:17], v[64:67]
	s_nop 6
	ds_read2_b64 v[56:59], v1 offset0:8 offset1:12
	ds_read2_b64 v[60:63], v19 offset0:72 offset1:76
	s_waitcnt lgkmcnt(1)
	v_mfma_f32_16x16x16f16 v[20:23], v[56:57], v[10:11], v[20:23]
	s_waitcnt lgkmcnt(0)
	v_mfma_f32_16x16x16f16 v[14:17], v[60:61], v[10:11], v[14:17]
	v_mfma_f32_16x16x16f16 v[20:23], v[58:59], v[12:13], v[20:23]
	ds_read2_b64 v[56:59], v19 offset0:80 offset1:84
	v_mfma_f32_16x16x16f16 v[10:13], v[62:63], v[12:13], v[14:17]
	s_nop 7
	ds_read2_b64 v[14:17], v1 offset0:16 offset1:20
	s_waitcnt lgkmcnt(0)
	v_mfma_f32_16x16x16f16 v[20:23], v[14:15], v[6:7], v[20:23]
	v_mfma_f32_16x16x16f16 v[10:13], v[56:57], v[6:7], v[10:13]
	;; [unrolled: 1-line block ×4, first 2 shown]
	s_nop 7
	ds_read2_b64 v[20:23], v19 offset0:88 offset1:92
	ds_read2_b64 v[10:13], v1 offset0:24 offset1:28
	s_waitcnt lgkmcnt(0)
	v_mfma_f32_16x16x16f16 v[14:17], v[10:11], v[2:3], v[14:17]
	s_barrier
	v_mfma_f32_16x16x16f16 v[56:59], v[20:21], v[2:3], v[6:9]
	v_mfma_f32_16x16x16f16 v[6:9], v[12:13], v[4:5], v[14:17]
	;; [unrolled: 1-line block ×3, first 2 shown]
	s_cbranch_vccnz .LBB24_80
; %bb.79:                               ;   in Loop: Header=BB24_14 Depth=1
	v_add_u32_e32 v1, 0x4400, v123
	ds_read2_b32 v[10:11], v1 offset1:1
	ds_read_b32 v1, v125 offset:17408
	s_waitcnt lgkmcnt(1)
	v_cvt_f32_f16_e32 v12, v10
	v_cvt_f32_f16_sdwa v13, v10 dst_sel:DWORD dst_unused:UNUSED_PAD src0_sel:WORD_1
	v_cvt_f32_f16_e32 v10, v11
	v_cvt_f32_f16_sdwa v11, v11 dst_sel:DWORD dst_unused:UNUSED_PAD src0_sel:WORD_1
	s_nop 0
	v_pk_fma_f32 v[6:7], v[52:53], v[12:13], v[6:7] op_sel_hi:[0,1,1]
	v_pk_fma_f32 v[8:9], v[52:53], v[10:11], v[8:9] op_sel_hi:[0,1,1]
	s_waitcnt lgkmcnt(0)
	v_cvt_f32_f16_sdwa v11, v1 dst_sel:DWORD dst_unused:UNUSED_PAD src0_sel:WORD_1
	v_cvt_f32_f16_e32 v10, v1
	ds_read_b32 v1, v127 offset:17408
	v_pk_fma_f32 v[2:3], v[52:53], v[10:11], v[2:3] op_sel_hi:[0,1,1]
	s_waitcnt lgkmcnt(0)
	v_cvt_f32_f16_sdwa v13, v1 dst_sel:DWORD dst_unused:UNUSED_PAD src0_sel:WORD_1
	v_cvt_f32_f16_e32 v12, v1
	v_pk_fma_f32 v[4:5], v[52:53], v[12:13], v[4:5] op_sel_hi:[0,1,1]
.LBB24_80:                              ;   in Loop: Header=BB24_14 Depth=1
	s_mul_hi_i32 s49, s50, s62
	s_mul_i32 s48, s50, s62
	s_lshl_b64 s[48:49], s[48:49], 2
	s_add_u32 s48, s87, s48
	s_addc_u32 s49, s33, s49
	v_mov_b32_e32 v1, s49
	v_add_co_u32_e32 v10, vcc, s48, v36
	v_addc_co_u32_e32 v1, vcc, v1, v37, vcc
	v_add_co_u32_e32 v10, vcc, v10, v18
	v_addc_co_u32_e32 v1, vcc, 0, v1, vcc
	v_mov_b32_e32 v19, s9
	v_mov_b32_e32 v21, s8
	v_cndmask_b32_e64 v11, v19, v1, s[46:47]
	v_cndmask_b32_e64 v10, v21, v10, s[46:47]
	buffer_store_dword v102, off, s[0:3], 0
	buffer_store_dword v102, off, s[0:3], 0 offset:4
	buffer_store_dword v102, off, s[0:3], 0 offset:8
	;; [unrolled: 1-line block ×3, first 2 shown]
	flat_load_dwordx4 v[56:59], v[10:11]
	v_add_f32_e32 v16, 0x40051340, v6
	v_max_f32_e32 v17, v29, v29
	v_and_b32_e32 v20, 64, v245
	v_xor_b32_e32 v22, 32, v245
	v_max_f32_e32 v16, v17, v16
	v_add_u32_e32 v17, 64, v20
	v_xor_b32_e32 v24, 16, v245
	v_cmp_gt_u32_e64 s[56:57], s60, v122
	v_cmp_lt_i32_e32 vcc, v22, v17
	v_cndmask_b32_e64 v16, v29, v16, s[56:57]
	v_cndmask_b32_e32 v20, v245, v22, vcc
	v_cmp_lt_i32_e32 vcc, v24, v17
	v_add_f32_e32 v23, 0x40051340, v7
	v_cndmask_b32_e32 v17, v245, v24, vcc
	v_max_f32_e32 v24, v16, v16
	v_lshlrev_b32_e32 v22, 2, v17
	v_max_f32_e32 v17, v24, v23
	v_cmp_gt_u32_e64 s[46:47], s60, v167
	v_mov_b32_e32 v23, s49
	v_cndmask_b32_e64 v63, v16, v17, s[46:47]
	v_add_co_u32_e32 v16, vcc, s48, v38
	v_addc_co_u32_e32 v17, vcc, v23, v39, vcc
	v_add_co_u32_e32 v16, vcc, v16, v18
	v_addc_co_u32_e32 v17, vcc, 0, v17, vcc
	v_cndmask_b32_e64 v16, v21, v16, s[44:45]
	v_cndmask_b32_e64 v17, v19, v17, s[44:45]
	v_add_f32_e32 v25, 0x40051340, v8
	v_mov_b32_e32 v24, s49
	v_cndmask_b32_e64 v23, v8, v8, s[46:47]
	v_add_co_u32_e32 v8, vcc, s48, v40
	v_mov_b32_e32 v62, s49
	v_max_f32_e32 v64, v63, v63
	v_cmp_gt_u32_e64 s[54:55], s60, v168
	v_add_f32_e32 v31, 0x40051340, v9
	v_add_f32_e32 v35, 0x40051340, v2
	v_cmp_gt_u32_e64 s[44:45], s60, v124
	v_add_f32_e32 v53, 0x40051340, v3
	v_cmp_gt_u32_e64 s[50:51], s60, v170
	;; [unrolled: 2-line block ×3, first 2 shown]
	v_add_f32_e32 v61, 0x40051340, v5
	v_lshlrev_b32_e32 v20, 2, v20
	v_cndmask_b32_e64 v5, v5, v5, s[44:45]
	v_cndmask_b32_e64 v4, v4, v4, s[44:45]
	;; [unrolled: 1-line block ×4, first 2 shown]
	v_mov_b32_e32 v1, s93
	v_mov_b32_e32 v11, s93
	;; [unrolled: 1-line block ×7, first 2 shown]
	s_cmp_eq_u64 s[98:99], 0
	s_waitcnt vmcnt(0) lgkmcnt(0)
	ds_write_b128 v114, v[56:59]
	flat_load_dwordx4 v[56:59], v[16:17]
	v_addc_co_u32_e32 v16, vcc, v24, v41, vcc
	v_add_co_u32_e32 v17, vcc, s48, v42
	v_addc_co_u32_e32 v62, vcc, v62, v43, vcc
	v_add_co_u32_e32 v8, vcc, v8, v18
	v_cndmask_b32_e64 v24, v21, v8, s[40:41]
	v_max_f32_e32 v8, v64, v25
	v_cndmask_b32_e64 v8, v63, v8, s[54:55]
	v_addc_co_u32_e32 v65, vcc, 0, v16, vcc
	v_max_f32_e32 v16, v8, v8
	v_max_f32_e32 v16, v16, v31
	v_cmp_gt_u32_e64 s[48:49], s60, v169
	v_cndmask_b32_e64 v8, v8, v16, s[48:49]
	v_max_f32_e32 v16, v8, v8
	v_max_f32_e32 v16, v16, v35
	v_cndmask_b32_e64 v8, v8, v16, s[44:45]
	v_max_f32_e32 v16, v8, v8
	v_max_f32_e32 v16, v16, v53
	;; [unrolled: 3-line block ×4, first 2 shown]
	v_cmp_gt_u32_e32 vcc, s60, v171
	v_cndmask_b32_e32 v8, v8, v16, vcc
	ds_bpermute_b32 v31, v20, v8
	v_add_co_u32_e64 v16, s[60:61], v17, v18
	v_max_f32_e32 v8, v8, v8
	v_addc_co_u32_e64 v17, s[60:61], 0, v62, s[60:61]
	s_waitcnt lgkmcnt(0)
	v_max_f32_e32 v18, v31, v31
	v_max_f32_e32 v8, v8, v18
	ds_bpermute_b32 v18, v22, v8
	v_cndmask_b32_e64 v25, v19, v65, s[40:41]
	v_cndmask_b32_e64 v16, v21, v16, s[42:43]
	v_cndmask_b32_e64 v17, v19, v17, s[42:43]
	s_waitcnt lgkmcnt(0)
	v_max_f32_e32 v18, v18, v18
	v_max_f32_e32 v8, v8, v18
	v_sub_f32_e32 v18, v23, v8
	v_sub_f32_e32 v19, v2, v8
	;; [unrolled: 1-line block ×7, first 2 shown]
	v_mul_f32_e32 v35, 0x3fb8aa3b, v6
	v_mul_f32_e32 v53, 0x3fb8aa3b, v7
	v_fma_f32 v67, v6, s30, -v35
	v_rndne_f32_e32 v68, v35
	v_sub_f32_e32 v9, v9, v8
	v_mul_f32_e32 v60, 0x3fb8aa3b, v18
	v_fma_f32 v69, v7, s30, -v53
	v_rndne_f32_e32 v70, v53
	v_fmac_f32_e32 v67, 0x32a5705f, v6
	v_sub_f32_e32 v35, v35, v68
	v_mul_f32_e32 v61, 0x3fb8aa3b, v9
	v_fma_f32 v71, v18, s30, -v60
	v_fmac_f32_e32 v69, 0x32a5705f, v7
	v_sub_f32_e32 v53, v53, v70
	v_add_f32_e32 v35, v35, v67
	v_sub_f32_e32 v29, v29, v8
	v_mul_f32_e32 v62, 0x3fb8aa3b, v19
	v_cvt_i32_f32_e32 v68, v68
	v_fmac_f32_e32 v71, 0x32a5705f, v18
	v_add_f32_e32 v53, v53, v69
	v_exp_f32_e32 v35, v35
	v_mul_f32_e32 v63, 0x3fb8aa3b, v21
	v_mul_f32_e32 v64, 0x3fb8aa3b, v23
	;; [unrolled: 1-line block ×4, first 2 shown]
	v_cvt_i32_f32_e32 v70, v70
	v_exp_f32_e32 v53, v53
	s_waitcnt vmcnt(0)
	ds_write_b128 v116, v[56:59]
	flat_load_dwordx4 v[2:5], v[24:25]
	v_rndne_f32_e32 v24, v60
	v_fma_f32 v25, v9, s30, -v61
	v_rndne_f32_e32 v56, v61
	v_sub_f32_e32 v60, v60, v24
	v_fma_f32 v57, v19, s30, -v62
	v_rndne_f32_e32 v58, v62
	v_fmac_f32_e32 v25, 0x32a5705f, v9
	v_sub_f32_e32 v61, v61, v56
	v_add_f32_e32 v60, v60, v71
	v_fma_f32 v59, v21, s30, -v63
	v_rndne_f32_e32 v72, v63
	v_fma_f32 v73, v23, s30, -v64
	v_rndne_f32_e32 v74, v64
	;; [unrolled: 2-line block ×4, first 2 shown]
	v_cvt_i32_f32_e32 v24, v24
	v_fmac_f32_e32 v57, 0x32a5705f, v19
	v_sub_f32_e32 v62, v62, v58
	v_add_f32_e32 v25, v61, v25
	v_exp_f32_e32 v60, v60
	v_cvt_i32_f32_e32 v56, v56
	v_fmac_f32_e32 v59, 0x32a5705f, v21
	v_sub_f32_e32 v63, v63, v72
	v_fmac_f32_e32 v73, 0x32a5705f, v23
	v_sub_f32_e32 v64, v64, v74
	;; [unrolled: 2-line block ×4, first 2 shown]
	v_add_f32_e32 v57, v62, v57
	v_exp_f32_e32 v25, v25
	v_cvt_i32_f32_e32 v58, v58
	v_add_f32_e32 v59, v63, v59
	v_add_f32_e32 v61, v64, v73
	;; [unrolled: 1-line block ×4, first 2 shown]
	v_exp_f32_e32 v57, v57
	v_ldexp_f32 v35, v35, v68
	v_cmp_ngt_f32_e64 s[40:41], s31, v6
	v_cvt_i32_f32_e32 v72, v72
	v_cvt_i32_f32_e32 v74, v74
	;; [unrolled: 1-line block ×4, first 2 shown]
	v_exp_f32_e32 v59, v59
	v_exp_f32_e32 v61, v61
	;; [unrolled: 1-line block ×4, first 2 shown]
	v_ldexp_f32 v53, v53, v70
	v_cndmask_b32_e64 v35, 0, v35, s[40:41]
	v_cmp_ngt_f32_e64 s[40:41], s31, v7
	v_ldexp_f32 v24, v60, v24
	v_cndmask_b32_e64 v53, 0, v53, s[40:41]
	v_cmp_ngt_f32_e64 s[40:41], s31, v18
	;; [unrolled: 3-line block ×4, first 2 shown]
	v_ldexp_f32 v57, v59, v72
	v_ldexp_f32 v60, v61, v74
	;; [unrolled: 1-line block ×4, first 2 shown]
	v_cndmask_b32_e64 v63, 0, v56, s[40:41]
	v_cmp_ngt_f32_e64 s[40:41], s31, v21
	v_cndmask_b32_e64 v64, 0, v57, s[40:41]
	v_cmp_ngt_f32_e64 s[40:41], s31, v23
	s_waitcnt vmcnt(0) lgkmcnt(0)
	ds_write_b128 v118, v[2:5]
	flat_load_dwordx4 v[56:59], v[16:17]
	v_cndmask_b32_e64 v2, 0, v60, s[40:41]
	v_cmp_ngt_f32_e64 s[40:41], s31, v31
	v_cndmask_b32_e64 v3, 0, v61, s[40:41]
	v_cmp_ngt_f32_e64 s[40:41], s31, v29
	v_cndmask_b32_e64 v4, 0, v62, s[40:41]
	v_cmp_nlt_f32_e64 s[40:41], s97, v6
	v_cndmask_b32_e64 v5, v243, v35, s[40:41]
	v_cmp_nlt_f32_e64 s[40:41], s97, v7
	;; [unrolled: 2-line block ×9, first 2 shown]
	v_cndmask_b32_e64 v3, v243, v4, s[40:41]
	v_cndmask_b32_e64 v2, 0, v5, s[56:57]
	v_cmp_le_f32_e64 s[40:41], s84, v29
	v_cndmask_b32_e64 v1, v1, v7, s[46:47]
	v_cndmask_b32_e64 v5, v11, v9, s[48:49]
	;; [unrolled: 1-line block ×3, first 2 shown]
	v_cndmask_b32_e32 v13, v15, v6, vcc
	v_cndmask_b32_e64 v15, 0, v3, s[40:41]
	v_add_f32_e32 v3, v7, v2
	v_cndmask_b32_e64 v4, v10, v16, s[54:55]
	v_cndmask_b32_e64 v10, v14, v24, s[44:45]
	v_cvt_f16_f32_e32 v18, v2
	v_cvt_f16_f32_e32 v1, v1
	v_cndmask_b32_e64 v2, v2, v3, s[46:47]
	v_cvt_f16_f32_e32 v10, v10
	v_cvt_f16_f32_e32 v25, v11
	v_add_f32_e32 v3, v2, v16
	v_cndmask_b32_e64 v2, v2, v3, s[54:55]
	v_add_f32_e32 v3, v2, v9
	v_pack_b32_f16 v18, v18, v1
	v_cndmask_b32_e64 v1, v2, v3, s[48:49]
	v_cndmask_b32_e64 v12, v12, v23, s[52:53]
	v_cvt_f16_f32_e32 v17, v15
	v_pack_b32_f16 v16, v10, v25
	v_add_f32_e32 v10, v24, v1
	v_cvt_f16_f32_e32 v4, v4
	v_cvt_f16_f32_e32 v5, v5
	;; [unrolled: 1-line block ×4, first 2 shown]
	v_cndmask_b32_e64 v1, v1, v10, s[44:45]
	v_add_f32_e32 v10, v21, v1
	v_cndmask_b32_e64 v1, v1, v10, s[50:51]
	v_pk_mul_f16 v35, v17, v84 op_sel_hi:[0,1]
	v_pk_mul_f16 v53, v17, v83 op_sel_hi:[0,1]
	v_add_f32_e32 v10, v23, v1
	v_pk_mul_f16 v62, v17, v86 op_sel_hi:[0,1]
	v_pk_mul_f16 v63, v17, v85 op_sel_hi:[0,1]
	;; [unrolled: 1-line block ×14, first 2 shown]
	v_pack_b32_f16 v19, v4, v5
	v_pack_b32_f16 v17, v29, v31
	v_cvt_f32_f16_e32 v2, v35
	v_cvt_f32_f16_sdwa v3, v35 dst_sel:DWORD dst_unused:UNUSED_PAD src0_sel:WORD_1
	v_cvt_f32_f16_e32 v4, v53
	v_cvt_f32_f16_sdwa v5, v53 dst_sel:DWORD dst_unused:UNUSED_PAD src0_sel:WORD_1
	v_cndmask_b32_e64 v1, v1, v10, s[52:53]
	v_add_f32_e32 v6, v6, v1
	s_waitcnt vmcnt(0) lgkmcnt(0)
	ds_write_b128 v120, v[56:59]
	s_waitcnt lgkmcnt(0)
	s_barrier
	ds_read_u16 v10, v130
	ds_read_u16 v21, v130 offset:32
	ds_read_u16 v23, v130 offset:64
	;; [unrolled: 1-line block ×12, first 2 shown]
	s_waitcnt lgkmcnt(7)
	v_perm_b32 v25, v10, v24, s85
	ds_read_u16 v10, v128
	ds_read_u16 v72, v128 offset:32
	ds_read_u16 v73, v128 offset:64
	;; [unrolled: 1-line block ×7, first 2 shown]
	s_waitcnt lgkmcnt(7)
	v_perm_b32 v24, v35, v10, s85
	v_perm_b32 v60, v57, v53, s85
	;; [unrolled: 1-line block ×3, first 2 shown]
	v_mfma_f32_16x16x16f16 v[2:5], v[24:25], v[18:19], v[2:5]
	v_perm_b32 v25, v21, v71, s85
	s_waitcnt lgkmcnt(6)
	v_perm_b32 v24, v70, v72, s85
	v_cvt_f32_f16_e32 v56, v62
	v_cvt_f32_f16_sdwa v57, v62 dst_sel:DWORD dst_unused:UNUSED_PAD src0_sel:WORD_1
	v_cvt_f32_f16_e32 v58, v63
	v_cvt_f32_f16_sdwa v59, v63 dst_sel:DWORD dst_unused:UNUSED_PAD src0_sel:WORD_1
	v_cndmask_b32_e32 v21, v1, v6, vcc
	s_nop 2
	v_cvt_f16_f32_e32 v2, v2
	v_cvt_f16_f32_e32 v3, v3
	v_cvt_f16_f32_e32 v4, v4
	v_cvt_f16_f32_e32 v5, v5
	v_cvt_f32_f16_e32 v2, v2
	v_cvt_f32_f16_e32 v3, v3
	;; [unrolled: 1-line block ×4, first 2 shown]
	v_mfma_f32_16x16x16f16 v[56:59], v[24:25], v[18:19], v[56:59]
	ds_read_u16 v35, v130 offset:160
	ds_read_u16 v79, v130 offset:192
	;; [unrolled: 1-line block ×3, first 2 shown]
	v_fmac_f32_e32 v21, v27, v15
	v_cvt_f32_f16_e32 v62, v65
	v_cvt_f32_f16_sdwa v63, v65 dst_sel:DWORD dst_unused:UNUSED_PAD src0_sel:WORD_1
	v_readlane_b32 s46, v254, 38
	v_readlane_b32 s47, v254, 39
	s_cselect_b64 s[40:41], -1, 0
	v_mfma_f32_16x16x16f16 v[2:5], v[60:61], v[16:17], v[2:5]
	s_nop 0
	v_cvt_f16_f32_e32 v6, v57
	v_cvt_f16_f32_e32 v10, v58
	v_cvt_f32_f16_e32 v60, v64
	v_cvt_f32_f16_sdwa v61, v64 dst_sel:DWORD dst_unused:UNUSED_PAD src0_sel:WORD_1
	v_cvt_f32_f16_e32 v57, v6
	v_cvt_f32_f16_e32 v58, v10
	v_cvt_f16_f32_e32 v15, v59
	s_nop 2
	v_cvt_f16_f32_e32 v1, v2
	v_cvt_f16_f32_e32 v2, v3
	;; [unrolled: 1-line block ×3, first 2 shown]
	v_cvt_f32_f16_e32 v59, v15
	s_xor_b64 s[42:43], s[46:47], -1
	v_pack_b32_f16 v2, v1, v2
	v_cvt_f32_f16_e32 v56, v3
	ds_read_u16 v3, v133 offset:8704
	ds_read_u16 v6, v134 offset:272
	;; [unrolled: 1-line block ×8, first 2 shown]
	s_waitcnt lgkmcnt(4)
	v_perm_b32 v25, v24, v10, s85
	v_perm_b32 v24, v6, v3, s85
	v_cvt_f16_f32_e32 v3, v4
	v_cvt_f16_f32_e32 v6, v5
	s_waitcnt lgkmcnt(2)
	v_perm_b32 v5, v23, v53, s85
	v_perm_b32 v4, v27, v73, s85
	v_mfma_f32_16x16x16f16 v[56:59], v[24:25], v[16:17], v[56:59]
	s_waitcnt lgkmcnt(0)
	v_perm_b32 v24, v71, v70, s85
	v_pack_b32_f16 v1, v3, v6
	s_or_b64 s[40:41], s[42:43], s[40:41]
	v_mfma_f32_16x16x16f16 v[60:63], v[4:5], v[18:19], v[60:63]
	s_nop 5
	v_cvt_f16_f32_e32 v3, v56
	v_cvt_f16_f32_e32 v6, v57
	s_nop 2
	v_cvt_f16_f32_e32 v4, v60
	v_cvt_f16_f32_e32 v5, v61
	;; [unrolled: 1-line block ×4, first 2 shown]
	v_cvt_f32_f16_e32 v60, v4
	v_cvt_f32_f16_e32 v61, v5
	;; [unrolled: 1-line block ×3, first 2 shown]
	ds_read_u16 v4, v140 offset:544
	ds_read_u16 v5, v141 offset:8704
	;; [unrolled: 1-line block ×8, first 2 shown]
	s_waitcnt lgkmcnt(6)
	v_perm_b32 v25, v5, v4, s85
	v_cvt_f32_f16_e32 v63, v15
	v_cvt_f16_f32_e32 v5, v58
	v_cvt_f16_f32_e32 v15, v59
	v_mfma_f32_16x16x16f16 v[56:59], v[24:25], v[16:17], v[60:63]
	s_waitcnt lgkmcnt(4)
	v_perm_b32 v25, v29, v23, s85
	v_perm_b32 v24, v10, v74, s85
	v_pack_b32_f16 v4, v3, v6
	v_pack_b32_f16 v3, v5, v15
	s_nop 1
	v_cvt_f32_f16_e32 v60, v66
	v_cvt_f32_f16_sdwa v61, v66 dst_sel:DWORD dst_unused:UNUSED_PAD src0_sel:WORD_1
	v_cvt_f32_f16_e32 v62, v67
	v_cvt_f32_f16_sdwa v63, v67 dst_sel:DWORD dst_unused:UNUSED_PAD src0_sel:WORD_1
	v_cvt_f16_f32_e32 v5, v56
	v_cvt_f16_f32_e32 v6, v57
	v_mfma_f32_16x16x16f16 v[60:63], v[24:25], v[18:19], v[60:63]
	s_waitcnt lgkmcnt(0)
	v_perm_b32 v25, v65, v64, s85
	v_perm_b32 v24, v53, v27, s85
	v_pack_b32_f16 v6, v5, v6
	s_nop 6
	v_cvt_f16_f32_e32 v10, v60
	v_cvt_f16_f32_e32 v15, v61
	;; [unrolled: 1-line block ×4, first 2 shown]
	v_cvt_f32_f16_e32 v60, v10
	v_cvt_f32_f16_e32 v61, v15
	;; [unrolled: 1-line block ×4, first 2 shown]
	v_cvt_f16_f32_e32 v10, v58
	v_cvt_f16_f32_e32 v15, v59
	v_mfma_f32_16x16x16f16 v[56:59], v[24:25], v[16:17], v[60:63]
	ds_read_u16 v5, v147 offset:272
	ds_read_u16 v23, v147 offset:544
	;; [unrolled: 1-line block ×8, first 2 shown]
	s_waitcnt lgkmcnt(6)
	v_perm_b32 v25, v31, v23, s85
	v_perm_b32 v24, v5, v75, s85
	v_cvt_f32_f16_e32 v60, v68
	v_cvt_f32_f16_sdwa v61, v68 dst_sel:DWORD dst_unused:UNUSED_PAD src0_sel:WORD_1
	v_cvt_f32_f16_e32 v62, v69
	v_cvt_f32_f16_sdwa v63, v69 dst_sel:DWORD dst_unused:UNUSED_PAD src0_sel:WORD_1
	v_pack_b32_f16 v5, v10, v15
	v_cvt_f16_f32_e32 v10, v56
	v_mfma_f32_16x16x16f16 v[60:63], v[24:25], v[18:19], v[60:63]
	v_cvt_f16_f32_e32 v15, v57
	v_pack_b32_f16 v10, v10, v15
	s_nop 7
	s_nop 0
	v_cvt_f16_f32_e32 v24, v61
	v_cvt_f16_f32_e32 v25, v62
	;; [unrolled: 1-line block ×4, first 2 shown]
	v_cvt_f32_f16_e32 v61, v24
	v_cvt_f32_f16_e32 v62, v25
	s_waitcnt lgkmcnt(2)
	v_perm_b32 v25, v64, v53, s85
	v_perm_b32 v24, v29, v27, s85
	v_cvt_f32_f16_e32 v60, v23
	v_cvt_f32_f16_e32 v63, v31
	v_cvt_f16_f32_e32 v23, v58
	v_cvt_f16_f32_e32 v27, v59
	v_mfma_f32_16x16x16f16 v[56:59], v[24:25], v[16:17], v[60:63]
	s_waitcnt lgkmcnt(0)
	v_perm_b32 v25, v35, v66, s85
	v_perm_b32 v24, v65, v76, s85
	s_nop 3
	v_cvt_f32_f16_e32 v60, v12
	v_cvt_f32_f16_sdwa v61, v12 dst_sel:DWORD dst_unused:UNUSED_PAD src0_sel:WORD_1
	v_cvt_f32_f16_e32 v62, v7
	v_cvt_f32_f16_sdwa v63, v7 dst_sel:DWORD dst_unused:UNUSED_PAD src0_sel:WORD_1
	v_pack_b32_f16 v7, v23, v27
	v_cvt_f16_f32_e32 v12, v56
	v_mfma_f32_16x16x16f16 v[60:63], v[24:25], v[18:19], v[60:63]
	v_cvt_f16_f32_e32 v15, v57
	v_pack_b32_f16 v12, v12, v15
	s_nop 7
	s_nop 0
	v_cvt_f16_f32_e32 v23, v60
	v_cvt_f16_f32_e32 v24, v61
	;; [unrolled: 1-line block ×4, first 2 shown]
	v_cvt_f32_f16_e32 v60, v23
	v_cvt_f32_f16_e32 v61, v24
	;; [unrolled: 1-line block ×3, first 2 shown]
	ds_read_u16 v23, v153 offset:8704
	ds_read_u16 v24, v154 offset:272
	;; [unrolled: 1-line block ×8, first 2 shown]
	s_waitcnt lgkmcnt(4)
	v_perm_b32 v25, v29, v25, s85
	v_perm_b32 v24, v24, v23, s85
	v_cvt_f32_f16_e32 v63, v27
	v_cvt_f16_f32_e32 v23, v58
	v_cvt_f16_f32_e32 v27, v59
	v_mfma_f32_16x16x16f16 v[56:59], v[24:25], v[16:17], v[60:63]
	s_waitcnt lgkmcnt(2)
	v_perm_b32 v15, v79, v35, s85
	s_nop 4
	v_cvt_f32_f16_e32 v60, v14
	v_cvt_f32_f16_sdwa v61, v14 dst_sel:DWORD dst_unused:UNUSED_PAD src0_sel:WORD_1
	v_perm_b32 v14, v31, v77, s85
	v_cvt_f32_f16_e32 v62, v11
	v_cvt_f32_f16_sdwa v63, v11 dst_sel:DWORD dst_unused:UNUSED_PAD src0_sel:WORD_1
	v_pack_b32_f16 v11, v23, v27
	v_cvt_f16_f32_e32 v23, v56
	v_mfma_f32_16x16x16f16 v[60:63], v[14:15], v[18:19], v[60:63]
	v_cvt_f16_f32_e32 v27, v57
	s_nop 7
	s_nop 1
	v_cvt_f16_f32_e32 v14, v60
	v_cvt_f16_f32_e32 v15, v61
	;; [unrolled: 1-line block ×4, first 2 shown]
	v_cvt_f32_f16_e32 v60, v14
	v_cvt_f32_f16_e32 v61, v15
	;; [unrolled: 1-line block ×3, first 2 shown]
	ds_read_u16 v14, v160 offset:544
	ds_read_u16 v15, v161 offset:8704
	;; [unrolled: 1-line block ×8, first 2 shown]
	s_waitcnt lgkmcnt(6)
	v_perm_b32 v25, v15, v14, s85
	v_perm_b32 v24, v64, v53, s85
	v_cvt_f32_f16_e32 v63, v29
	v_cvt_f16_f32_e32 v15, v58
	v_cvt_f16_f32_e32 v29, v59
	v_mfma_f32_16x16x16f16 v[56:59], v[24:25], v[16:17], v[60:63]
	s_waitcnt lgkmcnt(4)
	v_perm_b32 v25, v80, v35, s85
	v_perm_b32 v24, v31, v78, s85
	v_pack_b32_f16 v14, v23, v27
	s_waitcnt lgkmcnt(0)
	s_nop 1
	v_cvt_f32_f16_e32 v60, v13
	v_cvt_f32_f16_sdwa v61, v13 dst_sel:DWORD dst_unused:UNUSED_PAD src0_sel:WORD_1
	v_cvt_f32_f16_e32 v62, v9
	v_cvt_f32_f16_sdwa v63, v9 dst_sel:DWORD dst_unused:UNUSED_PAD src0_sel:WORD_1
	v_pack_b32_f16 v13, v15, v29
	v_cvt_f16_f32_e32 v9, v56
	v_mfma_f32_16x16x16f16 v[60:63], v[24:25], v[18:19], v[60:63]
	v_perm_b32 v25, v68, v67, s85
	v_perm_b32 v24, v66, v65, s85
	v_cvt_f16_f32_e32 v15, v57
	s_barrier
	s_nop 6
	v_cvt_f16_f32_e32 v18, v60
	v_cvt_f16_f32_e32 v19, v61
	;; [unrolled: 1-line block ×4, first 2 shown]
	v_cvt_f32_f16_e32 v60, v18
	v_cvt_f32_f16_e32 v61, v19
	;; [unrolled: 1-line block ×4, first 2 shown]
	v_cvt_f16_f32_e32 v19, v58
	v_cvt_f16_f32_e32 v23, v59
	v_mfma_f32_16x16x16f16 v[56:59], v[24:25], v[16:17], v[60:63]
	ds_bpermute_b32 v17, v20, v21
	v_pack_b32_f16 v18, v9, v15
	v_pack_b32_f16 v15, v19, v23
	s_nop 7
	v_cvt_f16_f32_e32 v9, v56
	v_cvt_f16_f32_e32 v16, v57
	v_cvt_f16_f32_e32 v19, v58
	v_cvt_f16_f32_e32 v20, v59
	v_pack_b32_f16 v16, v9, v16
	s_waitcnt lgkmcnt(0)
	v_add_f32_e32 v9, v21, v17
	ds_bpermute_b32 v21, v22, v9
	v_pack_b32_f16 v17, v19, v20
	s_waitcnt lgkmcnt(0)
	v_add_f32_e32 v9, v9, v21
	s_and_saveexec_b64 s[42:43], s[40:41]
	s_xor_b64 s[40:41], exec, s[42:43]
	s_andn2_saveexec_b64 s[40:41], s[40:41]
	s_cbranch_execz .LBB24_82
; %bb.81:                               ;   in Loop: Header=BB24_14 Depth=1
	global_load_dword v19, v102, s[98:99]
	v_max_f32_e32 v21, v8, v8
	s_waitcnt vmcnt(0)
	v_max_f32_e32 v20, v19, v19
	v_max_f32_e32 v20, v21, v20
	v_sub_f32_e32 v8, v8, v20
	v_mul_f32_e32 v21, 0x3fb8aa3b, v8
	v_fma_f32 v23, v8, s30, -v21
	v_rndne_f32_e32 v24, v21
	v_fmac_f32_e32 v23, 0x32a5705f, v8
	v_sub_f32_e32 v21, v21, v24
	v_add_f32_e32 v21, v21, v23
	v_exp_f32_e32 v21, v21
	v_cvt_i32_f32_e32 v23, v24
	v_cmp_ngt_f32_e32 vcc, s31, v8
	v_sub_f32_e32 v19, v19, v20
	v_ldexp_f32 v21, v21, v23
	v_cndmask_b32_e32 v21, 0, v21, vcc
	v_cmp_nlt_f32_e32 vcc, s97, v8
	v_cndmask_b32_e32 v21, v243, v21, vcc
	v_cmp_le_f32_e32 vcc, s84, v8
	v_cndmask_b32_e32 v8, 0, v21, vcc
	v_cvt_f16_f32_e32 v21, v8
	v_cmp_ngt_f32_e32 vcc, s31, v19
	v_pk_mul_f16 v2, v21, v2 op_sel_hi:[0,1]
	v_pk_mul_f16 v1, v21, v1 op_sel_hi:[0,1]
	;; [unrolled: 1-line block ×16, first 2 shown]
	v_mul_f32_e32 v21, 0x3fb8aa3b, v19
	v_fma_f32 v23, v19, s30, -v21
	v_rndne_f32_e32 v24, v21
	v_fmac_f32_e32 v23, 0x32a5705f, v19
	v_sub_f32_e32 v21, v21, v24
	v_add_f32_e32 v21, v21, v23
	v_exp_f32_e32 v21, v21
	v_cvt_i32_f32_e32 v23, v24
	v_ldexp_f32 v21, v21, v23
	v_cndmask_b32_e32 v21, 0, v21, vcc
	v_cmp_nlt_f32_e32 vcc, s97, v19
	v_cndmask_b32_e32 v21, v243, v21, vcc
	v_fmac_f32_e32 v21, v9, v8
	v_pk_mov_b32 v[8:9], v[20:21], v[20:21] op_sel:[0,1]
.LBB24_82:                              ;   in Loop: Header=BB24_14 Depth=1
	s_or_b64 exec, exec, s[40:41]
	s_mov_b64 s[40:41], exec
	v_readlane_b32 s42, v254, 42
	v_readlane_b32 s43, v254, 43
	s_and_b64 s[42:43], s[40:41], s[42:43]
	v_readlane_b32 s50, v255, 0
	s_mov_b64 exec, s[42:43]
	s_cbranch_execz .LBB24_84
; %bb.83:                               ;   in Loop: Header=BB24_14 Depth=1
	v_add_u32_e32 v19, 0, v172
	ds_write2_b32 v19, v8, v9 offset0:64 offset1:65
.LBB24_84:                              ;   in Loop: Header=BB24_14 Depth=1
	s_or_b64 exec, exec, s[40:41]
	s_waitcnt lgkmcnt(0)
	s_barrier
	s_mov_b64 s[40:41], exec
	v_readlane_b32 s42, v254, 40
	v_readlane_b32 s43, v254, 41
	s_and_b64 s[42:43], s[40:41], s[42:43]
	s_xor_b64 s[40:41], s[42:43], s[40:41]
	s_mov_b64 exec, s[42:43]
	s_cbranch_execz .LBB24_86
; %bb.85:                               ;   in Loop: Header=BB24_14 Depth=1
	s_barrier
	s_waitcnt lgkmcnt(0)
                                        ; implicit-def: $vgpr22
.LBB24_86:                              ;   in Loop: Header=BB24_14 Depth=1
	s_andn2_saveexec_b64 s[40:41], s[40:41]
	s_cbranch_execz .LBB24_92
; %bb.87:                               ;   in Loop: Header=BB24_14 Depth=1
	v_add_u32_e32 v9, 0, v173
	ds_read_b64 v[24:25], v9 offset:256
	s_waitcnt lgkmcnt(0)
	s_barrier
	ds_bpermute_b32 v8, v22, v24
	v_max_f32_e32 v19, v24, v24
	s_waitcnt lgkmcnt(0)
	v_max_f32_e32 v8, v8, v8
	v_max_f32_e32 v8, v19, v8
	v_sub_f32_e32 v19, v24, v8
	v_mul_f32_e32 v20, 0x3fb8aa3b, v19
	v_fma_f32 v21, v19, s30, -v20
	v_rndne_f32_e32 v23, v20
	v_fmac_f32_e32 v21, 0x32a5705f, v19
	v_sub_f32_e32 v20, v20, v23
	v_add_f32_e32 v20, v20, v21
	v_cvt_i32_f32_e32 v23, v23
	v_exp_f32_e32 v20, v20
	v_cmp_ngt_f32_e32 vcc, s31, v19
	v_ldexp_f32 v20, v20, v23
	v_cndmask_b32_e32 v20, 0, v20, vcc
	v_cmp_nlt_f32_e32 vcc, s97, v19
	v_cndmask_b32_e32 v20, v243, v20, vcc
	v_mul_f32_e32 v19, v25, v20
	ds_bpermute_b32 v21, v22, v19
	s_waitcnt lgkmcnt(0)
	v_fmac_f32_e32 v21, v25, v20
	s_mov_b64 s[42:43], exec
	v_readlane_b32 s44, v254, 44
	v_readlane_b32 s45, v254, 45
	s_and_b64 s[44:45], s[42:43], s[44:45]
	s_mov_b64 exec, s[44:45]
	s_cbranch_execz .LBB24_89
; %bb.88:                               ;   in Loop: Header=BB24_14 Depth=1
	ds_write_b64 v9, v[20:21] offset:256
.LBB24_89:                              ;   in Loop: Header=BB24_14 Depth=1
	s_or_b64 exec, exec, s[42:43]
	s_mov_b64 s[42:43], exec
	v_readlane_b32 s44, v254, 42
	v_readlane_b32 s45, v254, 43
	s_and_b64 s[44:45], s[42:43], s[44:45]
	s_mov_b64 exec, s[44:45]
	s_cbranch_execz .LBB24_91
; %bb.90:                               ;   in Loop: Header=BB24_14 Depth=1
	v_mov_b32_e32 v9, v21
	global_store_dwordx2 v[32:33], v[8:9], off
.LBB24_91:                              ;   in Loop: Header=BB24_14 Depth=1
	s_or_b64 exec, exec, s[42:43]
.LBB24_92:                              ;   in Loop: Header=BB24_14 Depth=1
	s_or_b64 exec, exec, s[40:41]
	ds_write2_b32 v174, v2, v1 offset1:1
	ds_write2_b32 v174, v4, v3 offset0:8 offset1:9
	ds_write2_b32 v174, v6, v5 offset0:16 offset1:17
	;; [unrolled: 1-line block ×7, first 2 shown]
	s_waitcnt lgkmcnt(0)
	s_barrier
	s_and_saveexec_b64 s[40:41], s[46:47]
	s_cbranch_execz .LBB24_170
; %bb.93:                               ;   in Loop: Header=BB24_14 Depth=1
	v_add_u32_e32 v2, s92, v175
	v_cmp_gt_i32_e32 vcc, s80, v2
	v_mov_b32_e32 v1, 0x47
	s_and_saveexec_b64 s[42:43], vcc
	s_cbranch_execz .LBB24_95
; %bb.94:                               ;   in Loop: Header=BB24_14 Depth=1
	v_add_u32_e32 v1, 0, v177
	ds_read2st64_b32 v[4:5], v1 offset0:1 offset1:18
	ds_read2st64_b32 v[6:7], v178 offset1:17
	v_readlane_b32 s44, v254, 47
	v_mad_u64_u32 v[2:3], s[44:45], s44, v2, v[26:27]
	v_ashrrev_i32_e32 v3, 31, v2
	s_waitcnt lgkmcnt(0)
	v_cvt_f32_f16_sdwa v9, v6 dst_sel:DWORD dst_unused:UNUSED_PAD src0_sel:WORD_1
	v_cvt_f32_f16_e32 v8, v6
	v_cvt_f32_f16_sdwa v11, v7 dst_sel:DWORD dst_unused:UNUSED_PAD src0_sel:WORD_1
	v_cvt_f32_f16_e32 v10, v7
	v_lshlrev_b64 v[2:3], 3, v[2:3]
	v_readlane_b32 s44, v255, 2
	v_add_co_u32_e32 v2, vcc, s44, v2
	v_readlane_b32 s44, v255, 3
	v_mov_b32_e32 v1, s44
	v_pk_fma_f32 v[8:9], v[4:5], v[8:9], 0 op_sel_hi:[0,1,0]
	v_mov_b32_e32 v4, v5
	v_addc_co_u32_e32 v3, vcc, v1, v3, vcc
	v_pk_fma_f32 v[4:5], v[4:5], v[10:11], v[8:9] op_sel_hi:[0,1,1]
	v_mov_b32_e32 v1, 0
	global_store_dwordx2 v[2:3], v[4:5], off
.LBB24_95:                              ;   in Loop: Header=BB24_14 Depth=1
	s_or_b64 exec, exec, s[42:43]
	s_movk_i32 s42, 0x47
	v_cmp_gt_i32_e32 vcc, s42, v1
	s_mov_b64 s[42:43], -1
	s_and_saveexec_b64 s[44:45], vcc
; %bb.96:                               ;   in Loop: Header=BB24_14 Depth=1
	v_cmp_eq_u32_e32 vcc, 0, v1
	s_orn2_b64 s[42:43], vcc, exec
; %bb.97:                               ;   in Loop: Header=BB24_14 Depth=1
	s_or_b64 exec, exec, s[44:45]
	s_and_b64 exec, exec, s[42:43]
	s_cbranch_execz .LBB24_170
; %bb.98:                               ;   in Loop: Header=BB24_14 Depth=1
	v_add_u32_e32 v2, s92, v179
	v_cmp_gt_i32_e32 vcc, s80, v2
	v_mov_b32_e32 v1, 0x47
	s_and_saveexec_b64 s[42:43], vcc
	s_cbranch_execz .LBB24_100
; %bb.99:                               ;   in Loop: Header=BB24_14 Depth=1
	v_add_u32_e32 v1, 0, v180
	ds_read2st64_b32 v[4:5], v1 offset0:1 offset1:18
	ds_read2st64_b32 v[6:7], v181 offset1:17
	v_readlane_b32 s44, v254, 47
	v_mad_u64_u32 v[2:3], s[44:45], s44, v2, v[26:27]
	v_ashrrev_i32_e32 v3, 31, v2
	s_waitcnt lgkmcnt(0)
	v_cvt_f32_f16_sdwa v9, v6 dst_sel:DWORD dst_unused:UNUSED_PAD src0_sel:WORD_1
	v_cvt_f32_f16_e32 v8, v6
	v_cvt_f32_f16_sdwa v11, v7 dst_sel:DWORD dst_unused:UNUSED_PAD src0_sel:WORD_1
	v_cvt_f32_f16_e32 v10, v7
	v_lshlrev_b64 v[2:3], 3, v[2:3]
	v_readlane_b32 s44, v255, 2
	v_add_co_u32_e32 v2, vcc, s44, v2
	v_readlane_b32 s44, v255, 3
	v_mov_b32_e32 v1, s44
	v_pk_fma_f32 v[8:9], v[4:5], v[8:9], 0 op_sel_hi:[0,1,0]
	v_mov_b32_e32 v4, v5
	v_addc_co_u32_e32 v3, vcc, v1, v3, vcc
	v_pk_fma_f32 v[4:5], v[4:5], v[10:11], v[8:9] op_sel_hi:[0,1,1]
	v_mov_b32_e32 v1, 0
	global_store_dwordx2 v[2:3], v[4:5], off
.LBB24_100:                             ;   in Loop: Header=BB24_14 Depth=1
	s_or_b64 exec, exec, s[42:43]
	s_movk_i32 s42, 0x47
	v_cmp_gt_i32_e32 vcc, s42, v1
	s_mov_b64 s[42:43], -1
	s_and_saveexec_b64 s[44:45], vcc
; %bb.101:                              ;   in Loop: Header=BB24_14 Depth=1
	v_cmp_eq_u32_e32 vcc, 0, v1
	s_orn2_b64 s[42:43], vcc, exec
; %bb.102:                              ;   in Loop: Header=BB24_14 Depth=1
	s_or_b64 exec, exec, s[44:45]
	s_and_b64 exec, exec, s[42:43]
	s_cbranch_execz .LBB24_170
; %bb.103:                              ;   in Loop: Header=BB24_14 Depth=1
	v_add_u32_e32 v2, s92, v182
	v_cmp_gt_i32_e32 vcc, s80, v2
	v_mov_b32_e32 v1, 0x47
	s_and_saveexec_b64 s[42:43], vcc
	s_cbranch_execz .LBB24_105
; %bb.104:                              ;   in Loop: Header=BB24_14 Depth=1
	v_add_u32_e32 v1, 0, v183
	ds_read2st64_b32 v[4:5], v1 offset0:1 offset1:18
	ds_read2st64_b32 v[6:7], v184 offset1:17
	v_readlane_b32 s44, v254, 47
	v_mad_u64_u32 v[2:3], s[44:45], s44, v2, v[26:27]
	v_ashrrev_i32_e32 v3, 31, v2
	s_waitcnt lgkmcnt(0)
	v_cvt_f32_f16_sdwa v9, v6 dst_sel:DWORD dst_unused:UNUSED_PAD src0_sel:WORD_1
	v_cvt_f32_f16_e32 v8, v6
	v_cvt_f32_f16_sdwa v11, v7 dst_sel:DWORD dst_unused:UNUSED_PAD src0_sel:WORD_1
	v_cvt_f32_f16_e32 v10, v7
	v_lshlrev_b64 v[2:3], 3, v[2:3]
	v_readlane_b32 s44, v255, 2
	v_add_co_u32_e32 v2, vcc, s44, v2
	v_readlane_b32 s44, v255, 3
	v_mov_b32_e32 v1, s44
	v_pk_fma_f32 v[8:9], v[4:5], v[8:9], 0 op_sel_hi:[0,1,0]
	v_mov_b32_e32 v4, v5
	v_addc_co_u32_e32 v3, vcc, v1, v3, vcc
	v_pk_fma_f32 v[4:5], v[4:5], v[10:11], v[8:9] op_sel_hi:[0,1,1]
	v_mov_b32_e32 v1, 0
	global_store_dwordx2 v[2:3], v[4:5], off
.LBB24_105:                             ;   in Loop: Header=BB24_14 Depth=1
	s_or_b64 exec, exec, s[42:43]
	s_movk_i32 s42, 0x47
	v_cmp_gt_i32_e32 vcc, s42, v1
	s_mov_b64 s[42:43], -1
	s_and_saveexec_b64 s[44:45], vcc
; %bb.106:                              ;   in Loop: Header=BB24_14 Depth=1
	v_cmp_eq_u32_e32 vcc, 0, v1
	s_orn2_b64 s[42:43], vcc, exec
; %bb.107:                              ;   in Loop: Header=BB24_14 Depth=1
	s_or_b64 exec, exec, s[44:45]
	s_and_b64 exec, exec, s[42:43]
	s_cbranch_execz .LBB24_170
; %bb.108:                              ;   in Loop: Header=BB24_14 Depth=1
	v_add_u32_e32 v2, s92, v185
	v_cmp_gt_i32_e32 vcc, s80, v2
	v_mov_b32_e32 v1, 0x47
	s_and_saveexec_b64 s[42:43], vcc
	s_cbranch_execz .LBB24_110
; %bb.109:                              ;   in Loop: Header=BB24_14 Depth=1
	v_add_u32_e32 v1, 0, v199
	ds_read2st64_b32 v[4:5], v1 offset0:1 offset1:18
	ds_read2st64_b32 v[6:7], v196 offset1:17
	v_readlane_b32 s44, v254, 47
	v_mad_u64_u32 v[2:3], s[44:45], s44, v2, v[26:27]
	v_ashrrev_i32_e32 v3, 31, v2
	s_waitcnt lgkmcnt(0)
	v_cvt_f32_f16_sdwa v9, v6 dst_sel:DWORD dst_unused:UNUSED_PAD src0_sel:WORD_1
	v_cvt_f32_f16_e32 v8, v6
	v_cvt_f32_f16_sdwa v11, v7 dst_sel:DWORD dst_unused:UNUSED_PAD src0_sel:WORD_1
	v_cvt_f32_f16_e32 v10, v7
	v_lshlrev_b64 v[2:3], 3, v[2:3]
	v_readlane_b32 s44, v255, 2
	v_add_co_u32_e32 v2, vcc, s44, v2
	v_readlane_b32 s44, v255, 3
	v_mov_b32_e32 v1, s44
	v_pk_fma_f32 v[8:9], v[4:5], v[8:9], 0 op_sel_hi:[0,1,0]
	v_mov_b32_e32 v4, v5
	v_addc_co_u32_e32 v3, vcc, v1, v3, vcc
	v_pk_fma_f32 v[4:5], v[4:5], v[10:11], v[8:9] op_sel_hi:[0,1,1]
	v_mov_b32_e32 v1, 0
	global_store_dwordx2 v[2:3], v[4:5], off
.LBB24_110:                             ;   in Loop: Header=BB24_14 Depth=1
	s_or_b64 exec, exec, s[42:43]
	s_movk_i32 s42, 0x47
	v_cmp_gt_i32_e32 vcc, s42, v1
	s_mov_b64 s[42:43], -1
	s_and_saveexec_b64 s[44:45], vcc
; %bb.111:                              ;   in Loop: Header=BB24_14 Depth=1
	v_cmp_eq_u32_e32 vcc, 0, v1
	s_orn2_b64 s[42:43], vcc, exec
; %bb.112:                              ;   in Loop: Header=BB24_14 Depth=1
	s_or_b64 exec, exec, s[44:45]
	s_and_b64 exec, exec, s[42:43]
	s_cbranch_execz .LBB24_170
; %bb.113:                              ;   in Loop: Header=BB24_14 Depth=1
	v_add_u32_e32 v2, s92, v188
	v_cmp_gt_i32_e32 vcc, s80, v2
	v_mov_b32_e32 v1, 0x47
	s_and_saveexec_b64 s[42:43], vcc
	s_cbranch_execz .LBB24_115
; %bb.114:                              ;   in Loop: Header=BB24_14 Depth=1
	buffer_load_dword v1, off, s[0:3], 0 offset:16 ; 4-byte Folded Reload
	v_readlane_b32 s44, v254, 47
	v_mad_u64_u32 v[2:3], s[44:45], s44, v2, v[26:27]
	v_ashrrev_i32_e32 v3, 31, v2
	v_lshlrev_b64 v[2:3], 3, v[2:3]
	v_readlane_b32 s44, v255, 2
	v_add_co_u32_e32 v2, vcc, s44, v2
	v_readlane_b32 s44, v255, 3
	s_waitcnt vmcnt(0)
	v_add_u32_e32 v1, 0, v1
	ds_read2st64_b32 v[4:5], v1 offset0:1 offset1:18
	ds_read2st64_b32 v[6:7], v190 offset1:17
	v_mov_b32_e32 v1, s44
	v_addc_co_u32_e32 v3, vcc, v1, v3, vcc
	v_mov_b32_e32 v1, 0
	s_waitcnt lgkmcnt(0)
	v_cvt_f32_f16_sdwa v9, v6 dst_sel:DWORD dst_unused:UNUSED_PAD src0_sel:WORD_1
	v_cvt_f32_f16_e32 v8, v6
	v_cvt_f32_f16_sdwa v11, v7 dst_sel:DWORD dst_unused:UNUSED_PAD src0_sel:WORD_1
	v_cvt_f32_f16_e32 v10, v7
	v_pk_fma_f32 v[8:9], v[4:5], v[8:9], 0 op_sel_hi:[0,1,0]
	v_mov_b32_e32 v4, v5
	v_pk_fma_f32 v[4:5], v[4:5], v[10:11], v[8:9] op_sel_hi:[0,1,1]
	global_store_dwordx2 v[2:3], v[4:5], off
.LBB24_115:                             ;   in Loop: Header=BB24_14 Depth=1
	s_or_b64 exec, exec, s[42:43]
	s_movk_i32 s42, 0x47
	v_cmp_gt_i32_e32 vcc, s42, v1
	s_mov_b64 s[42:43], -1
	s_and_saveexec_b64 s[44:45], vcc
; %bb.116:                              ;   in Loop: Header=BB24_14 Depth=1
	v_cmp_eq_u32_e32 vcc, 0, v1
	s_orn2_b64 s[42:43], vcc, exec
; %bb.117:                              ;   in Loop: Header=BB24_14 Depth=1
	s_or_b64 exec, exec, s[44:45]
	s_and_b64 exec, exec, s[42:43]
	s_cbranch_execz .LBB24_170
; %bb.118:                              ;   in Loop: Header=BB24_14 Depth=1
	v_add_u32_e32 v2, s92, v191
	v_cmp_gt_i32_e32 vcc, s80, v2
	v_mov_b32_e32 v1, 0x47
	s_and_saveexec_b64 s[42:43], vcc
	s_cbranch_execz .LBB24_120
; %bb.119:                              ;   in Loop: Header=BB24_14 Depth=1
	buffer_load_dword v1, off, s[0:3], 0 offset:20 ; 4-byte Folded Reload
	v_readlane_b32 s44, v254, 47
	v_mad_u64_u32 v[2:3], s[44:45], s44, v2, v[26:27]
	v_ashrrev_i32_e32 v3, 31, v2
	v_lshlrev_b64 v[2:3], 3, v[2:3]
	v_readlane_b32 s44, v255, 2
	v_add_co_u32_e32 v2, vcc, s44, v2
	v_readlane_b32 s44, v255, 3
	s_waitcnt vmcnt(0)
	v_add_u32_e32 v1, 0, v1
	ds_read2st64_b32 v[4:5], v1 offset0:1 offset1:18
	buffer_load_dword v1, off, s[0:3], 0 offset:24 ; 4-byte Folded Reload
	s_waitcnt vmcnt(0)
	ds_read2st64_b32 v[6:7], v1 offset1:17
	v_mov_b32_e32 v1, s44
	v_addc_co_u32_e32 v3, vcc, v1, v3, vcc
	v_mov_b32_e32 v1, 0
	s_waitcnt lgkmcnt(0)
	v_cvt_f32_f16_sdwa v9, v6 dst_sel:DWORD dst_unused:UNUSED_PAD src0_sel:WORD_1
	v_cvt_f32_f16_e32 v8, v6
	v_cvt_f32_f16_sdwa v11, v7 dst_sel:DWORD dst_unused:UNUSED_PAD src0_sel:WORD_1
	v_cvt_f32_f16_e32 v10, v7
	v_pk_fma_f32 v[8:9], v[4:5], v[8:9], 0 op_sel_hi:[0,1,0]
	v_mov_b32_e32 v4, v5
	v_pk_fma_f32 v[4:5], v[4:5], v[10:11], v[8:9] op_sel_hi:[0,1,1]
	global_store_dwordx2 v[2:3], v[4:5], off
.LBB24_120:                             ;   in Loop: Header=BB24_14 Depth=1
	s_or_b64 exec, exec, s[42:43]
	s_movk_i32 s42, 0x47
	v_cmp_gt_i32_e32 vcc, s42, v1
	s_mov_b64 s[42:43], -1
	s_and_saveexec_b64 s[44:45], vcc
; %bb.121:                              ;   in Loop: Header=BB24_14 Depth=1
	v_cmp_eq_u32_e32 vcc, 0, v1
	s_orn2_b64 s[42:43], vcc, exec
; %bb.122:                              ;   in Loop: Header=BB24_14 Depth=1
	s_or_b64 exec, exec, s[44:45]
	s_and_b64 exec, exec, s[42:43]
	s_cbranch_execz .LBB24_170
; %bb.123:                              ;   in Loop: Header=BB24_14 Depth=1
	v_add_u32_e32 v2, s92, v189
	v_cmp_gt_i32_e32 vcc, s80, v2
	v_mov_b32_e32 v1, 0x47
	s_and_saveexec_b64 s[42:43], vcc
	s_cbranch_execz .LBB24_125
; %bb.124:                              ;   in Loop: Header=BB24_14 Depth=1
	buffer_load_dword v1, off, s[0:3], 0 offset:28 ; 4-byte Folded Reload
	v_readlane_b32 s44, v254, 47
	v_mad_u64_u32 v[2:3], s[44:45], s44, v2, v[26:27]
	v_ashrrev_i32_e32 v3, 31, v2
	v_lshlrev_b64 v[2:3], 3, v[2:3]
	v_readlane_b32 s44, v255, 2
	v_add_co_u32_e32 v2, vcc, s44, v2
	v_readlane_b32 s44, v255, 3
	s_waitcnt vmcnt(0)
	v_add_u32_e32 v1, 0, v1
	ds_read2st64_b32 v[4:5], v1 offset0:1 offset1:18
	buffer_load_dword v1, off, s[0:3], 0 offset:32 ; 4-byte Folded Reload
	s_waitcnt vmcnt(0)
	ds_read2st64_b32 v[6:7], v1 offset1:17
	v_mov_b32_e32 v1, s44
	v_addc_co_u32_e32 v3, vcc, v1, v3, vcc
	v_mov_b32_e32 v1, 0
	s_waitcnt lgkmcnt(0)
	v_cvt_f32_f16_sdwa v9, v6 dst_sel:DWORD dst_unused:UNUSED_PAD src0_sel:WORD_1
	v_cvt_f32_f16_e32 v8, v6
	v_cvt_f32_f16_sdwa v11, v7 dst_sel:DWORD dst_unused:UNUSED_PAD src0_sel:WORD_1
	v_cvt_f32_f16_e32 v10, v7
	v_pk_fma_f32 v[8:9], v[4:5], v[8:9], 0 op_sel_hi:[0,1,0]
	v_mov_b32_e32 v4, v5
	v_pk_fma_f32 v[4:5], v[4:5], v[10:11], v[8:9] op_sel_hi:[0,1,1]
	global_store_dwordx2 v[2:3], v[4:5], off
.LBB24_125:                             ;   in Loop: Header=BB24_14 Depth=1
	;; [unrolled: 46-line block ×10, first 2 shown]
	s_or_b64 exec, exec, s[42:43]
	s_movk_i32 s42, 0x47
	v_cmp_gt_i32_e32 vcc, s42, v1
	s_mov_b64 s[42:43], -1
	s_and_saveexec_b64 s[44:45], vcc
; %bb.166:                              ;   in Loop: Header=BB24_14 Depth=1
	v_cmp_eq_u32_e32 vcc, 0, v1
	s_orn2_b64 s[42:43], vcc, exec
; %bb.167:                              ;   in Loop: Header=BB24_14 Depth=1
	s_or_b64 exec, exec, s[44:45]
	s_and_b64 exec, exec, s[42:43]
	s_cbranch_execz .LBB24_170
; %bb.168:                              ;   in Loop: Header=BB24_14 Depth=1
	v_add_u32_e32 v1, s92, v221
	v_cmp_gt_i32_e32 vcc, s80, v1
	s_and_b64 exec, exec, vcc
	s_cbranch_execz .LBB24_170
; %bb.169:                              ;   in Loop: Header=BB24_14 Depth=1
	buffer_load_dword v2, off, s[0:3], 0 offset:100 ; 4-byte Folded Reload
	buffer_load_dword v4, off, s[0:3], 0 offset:104 ; 4-byte Folded Reload
	v_readlane_b32 s42, v254, 47
	v_mad_u64_u32 v[6:7], s[42:43], s42, v1, v[26:27]
	v_ashrrev_i32_e32 v7, 31, v6
	v_lshlrev_b64 v[6:7], 3, v[6:7]
	v_readlane_b32 s42, v255, 2
	v_add_co_u32_e32 v6, vcc, s42, v6
	v_readlane_b32 s42, v255, 3
	v_mov_b32_e32 v1, s42
	v_addc_co_u32_e32 v7, vcc, v1, v7, vcc
	s_waitcnt vmcnt(1)
	v_add_u32_e32 v2, 0, v2
	s_waitcnt vmcnt(0)
	ds_read2st64_b32 v[4:5], v4 offset1:17
	ds_read2st64_b32 v[2:3], v2 offset0:1 offset1:18
	s_waitcnt lgkmcnt(1)
	v_cvt_f32_f16_sdwa v9, v4 dst_sel:DWORD dst_unused:UNUSED_PAD src0_sel:WORD_1
	v_cvt_f32_f16_e32 v8, v4
	v_cvt_f32_f16_sdwa v11, v5 dst_sel:DWORD dst_unused:UNUSED_PAD src0_sel:WORD_1
	v_cvt_f32_f16_e32 v10, v5
	s_waitcnt lgkmcnt(0)
	v_pk_fma_f32 v[8:9], v[2:3], v[8:9], 0 op_sel_hi:[0,1,0]
	v_mov_b32_e32 v2, v3
	v_pk_fma_f32 v[2:3], v[2:3], v[10:11], v[8:9] op_sel_hi:[0,1,1]
	global_store_dwordx2 v[6:7], v[2:3], off
.LBB24_170:                             ;   in Loop: Header=BB24_14 Depth=1
	s_or_b64 exec, exec, s[40:41]
	s_barrier
	s_branch .LBB24_13
.LBB24_171:                             ;   in Loop: Header=BB24_14 Depth=1
	s_lshl_b32 s81, s81, 5
	v_add_u32_e32 v71, s81, v90
	v_cmp_le_i32_e32 vcc, s80, v71
	s_and_saveexec_b64 s[40:41], vcc
	s_xor_b64 s[40:41], exec, s[40:41]
	s_cbranch_execz .LBB24_173
; %bb.172:                              ;   in Loop: Header=BB24_14 Depth=1
	ds_write_b32 v176, v102
.LBB24_173:                             ;   in Loop: Header=BB24_14 Depth=1
	s_andn2_saveexec_b64 s[40:41], s[40:41]
	s_cbranch_execz .LBB24_175
; %bb.174:                              ;   in Loop: Header=BB24_14 Depth=1
	v_mad_u64_u32 v[2:3], s[42:43], v71, s50, v[26:27]
	v_ashrrev_i32_e32 v3, 31, v2
	v_lshlrev_b64 v[2:3], 3, v[2:3]
	v_mov_b32_e32 v1, s96
	v_add_co_u32_e32 v2, vcc, s39, v2
	v_addc_co_u32_e32 v3, vcc, v1, v3, vcc
	global_load_dwordx2 v[2:3], v[2:3], off
	s_waitcnt vmcnt(0)
	v_cvt_f16_f32_e32 v1, v2
	v_cvt_f16_f32_e32 v2, v3
	v_pack_b32_f16 v1, v1, v2
	v_pk_mul_f16 v1, v94, v1
	ds_write_b32 v176, v1
.LBB24_175:                             ;   in Loop: Header=BB24_14 Depth=1
	s_or_b64 exec, exec, s[40:41]
	v_add_u32_e32 v247, s81, v101
	v_cmp_le_i32_e32 vcc, s80, v247
	s_and_saveexec_b64 s[40:41], vcc
	s_xor_b64 s[40:41], exec, s[40:41]
	s_cbranch_execz .LBB24_177
; %bb.176:                              ;   in Loop: Header=BB24_14 Depth=1
	ds_write_b32 v176, v102 offset:1088
.LBB24_177:                             ;   in Loop: Header=BB24_14 Depth=1
	s_andn2_saveexec_b64 s[40:41], s[40:41]
	s_cbranch_execz .LBB24_179
; %bb.178:                              ;   in Loop: Header=BB24_14 Depth=1
	v_mad_u64_u32 v[2:3], s[42:43], v247, s50, v[26:27]
	v_ashrrev_i32_e32 v3, 31, v2
	v_lshlrev_b64 v[2:3], 3, v[2:3]
	v_mov_b32_e32 v1, s96
	v_add_co_u32_e32 v2, vcc, s39, v2
	v_addc_co_u32_e32 v3, vcc, v1, v3, vcc
	global_load_dwordx2 v[2:3], v[2:3], off
	s_waitcnt vmcnt(0)
	v_cvt_f16_f32_e32 v1, v2
	v_cvt_f16_f32_e32 v2, v3
	v_pack_b32_f16 v1, v1, v2
	v_pk_mul_f16 v1, v94, v1
	ds_write_b32 v176, v1 offset:1088
.LBB24_179:                             ;   in Loop: Header=BB24_14 Depth=1
	s_or_b64 exec, exec, s[40:41]
	v_add_u32_e32 v249, s81, v100
	v_cmp_le_i32_e32 vcc, s80, v249
	s_and_saveexec_b64 s[40:41], vcc
	s_xor_b64 s[40:41], exec, s[40:41]
	s_cbranch_execz .LBB24_181
; %bb.180:                              ;   in Loop: Header=BB24_14 Depth=1
	ds_write_b32 v176, v102 offset:2176
.LBB24_181:                             ;   in Loop: Header=BB24_14 Depth=1
	s_andn2_saveexec_b64 s[40:41], s[40:41]
	s_cbranch_execz .LBB24_183
; %bb.182:                              ;   in Loop: Header=BB24_14 Depth=1
	v_mad_u64_u32 v[2:3], s[42:43], v249, s50, v[26:27]
	v_ashrrev_i32_e32 v3, 31, v2
	v_lshlrev_b64 v[2:3], 3, v[2:3]
	v_mov_b32_e32 v1, s96
	v_add_co_u32_e32 v2, vcc, s39, v2
	v_addc_co_u32_e32 v3, vcc, v1, v3, vcc
	global_load_dwordx2 v[2:3], v[2:3], off
	s_waitcnt vmcnt(0)
	v_cvt_f16_f32_e32 v1, v2
	v_cvt_f16_f32_e32 v2, v3
	v_pack_b32_f16 v1, v1, v2
	v_pk_mul_f16 v1, v94, v1
	ds_write_b32 v176, v1 offset:2176
.LBB24_183:                             ;   in Loop: Header=BB24_14 Depth=1
	s_or_b64 exec, exec, s[40:41]
	v_add_u32_e32 v246, s81, v99
	v_cmp_le_i32_e32 vcc, s80, v246
	s_and_saveexec_b64 s[40:41], vcc
	s_xor_b64 s[40:41], exec, s[40:41]
	s_cbranch_execz .LBB24_185
; %bb.184:                              ;   in Loop: Header=BB24_14 Depth=1
	ds_write_b32 v176, v102 offset:3264
.LBB24_185:                             ;   in Loop: Header=BB24_14 Depth=1
	s_andn2_saveexec_b64 s[40:41], s[40:41]
	s_cbranch_execz .LBB24_187
; %bb.186:                              ;   in Loop: Header=BB24_14 Depth=1
	v_mad_u64_u32 v[2:3], s[42:43], v246, s50, v[26:27]
	v_ashrrev_i32_e32 v3, 31, v2
	v_lshlrev_b64 v[2:3], 3, v[2:3]
	v_mov_b32_e32 v1, s96
	v_add_co_u32_e32 v2, vcc, s39, v2
	v_addc_co_u32_e32 v3, vcc, v1, v3, vcc
	global_load_dwordx2 v[2:3], v[2:3], off
	s_waitcnt vmcnt(0)
	v_cvt_f16_f32_e32 v1, v2
	v_cvt_f16_f32_e32 v2, v3
	v_pack_b32_f16 v1, v1, v2
	v_pk_mul_f16 v1, v94, v1
	ds_write_b32 v176, v1 offset:3264
.LBB24_187:                             ;   in Loop: Header=BB24_14 Depth=1
	s_or_b64 exec, exec, s[40:41]
	v_add_u32_e32 v67, s81, v98
	v_cmp_le_i32_e32 vcc, s80, v67
	s_and_saveexec_b64 s[40:41], vcc
	s_xor_b64 s[40:41], exec, s[40:41]
	s_cbranch_execz .LBB24_189
; %bb.188:                              ;   in Loop: Header=BB24_14 Depth=1
	ds_write_b32 v176, v102 offset:4352
.LBB24_189:                             ;   in Loop: Header=BB24_14 Depth=1
	s_andn2_saveexec_b64 s[40:41], s[40:41]
	s_cbranch_execz .LBB24_191
; %bb.190:                              ;   in Loop: Header=BB24_14 Depth=1
	v_mad_u64_u32 v[2:3], s[42:43], v67, s50, v[26:27]
	v_ashrrev_i32_e32 v3, 31, v2
	v_lshlrev_b64 v[2:3], 3, v[2:3]
	v_mov_b32_e32 v1, s96
	v_add_co_u32_e32 v2, vcc, s39, v2
	v_addc_co_u32_e32 v3, vcc, v1, v3, vcc
	global_load_dwordx2 v[2:3], v[2:3], off
	s_waitcnt vmcnt(0)
	v_cvt_f16_f32_e32 v1, v2
	v_cvt_f16_f32_e32 v2, v3
	v_pack_b32_f16 v1, v1, v2
	v_pk_mul_f16 v1, v94, v1
	ds_write_b32 v176, v1 offset:4352
.LBB24_191:                             ;   in Loop: Header=BB24_14 Depth=1
	s_or_b64 exec, exec, s[40:41]
	v_add_u32_e32 v69, s81, v97
	v_cmp_le_i32_e32 vcc, s80, v69
	s_and_saveexec_b64 s[40:41], vcc
	s_xor_b64 s[40:41], exec, s[40:41]
	s_cbranch_execz .LBB24_193
; %bb.192:                              ;   in Loop: Header=BB24_14 Depth=1
	ds_write_b32 v176, v102 offset:5440
.LBB24_193:                             ;   in Loop: Header=BB24_14 Depth=1
	s_andn2_saveexec_b64 s[40:41], s[40:41]
	s_cbranch_execz .LBB24_195
; %bb.194:                              ;   in Loop: Header=BB24_14 Depth=1
	v_mad_u64_u32 v[2:3], s[42:43], v69, s50, v[26:27]
	v_ashrrev_i32_e32 v3, 31, v2
	v_lshlrev_b64 v[2:3], 3, v[2:3]
	v_mov_b32_e32 v1, s96
	v_add_co_u32_e32 v2, vcc, s39, v2
	v_addc_co_u32_e32 v3, vcc, v1, v3, vcc
	global_load_dwordx2 v[2:3], v[2:3], off
	s_waitcnt vmcnt(0)
	v_cvt_f16_f32_e32 v1, v2
	v_cvt_f16_f32_e32 v2, v3
	v_pack_b32_f16 v1, v1, v2
	v_pk_mul_f16 v1, v94, v1
	ds_write_b32 v176, v1 offset:5440
.LBB24_195:                             ;   in Loop: Header=BB24_14 Depth=1
	s_or_b64 exec, exec, s[40:41]
	v_add_u32_e32 v73, s81, v96
	v_cmp_le_i32_e32 vcc, s80, v73
	s_and_saveexec_b64 s[40:41], vcc
	s_xor_b64 s[40:41], exec, s[40:41]
	s_cbranch_execz .LBB24_197
; %bb.196:                              ;   in Loop: Header=BB24_14 Depth=1
	ds_write_b32 v176, v102 offset:6528
.LBB24_197:                             ;   in Loop: Header=BB24_14 Depth=1
	s_andn2_saveexec_b64 s[40:41], s[40:41]
	s_cbranch_execz .LBB24_199
; %bb.198:                              ;   in Loop: Header=BB24_14 Depth=1
	v_mad_u64_u32 v[2:3], s[42:43], v73, s50, v[26:27]
	v_ashrrev_i32_e32 v3, 31, v2
	v_lshlrev_b64 v[2:3], 3, v[2:3]
	v_mov_b32_e32 v1, s96
	v_add_co_u32_e32 v2, vcc, s39, v2
	v_addc_co_u32_e32 v3, vcc, v1, v3, vcc
	global_load_dwordx2 v[2:3], v[2:3], off
	s_waitcnt vmcnt(0)
	v_cvt_f16_f32_e32 v1, v2
	v_cvt_f16_f32_e32 v2, v3
	v_pack_b32_f16 v1, v1, v2
	v_pk_mul_f16 v1, v94, v1
	ds_write_b32 v176, v1 offset:6528
.LBB24_199:                             ;   in Loop: Header=BB24_14 Depth=1
	s_or_b64 exec, exec, s[40:41]
	v_add_u32_e32 v248, s81, v95
	v_cmp_le_i32_e32 vcc, s80, v248
	s_and_saveexec_b64 s[40:41], vcc
	s_xor_b64 s[40:41], exec, s[40:41]
	s_cbranch_execz .LBB24_201
; %bb.200:                              ;   in Loop: Header=BB24_14 Depth=1
	ds_write_b32 v176, v102 offset:7616
.LBB24_201:                             ;   in Loop: Header=BB24_14 Depth=1
	s_andn2_saveexec_b64 s[40:41], s[40:41]
	s_cbranch_execz .LBB24_203
; %bb.202:                              ;   in Loop: Header=BB24_14 Depth=1
	v_mad_u64_u32 v[2:3], s[42:43], v248, s50, v[26:27]
	v_ashrrev_i32_e32 v3, 31, v2
	v_lshlrev_b64 v[2:3], 3, v[2:3]
	v_mov_b32_e32 v1, s96
	v_add_co_u32_e32 v2, vcc, s39, v2
	v_addc_co_u32_e32 v3, vcc, v1, v3, vcc
	global_load_dwordx2 v[2:3], v[2:3], off
	s_waitcnt vmcnt(0)
	v_cvt_f16_f32_e32 v1, v2
	v_cvt_f16_f32_e32 v2, v3
	v_pack_b32_f16 v1, v1, v2
	v_pk_mul_f16 v1, v94, v1
	ds_write_b32 v176, v1 offset:7616
.LBB24_203:                             ;   in Loop: Header=BB24_14 Depth=1
	s_or_b64 exec, exec, s[40:41]
	s_waitcnt lgkmcnt(0)
	s_barrier
	ds_read2_b64 v[14:17], v104 offset1:4
	ds_read2_b64 v[10:13], v104 offset0:8 offset1:12
	ds_read2_b64 v[6:9], v104 offset0:16 offset1:20
	;; [unrolled: 1-line block ×3, first 2 shown]
	s_mov_b32 s39, 0
	s_cmp_lt_i32 s86, 2
	v_mov_b32_e32 v252, 0
	v_cmp_ne_u64_e64 s[40:41], 0, v[54:55]
	s_waitcnt lgkmcnt(0)
	s_barrier
	s_cbranch_scc1 .LBB24_214
; %bb.204:                              ;   in Loop: Header=BB24_14 Depth=1
	v_mul_hi_u32 v1, s94, v71
	v_add_u32_e32 v1, v71, v1
	v_lshrrev_b32_e32 v1, s95, v1
	v_mul_lo_u32 v1, v1, s80
	v_sub_u32_e32 v18, v71, v1
	v_mul_hi_u32 v1, s94, v247
	v_add_u32_e32 v1, v247, v1
	v_lshrrev_b32_e32 v1, s95, v1
	v_mul_lo_u32 v1, v1, s80
	v_sub_u32_e32 v19, v247, v1
	v_mul_hi_u32 v1, s94, v249
	v_add_u32_e32 v1, v249, v1
	v_lshrrev_b32_e32 v1, s95, v1
	v_mul_lo_u32 v1, v1, s80
	v_sub_u32_e32 v20, v249, v1
	v_mul_hi_u32 v1, s94, v246
	v_add_u32_e32 v1, v246, v1
	v_lshrrev_b32_e32 v1, s95, v1
	v_mul_lo_u32 v1, v1, s80
	v_sub_u32_e32 v21, v246, v1
	v_mul_hi_u32 v1, s94, v67
	v_add_u32_e32 v1, v67, v1
	v_lshrrev_b32_e32 v1, s95, v1
	v_mul_lo_u32 v1, v1, s80
	v_sub_u32_e32 v22, v67, v1
	v_mul_hi_u32 v1, s94, v69
	v_add_u32_e32 v1, v69, v1
	v_lshrrev_b32_e32 v1, s95, v1
	v_mul_lo_u32 v1, v1, s80
	v_sub_u32_e32 v23, v69, v1
	v_mul_hi_u32 v1, s94, v73
	v_add_u32_e32 v1, v73, v1
	v_lshrrev_b32_e32 v1, s95, v1
	v_mul_lo_u32 v1, v1, s80
	v_sub_u32_e32 v24, v73, v1
	v_mul_hi_u32 v1, s94, v248
	v_add_u32_e32 v1, v248, v1
	v_lshrrev_b32_e32 v1, s95, v1
	v_mul_lo_u32 v1, v1, s80
	v_sub_u32_e32 v25, v248, v1
	v_and_b32_e32 v1, 64, v245
	v_add_u32_e32 v1, 64, v1
	v_xor_b32_e32 v27, 32, v245
	v_cmp_lt_i32_e32 vcc, v27, v1
	v_cndmask_b32_e32 v27, v245, v27, vcc
	s_add_i32 s39, s86, -1
	v_lshlrev_b32_e32 v250, 2, v27
	v_xor_b32_e32 v27, 16, v245
	v_readlane_b32 s42, v255, 4
	v_readlane_b32 s43, v255, 6
	v_cmp_lt_i32_e32 vcc, v27, v1
	s_add_u32 s42, s42, s43
	v_readlane_b32 s43, v255, 5
	v_readlane_b32 s44, v255, 7
	v_cndmask_b32_e32 v1, v245, v27, vcc
	s_addc_u32 s43, s43, s44
	v_lshlrev_b32_e32 v251, 2, v1
	v_mov_b32_e32 v1, s43
	v_add_co_u32_e32 v58, vcc, s42, v225
	v_addc_co_u32_e32 v1, vcc, v226, v1, vcc
	v_mov_b32_e32 v27, s43
	v_add_co_u32_e32 v60, vcc, s42, v227
	v_addc_co_u32_e32 v27, vcc, v228, v27, vcc
	;; [unrolled: 3-line block ×3, first 2 shown]
	v_mov_b32_e32 v31, s43
	v_add_co_u32_e32 v64, vcc, s42, v231
	v_readlane_b32 s42, v255, 8
	v_readlane_b32 s43, v255, 10
	s_add_u32 s42, s42, s43
	v_readlane_b32 s43, v255, 9
	v_readlane_b32 s44, v255, 11
	v_addc_co_u32_e32 v31, vcc, v232, v31, vcc
	s_addc_u32 s43, s43, s44
	v_mov_b32_e32 v35, s43
	v_add_co_u32_e32 v66, vcc, s42, v233
	v_addc_co_u32_e32 v35, vcc, v234, v35, vcc
	v_mov_b32_e32 v53, s43
	v_add_co_u32_e32 v68, vcc, s42, v235
	v_addc_co_u32_e32 v59, vcc, v236, v53, vcc
	v_add_co_u32_e32 v70, vcc, s42, v237
	v_addc_co_u32_e32 v61, vcc, v238, v53, vcc
	v_add_co_u32_e32 v72, vcc, s42, v239
	v_readlane_b32 s42, v254, 62
	v_readlane_b32 s43, v254, 63
	s_mov_b32 s44, s42
	v_mov_b32_e32 v204, 0
	v_mov_b32_e32 v56, v52
	;; [unrolled: 1-line block ×3, first 2 shown]
	v_addc_co_u32_e32 v63, vcc, v240, v53, vcc
	v_mad_i64_i32 v[74:75], s[42:43], s44, v21, v[54:55]
	v_mad_i64_i32 v[76:77], s[42:43], s44, v20, v[54:55]
	;; [unrolled: 1-line block ×8, first 2 shown]
	v_mov_b32_e32 v198, 0
	v_mov_b32_e32 v201, 0xfeffffff
	s_mov_b32 s46, s39
	v_mov_b32_e32 v205, 0
	v_mov_b32_e32 v208, 0
	;; [unrolled: 1-line block ×15, first 2 shown]
	v_cndmask_b32_e64 v18, 0, 1, s[40:41]
	v_cmp_ne_u32_e64 s[42:43], 1, v18
	s_andn2_b64 vcc, exec, s[40:41]
	s_cbranch_vccnz .LBB24_210
.LBB24_205:                             ;   in Loop: Header=BB24_14 Depth=1
                                        ; implicit-def: $sgpr47
	s_and_saveexec_b64 s[44:45], s[4:5]
	s_xor_b64 s[44:45], exec, s[44:45]
	s_cbranch_execz .LBB24_207
; %bb.206:                              ;   in Loop: Header=BB24_14 Depth=1
	ds_write_b16 v105, v102 offset:17408
	ds_write_b16 v106, v102 offset:17408
	ds_write_b16 v107, v102 offset:17408
	ds_write_b16 v108, v102 offset:17408
	s_mov_b32 s47, 0
.LBB24_207:                             ;   in Loop: Header=BB24_14 Depth=1
	s_or_saveexec_b64 s[44:45], s[44:45]
	v_mov_b32_e32 v18, s47
	v_mov_b32_e32 v19, s47
	;; [unrolled: 1-line block ×4, first 2 shown]
	s_xor_b64 exec, exec, s[44:45]
	s_cbranch_execz .LBB24_209
; %bb.208:                              ;   in Loop: Header=BB24_14 Depth=1
	v_add_co_u32_e32 v18, vcc, v80, v28
	v_addc_co_u32_e32 v19, vcc, 0, v81, vcc
	flat_load_ushort v20, v[18:19]
	v_add_co_u32_e32 v18, vcc, v78, v28
	v_addc_co_u32_e32 v19, vcc, 0, v79, vcc
	flat_load_ushort v21, v[18:19]
	;; [unrolled: 3-line block ×4, first 2 shown]
	s_waitcnt vmcnt(0) lgkmcnt(0)
	ds_write_b16 v105, v20 offset:17408
	ds_write_b16 v106, v21 offset:17408
	;; [unrolled: 1-line block ×4, first 2 shown]
	v_add_co_u32_e32 v18, vcc, v88, v28
	v_addc_co_u32_e32 v19, vcc, 0, v89, vcc
	v_add_co_u32_e32 v20, vcc, v86, v28
	v_addc_co_u32_e32 v21, vcc, 0, v87, vcc
	flat_load_ushort v18, v[18:19]
	s_nop 0
	flat_load_ushort v19, v[20:21]
	v_add_co_u32_e32 v20, vcc, v84, v28
	v_addc_co_u32_e32 v21, vcc, 0, v85, vcc
	v_add_co_u32_e32 v22, vcc, v82, v28
	v_addc_co_u32_e32 v23, vcc, 0, v83, vcc
	flat_load_ushort v20, v[20:21]
	s_nop 0
	flat_load_ushort v21, v[22:23]
.LBB24_209:                             ;   in Loop: Header=BB24_14 Depth=1
	s_or_b64 exec, exec, s[44:45]
	s_waitcnt vmcnt(0) lgkmcnt(0)
	ds_write_b16 v109, v18 offset:17408
	ds_write_b16 v110, v19 offset:17408
	;; [unrolled: 1-line block ×4, first 2 shown]
.LBB24_210:                             ;   Parent Loop BB24_14 Depth=1
                                        ; =>  This Inner Loop Header: Depth=2
	v_add_co_u32_e32 v18, vcc, v66, v34
	v_addc_co_u32_e32 v19, vcc, 0, v35, vcc
	v_mov_b32_e32 v22, s9
	v_mov_b32_e32 v23, s8
	buffer_store_dword v102, off, s[0:3], 0
	buffer_store_dword v102, off, s[0:3], 0 offset:4
	buffer_store_dword v102, off, s[0:3], 0 offset:8
	;; [unrolled: 1-line block ×3, first 2 shown]
	v_cndmask_b32_e64 v19, v22, v19, s[6:7]
	v_cndmask_b32_e64 v18, v23, v18, s[6:7]
	flat_load_dwordx4 v[18:21], v[18:19]
	v_add_u32_e32 v53, v103, v121
	s_waitcnt vmcnt(0) lgkmcnt(0)
	ds_write_b128 v114, v[18:21]
	v_add_co_u32_e32 v18, vcc, v68, v34
	v_addc_co_u32_e32 v19, vcc, 0, v59, vcc
	v_cndmask_b32_e64 v19, v22, v19, s[58:59]
	v_cndmask_b32_e64 v18, v23, v18, s[58:59]
	flat_load_dwordx4 v[18:21], v[18:19]
	s_waitcnt vmcnt(0) lgkmcnt(0)
	ds_write_b128 v116, v[18:21]
	v_add_co_u32_e32 v18, vcc, v70, v34
	v_addc_co_u32_e32 v19, vcc, 0, v61, vcc
	v_cndmask_b32_e64 v19, v22, v19, s[10:11]
	v_cndmask_b32_e64 v18, v23, v18, s[10:11]
	flat_load_dwordx4 v[18:21], v[18:19]
	;; [unrolled: 7-line block ×3, first 2 shown]
	s_and_b64 vcc, exec, s[42:43]
	s_waitcnt vmcnt(0) lgkmcnt(0)
	ds_write_b128 v120, v[18:21]
	s_waitcnt lgkmcnt(0)
	s_barrier
	ds_read2_b64 v[18:21], v53 offset1:4
	s_waitcnt lgkmcnt(0)
	v_mfma_f32_16x16x16f16 v[22:25], v[18:19], v[14:15], 0
	v_mfma_f32_16x16x16f16 v[18:21], v[20:21], v[16:17], v[22:25]
	s_nop 7
	s_nop 1
	ds_read2_b64 v[22:25], v53 offset0:8 offset1:12
	s_waitcnt lgkmcnt(0)
	v_mfma_f32_16x16x16f16 v[18:21], v[22:23], v[10:11], v[18:21]
	v_mfma_f32_16x16x16f16 v[18:21], v[24:25], v[12:13], v[18:21]
	ds_read2_b64 v[22:25], v53 offset0:16 offset1:20
	s_waitcnt lgkmcnt(0)
	v_mfma_f32_16x16x16f16 v[18:21], v[22:23], v[6:7], v[18:21]
	v_mfma_f32_16x16x16f16 v[18:21], v[24:25], v[8:9], v[18:21]
	ds_read2_b64 v[22:25], v53 offset0:24 offset1:28
	v_add_u32_e32 v53, 0x2000, v53
	s_waitcnt lgkmcnt(0)
	v_mfma_f32_16x16x16f16 v[18:21], v[22:23], v[2:3], v[18:21]
	v_mfma_f32_16x16x16f16 v[18:21], v[24:25], v[4:5], v[18:21]
	ds_read2_b64 v[22:25], v53 offset0:64 offset1:68
	s_waitcnt lgkmcnt(0)
	v_mfma_f32_16x16x16f16 v[192:195], v[22:23], v[14:15], 0
	v_mfma_f32_16x16x16f16 v[22:25], v[24:25], v[16:17], v[192:195]
	s_nop 7
	s_nop 1
	ds_read2_b64 v[192:195], v53 offset0:72 offset1:76
	s_waitcnt lgkmcnt(0)
	v_mfma_f32_16x16x16f16 v[22:25], v[192:193], v[10:11], v[22:25]
	v_mfma_f32_16x16x16f16 v[22:25], v[194:195], v[12:13], v[22:25]
	ds_read2_b64 v[192:195], v53 offset0:80 offset1:84
	s_waitcnt lgkmcnt(0)
	v_mfma_f32_16x16x16f16 v[22:25], v[192:193], v[6:7], v[22:25]
	v_mfma_f32_16x16x16f16 v[22:25], v[194:195], v[8:9], v[22:25]
	ds_read2_b64 v[192:195], v53 offset0:88 offset1:92
	s_waitcnt lgkmcnt(0)
	s_barrier
	v_mfma_f32_16x16x16f16 v[22:25], v[192:193], v[2:3], v[22:25]
	v_mfma_f32_16x16x16f16 v[22:25], v[194:195], v[4:5], v[22:25]
	s_cbranch_vccnz .LBB24_212
; %bb.211:                              ;   in Loop: Header=BB24_210 Depth=2
	v_add_u32_e32 v53, 0x4400, v123
	ds_read2_b32 v[192:193], v53 offset1:1
	ds_read_b32 v65, v125 offset:17408
	v_mov_b32_e32 v53, v52
	s_waitcnt lgkmcnt(1)
	v_cvt_f32_f16_e32 v194, v192
	v_cvt_f32_f16_sdwa v195, v192 dst_sel:DWORD dst_unused:UNUSED_PAD src0_sel:WORD_1
	v_cvt_f32_f16_e32 v192, v193
	v_cvt_f32_f16_sdwa v193, v193 dst_sel:DWORD dst_unused:UNUSED_PAD src0_sel:WORD_1
	v_pk_fma_f32 v[18:19], v[56:57], v[194:195], v[18:19]
	v_pk_fma_f32 v[20:21], v[52:53], v[192:193], v[20:21]
	s_waitcnt lgkmcnt(0)
	v_cvt_f32_f16_sdwa v193, v65 dst_sel:DWORD dst_unused:UNUSED_PAD src0_sel:WORD_1
	v_cvt_f32_f16_e32 v192, v65
	ds_read_b32 v65, v127 offset:17408
	v_pk_fma_f32 v[22:23], v[56:57], v[192:193], v[22:23]
	s_waitcnt lgkmcnt(0)
	v_cvt_f32_f16_sdwa v195, v65 dst_sel:DWORD dst_unused:UNUSED_PAD src0_sel:WORD_1
	v_cvt_f32_f16_e32 v194, v65
	v_pk_fma_f32 v[24:25], v[52:53], v[194:195], v[24:25]
.LBB24_212:                             ;   in Loop: Header=BB24_210 Depth=2
	v_add_f32_e32 v53, 0x40051340, v18
	v_max_f32_e32 v65, v201, v201
	v_max_f32_e32 v53, v65, v53
	v_cndmask_b32_e64 v53, v201, v53, s[14:15]
	v_add_f32_e32 v65, 0x40051340, v19
	v_max_f32_e32 v186, v53, v53
	v_max_f32_e32 v65, v186, v65
	v_cndmask_b32_e64 v53, v53, v65, s[16:17]
	;; [unrolled: 4-line block ×8, first 2 shown]
	ds_bpermute_b32 v65, v250, v53
	v_max_f32_e32 v53, v53, v53
	v_cndmask_b32_e64 v20, v20, v20, s[16:17]
	v_cndmask_b32_e64 v21, v21, v21, s[16:17]
	;; [unrolled: 1-line block ×3, first 2 shown]
	s_waitcnt lgkmcnt(0)
	v_max_f32_e32 v65, v65, v65
	v_max_f32_e32 v53, v53, v65
	ds_bpermute_b32 v65, v251, v53
	v_cndmask_b32_e64 v24, v24, v24, s[22:23]
	v_cndmask_b32_e64 v25, v25, v25, s[22:23]
	v_mov_b32_e32 v195, s8
	v_mov_b32_e32 v194, s9
	s_waitcnt lgkmcnt(0)
	v_max_f32_e32 v65, v65, v65
	v_max_f32_e32 v65, v53, v65
	v_sub_f32_e32 v18, v18, v65
	v_mul_f32_e32 v53, 0x3fb8aa3b, v18
	v_fma_f32 v186, v18, s30, -v53
	v_rndne_f32_e32 v187, v53
	v_fmac_f32_e32 v186, 0x32a5705f, v18
	v_sub_f32_e32 v53, v53, v187
	v_add_f32_e32 v53, v53, v186
	v_exp_f32_e32 v53, v53
	v_cvt_i32_f32_e32 v186, v187
	v_cmp_ngt_f32_e32 vcc, s31, v18
	v_sub_f32_e32 v19, v19, v65
	v_sub_f32_e32 v20, v20, v65
	v_ldexp_f32 v53, v53, v186
	v_cndmask_b32_e32 v53, 0, v53, vcc
	v_cmp_nlt_f32_e32 vcc, s97, v18
	v_cndmask_b32_e32 v18, v243, v53, vcc
	v_mul_f32_e32 v53, 0x3fb8aa3b, v19
	v_fma_f32 v186, v19, s30, -v53
	v_rndne_f32_e32 v187, v53
	v_fmac_f32_e32 v186, 0x32a5705f, v19
	v_sub_f32_e32 v53, v53, v187
	v_add_f32_e32 v53, v53, v186
	v_exp_f32_e32 v53, v53
	v_cvt_i32_f32_e32 v186, v187
	v_cmp_ngt_f32_e32 vcc, s31, v19
	v_cndmask_b32_e64 v18, 0, v18, s[14:15]
	buffer_store_dword v102, off, s[0:3], 0
	buffer_store_dword v102, off, s[0:3], 0 offset:4
	buffer_store_dword v102, off, s[0:3], 0 offset:8
	;; [unrolled: 1-line block ×3, first 2 shown]
	v_ldexp_f32 v53, v53, v186
	v_cndmask_b32_e32 v53, 0, v53, vcc
	v_cmp_nlt_f32_e32 vcc, s97, v19
	v_cndmask_b32_e32 v53, v243, v53, vcc
	v_mov_b32_e32 v19, s93
	v_add_f32_e32 v186, v53, v18
	v_cndmask_b32_e64 v187, v19, v53, s[16:17]
	v_mul_f32_e32 v53, 0x3fb8aa3b, v20
	v_cndmask_b32_e64 v19, v18, v186, s[16:17]
	v_fma_f32 v186, v20, s30, -v53
	v_rndne_f32_e32 v192, v53
	v_fmac_f32_e32 v186, 0x32a5705f, v20
	v_sub_f32_e32 v53, v53, v192
	v_add_f32_e32 v53, v53, v186
	v_exp_f32_e32 v53, v53
	v_cvt_i32_f32_e32 v186, v192
	v_cmp_ngt_f32_e32 vcc, s31, v20
	v_cvt_f16_f32_e32 v18, v18
	s_add_i32 s46, s46, -1
	v_ldexp_f32 v53, v53, v186
	v_cndmask_b32_e32 v53, 0, v53, vcc
	v_cmp_nlt_f32_e32 vcc, s97, v20
	v_cndmask_b32_e32 v53, v243, v53, vcc
	v_add_f32_e32 v186, v19, v53
	v_mov_b32_e32 v20, s93
	v_cndmask_b32_e64 v192, v20, v53, s[18:19]
	v_cndmask_b32_e64 v20, v19, v186, s[18:19]
	v_sub_f32_e32 v19, v21, v65
	v_mul_f32_e32 v21, 0x3fb8aa3b, v19
	v_fma_f32 v53, v19, s30, -v21
	v_rndne_f32_e32 v186, v21
	v_fmac_f32_e32 v53, 0x32a5705f, v19
	v_sub_f32_e32 v21, v21, v186
	v_add_f32_e32 v21, v21, v53
	v_exp_f32_e32 v21, v21
	v_cvt_i32_f32_e32 v53, v186
	v_cmp_ngt_f32_e32 vcc, s31, v19
	s_cmp_lg_u32 s46, 0
	v_ldexp_f32 v21, v21, v53
	v_cndmask_b32_e32 v21, 0, v21, vcc
	v_cmp_nlt_f32_e32 vcc, s97, v19
	v_cndmask_b32_e32 v21, v243, v21, vcc
	v_add_f32_e32 v53, v20, v21
	v_mov_b32_e32 v19, s93
	v_cndmask_b32_e64 v21, v19, v21, s[20:21]
	v_cndmask_b32_e64 v19, v20, v53, s[20:21]
	v_sub_f32_e32 v20, v22, v65
	v_mul_f32_e32 v22, 0x3fb8aa3b, v20
	v_fma_f32 v53, v20, s30, -v22
	v_rndne_f32_e32 v186, v22
	v_fmac_f32_e32 v53, 0x32a5705f, v20
	v_sub_f32_e32 v22, v22, v186
	v_add_f32_e32 v22, v22, v53
	v_exp_f32_e32 v22, v22
	v_cvt_i32_f32_e32 v53, v186
	v_cmp_ngt_f32_e32 vcc, s31, v20
	v_cvt_f16_f32_e32 v21, v21
	v_ldexp_f32 v22, v22, v53
	v_cndmask_b32_e32 v22, 0, v22, vcc
	v_cmp_nlt_f32_e32 vcc, s97, v20
	v_cndmask_b32_e32 v22, v243, v22, vcc
	v_add_f32_e32 v53, v22, v19
	v_mov_b32_e32 v20, s93
	v_cndmask_b32_e64 v22, v20, v22, s[22:23]
	v_cndmask_b32_e64 v20, v19, v53, s[22:23]
	v_sub_f32_e32 v19, v23, v65
	v_mul_f32_e32 v23, 0x3fb8aa3b, v19
	v_fma_f32 v53, v19, s30, -v23
	v_rndne_f32_e32 v186, v23
	v_fmac_f32_e32 v53, 0x32a5705f, v19
	v_sub_f32_e32 v23, v23, v186
	v_add_f32_e32 v23, v23, v53
	v_exp_f32_e32 v23, v23
	v_cvt_i32_f32_e32 v53, v186
	v_cmp_ngt_f32_e32 vcc, s31, v19
	v_ldexp_f32 v23, v23, v53
	v_cndmask_b32_e32 v23, 0, v23, vcc
	v_cmp_nlt_f32_e32 vcc, s97, v19
	v_cndmask_b32_e32 v23, v243, v23, vcc
	v_add_f32_e32 v53, v23, v20
	v_mov_b32_e32 v19, s93
	v_cndmask_b32_e64 v23, v19, v23, s[24:25]
	v_cndmask_b32_e64 v19, v20, v53, s[24:25]
	v_sub_f32_e32 v20, v24, v65
	v_mul_f32_e32 v24, 0x3fb8aa3b, v20
	v_fma_f32 v53, v20, s30, -v24
	v_rndne_f32_e32 v186, v24
	v_fmac_f32_e32 v53, 0x32a5705f, v20
	v_sub_f32_e32 v24, v24, v186
	v_add_f32_e32 v24, v24, v53
	v_exp_f32_e32 v24, v24
	v_cvt_i32_f32_e32 v53, v186
	v_cmp_ngt_f32_e32 vcc, s31, v20
	;; [unrolled: 18-line block ×3, first 2 shown]
	v_ldexp_f32 v25, v25, v53
	v_cndmask_b32_e32 v25, 0, v25, vcc
	v_cmp_nlt_f32_e32 vcc, s97, v19
	v_cndmask_b32_e32 v25, v243, v25, vcc
	v_add_f32_e32 v53, v25, v20
	v_mov_b32_e32 v19, s93
	v_cndmask_b32_e64 v53, v20, v53, s[28:29]
	v_sub_f32_e32 v20, v201, v65
	v_cndmask_b32_e64 v19, v19, v25, s[28:29]
	v_mul_f32_e32 v25, 0x3fb8aa3b, v20
	v_fma_f32 v186, v20, s30, -v25
	v_rndne_f32_e32 v193, v25
	v_fmac_f32_e32 v186, 0x32a5705f, v20
	v_sub_f32_e32 v25, v25, v193
	v_add_f32_e32 v25, v25, v186
	v_exp_f32_e32 v25, v25
	v_cvt_i32_f32_e32 v186, v193
	v_cmp_ngt_f32_e32 vcc, s31, v20
	v_cvt_f16_f32_e32 v19, v19
	v_ldexp_f32 v25, v25, v186
	v_cndmask_b32_e32 v25, 0, v25, vcc
	v_cmp_nlt_f32_e32 vcc, s97, v20
	v_cndmask_b32_e32 v25, v243, v25, vcc
	v_cmp_le_f32_e32 vcc, s84, v20
	v_cndmask_b32_e32 v20, 0, v25, vcc
	v_fmac_f32_e32 v53, v198, v20
	v_cvt_f16_f32_e32 v20, v20
	v_pk_mul_f16 v253, v20, v253 op_sel_hi:[0,1]
	v_pk_mul_f16 v252, v20, v252 op_sel_hi:[0,1]
	;; [unrolled: 1-line block ×16, first 2 shown]
	v_cvt_f16_f32_e32 v20, v187
	v_pack_b32_f16 v20, v18, v20
	v_cvt_f16_f32_e32 v18, v192
	v_pack_b32_f16 v21, v18, v21
	v_cvt_f16_f32_e32 v18, v22
	v_cvt_f16_f32_e32 v22, v23
	v_pack_b32_f16 v18, v18, v22
	v_cvt_f16_f32_e32 v22, v24
	v_pack_b32_f16 v19, v22, v19
	v_add_co_u32_e32 v22, vcc, v58, v34
	v_addc_co_u32_e32 v23, vcc, 0, v1, vcc
	v_cndmask_b32_e64 v192, v195, v22, s[6:7]
	v_add_co_u32_e32 v22, vcc, v60, v34
	v_cndmask_b32_e64 v193, v194, v23, s[6:7]
	v_addc_co_u32_e32 v23, vcc, 0, v27, vcc
	v_cndmask_b32_e64 v186, v195, v22, s[58:59]
	v_add_co_u32_e32 v22, vcc, v62, v34
	v_cndmask_b32_e64 v187, v194, v23, s[58:59]
	;; [unrolled: 4-line block ×3, first 2 shown]
	v_addc_co_u32_e32 v23, vcc, 0, v31, vcc
	v_cndmask_b32_e64 v23, v194, v23, s[12:13]
	v_cndmask_b32_e64 v22, v195, v22, s[12:13]
	flat_load_dwordx4 v[192:195], v[192:193]
	v_add_co_u32_e32 v58, vcc, s34, v58
	s_waitcnt vmcnt(0) lgkmcnt(0)
	ds_write_b128 v114, v[192:195]
	flat_load_dwordx4 v[192:195], v[186:187]
	s_waitcnt vmcnt(0) lgkmcnt(0)
	ds_write_b128 v116, v[192:195]
	flat_load_dwordx4 v[192:195], v[24:25]
	;; [unrolled: 3-line block ×3, first 2 shown]
	s_waitcnt vmcnt(0) lgkmcnt(0)
	ds_write_b128 v120, v[22:25]
	s_waitcnt lgkmcnt(0)
	s_barrier
	ds_read_u16 v186, v129 offset:272
	ds_read_u16 v187, v129 offset:544
	ds_read_u16 v192, v130
	ds_read_u16 v193, v130 offset:32
	v_cvt_f32_f16_e32 v22, v253
	v_cvt_f32_f16_sdwa v23, v253 dst_sel:DWORD dst_unused:UNUSED_PAD src0_sel:WORD_1
	v_cvt_f32_f16_e32 v24, v252
	s_waitcnt lgkmcnt(1)
	v_perm_b32 v187, v192, v187, s85
	ds_read_u16 v192, v128
	ds_read_u16 v194, v128 offset:32
	v_cvt_f32_f16_sdwa v25, v252 dst_sel:DWORD dst_unused:UNUSED_PAD src0_sel:WORD_1
	s_waitcnt lgkmcnt(1)
	v_perm_b32 v186, v186, v192, s85
	s_nop 1
	v_mfma_f32_16x16x16f16 v[22:25], v[186:187], v[20:21], v[22:25]
	ds_read_u16 v186, v128 offset:8704
	ds_read_u16 v192, v131 offset:272
	ds_read_u16 v187, v131 offset:544
	ds_read_u16 v195, v130 offset:8704
	s_waitcnt lgkmcnt(2)
	v_perm_b32 v186, v192, v186, s85
	s_waitcnt lgkmcnt(0)
	v_perm_b32 v187, v195, v187, s85
	s_nop 2
	v_cvt_f16_f32_e32 v22, v22
	v_cvt_f16_f32_e32 v23, v23
	;; [unrolled: 1-line block ×4, first 2 shown]
	v_cvt_f32_f16_e32 v22, v22
	v_cvt_f32_f16_e32 v23, v23
	;; [unrolled: 1-line block ×4, first 2 shown]
	s_nop 1
	v_mfma_f32_16x16x16f16 v[22:25], v[186:187], v[18:19], v[22:25]
	ds_read_u16 v186, v132 offset:272
	ds_read_u16 v187, v132 offset:544
	s_waitcnt lgkmcnt(1)
	v_perm_b32 v186, v186, v194, s85
	s_waitcnt lgkmcnt(0)
	v_perm_b32 v187, v193, v187, s85
	s_nop 4
	v_cvt_f16_f32_e32 v22, v22
	v_cvt_f16_f32_e32 v23, v23
	v_cvt_f16_f32_e32 v24, v24
	v_cvt_f16_f32_e32 v25, v25
	v_pack_b32_f16 v253, v22, v23
	v_cvt_f32_f16_e32 v22, v198
	v_pack_b32_f16 v252, v24, v25
	v_cvt_f32_f16_sdwa v23, v198 dst_sel:DWORD dst_unused:UNUSED_PAD src0_sel:WORD_1
	v_cvt_f32_f16_e32 v24, v216
	v_cvt_f32_f16_sdwa v25, v216 dst_sel:DWORD dst_unused:UNUSED_PAD src0_sel:WORD_1
	s_nop 1
	v_mfma_f32_16x16x16f16 v[22:25], v[186:187], v[20:21], v[22:25]
	ds_read_u16 v186, v133 offset:8704
	ds_read_u16 v192, v134 offset:272
	ds_read_u16 v187, v135 offset:544
	ds_read_u16 v193, v136 offset:8704
	s_waitcnt lgkmcnt(2)
	v_perm_b32 v186, v192, v186, s85
	s_waitcnt lgkmcnt(0)
	v_perm_b32 v187, v193, v187, s85
	s_nop 2
	v_cvt_f16_f32_e32 v22, v22
	v_cvt_f16_f32_e32 v23, v23
	v_cvt_f16_f32_e32 v24, v24
	v_cvt_f16_f32_e32 v25, v25
	v_cvt_f32_f16_e32 v22, v22
	v_cvt_f32_f16_e32 v23, v23
	v_cvt_f32_f16_e32 v24, v24
	v_cvt_f32_f16_e32 v25, v25
	s_nop 1
	v_mfma_f32_16x16x16f16 v[22:25], v[186:187], v[18:19], v[22:25]
	ds_read_u16 v186, v128 offset:64
	ds_read_u16 v192, v137 offset:272
	ds_read_u16 v187, v137 offset:544
	ds_read_u16 v193, v130 offset:64
	s_waitcnt lgkmcnt(2)
	v_perm_b32 v186, v192, v186, s85
	s_waitcnt lgkmcnt(0)
	v_perm_b32 v187, v193, v187, s85
	s_nop 2
	v_cvt_f16_f32_e32 v22, v22
	v_cvt_f16_f32_e32 v23, v23
	v_cvt_f16_f32_e32 v24, v24
	v_cvt_f16_f32_e32 v25, v25
	v_pack_b32_f16 v216, v22, v23
	v_cvt_f32_f16_e32 v22, v202
	v_pack_b32_f16 v219, v24, v25
	v_cvt_f32_f16_sdwa v23, v202 dst_sel:DWORD dst_unused:UNUSED_PAD src0_sel:WORD_1
	v_cvt_f32_f16_e32 v24, v217
	v_cvt_f32_f16_sdwa v25, v217 dst_sel:DWORD dst_unused:UNUSED_PAD src0_sel:WORD_1
	s_nop 1
	v_mfma_f32_16x16x16f16 v[22:25], v[186:187], v[20:21], v[22:25]
	ds_read_u16 v186, v138 offset:8704
	ds_read_u16 v192, v139 offset:272
	ds_read_u16 v187, v140 offset:544
	ds_read_u16 v193, v141 offset:8704
	s_waitcnt lgkmcnt(2)
	v_perm_b32 v186, v192, v186, s85
	s_waitcnt lgkmcnt(0)
	v_perm_b32 v187, v193, v187, s85
	s_nop 2
	v_cvt_f16_f32_e32 v22, v22
	v_cvt_f16_f32_e32 v23, v23
	v_cvt_f16_f32_e32 v24, v24
	v_cvt_f16_f32_e32 v25, v25
	v_cvt_f32_f16_e32 v22, v22
	v_cvt_f32_f16_e32 v23, v23
	v_cvt_f32_f16_e32 v24, v24
	v_cvt_f32_f16_e32 v25, v25
	s_nop 1
	v_mfma_f32_16x16x16f16 v[22:25], v[186:187], v[18:19], v[22:25]
	ds_read_u16 v186, v128 offset:96
	ds_read_u16 v192, v142 offset:272
	;; [unrolled: 40-line block ×6, first 2 shown]
	ds_read_u16 v187, v162 offset:544
	ds_read_u16 v193, v130 offset:224
	s_waitcnt lgkmcnt(2)
	v_perm_b32 v186, v192, v186, s85
	s_waitcnt lgkmcnt(0)
	v_perm_b32 v187, v193, v187, s85
	s_nop 2
	v_cvt_f16_f32_e32 v22, v22
	v_cvt_f16_f32_e32 v23, v23
	;; [unrolled: 1-line block ×4, first 2 shown]
	v_pack_b32_f16 v208, v22, v23
	v_cvt_f32_f16_e32 v22, v201
	v_pack_b32_f16 v207, v24, v25
	v_cvt_f32_f16_sdwa v23, v201 dst_sel:DWORD dst_unused:UNUSED_PAD src0_sel:WORD_1
	v_cvt_f32_f16_e32 v24, v204
	v_cvt_f32_f16_sdwa v25, v204 dst_sel:DWORD dst_unused:UNUSED_PAD src0_sel:WORD_1
	s_nop 1
	v_mfma_f32_16x16x16f16 v[20:23], v[186:187], v[20:21], v[22:25]
	s_nop 6
	ds_read_u16 v24, v163 offset:8704
	ds_read_u16 v186, v164 offset:272
	;; [unrolled: 1-line block ×4, first 2 shown]
	s_waitcnt lgkmcnt(0)
	s_barrier
	v_perm_b32 v24, v186, v24, s85
	v_perm_b32 v25, v187, v25, s85
	v_cvt_f16_f32_e32 v20, v20
	v_cvt_f16_f32_e32 v21, v21
	;; [unrolled: 1-line block ×4, first 2 shown]
	v_cvt_f32_f16_e32 v20, v20
	v_cvt_f32_f16_e32 v21, v21
	;; [unrolled: 1-line block ×4, first 2 shown]
	s_nop 1
	v_mfma_f32_16x16x16f16 v[18:21], v[24:25], v[18:19], v[20:23]
	s_nop 7
	s_nop 2
	v_cvt_f16_f32_e32 v18, v18
	v_cvt_f16_f32_e32 v19, v19
	;; [unrolled: 1-line block ×4, first 2 shown]
	v_pack_b32_f16 v204, v18, v19
	v_mov_b32_e32 v18, s35
	v_addc_co_u32_e32 v1, vcc, v1, v18, vcc
	v_add_co_u32_e32 v60, vcc, s34, v60
	v_addc_co_u32_e32 v27, vcc, v27, v18, vcc
	v_add_co_u32_e32 v62, vcc, s34, v62
	;; [unrolled: 2-line block ×4, first 2 shown]
	v_mov_b32_e32 v18, s91
	v_addc_co_u32_e32 v35, vcc, v35, v18, vcc
	v_add_co_u32_e32 v68, vcc, s90, v68
	v_addc_co_u32_e32 v59, vcc, v59, v18, vcc
	v_add_co_u32_e32 v70, vcc, s90, v70
	;; [unrolled: 2-line block ×11, first 2 shown]
	v_pack_b32_f16 v205, v20, v21
	v_addc_co_u32_e32 v89, vcc, 0, v89, vcc
	s_cbranch_scc0 .LBB24_215
; %bb.213:                              ;   in Loop: Header=BB24_210 Depth=2
	v_mov_b32_e32 v198, v53
	v_mov_b32_e32 v201, v65
	v_cndmask_b32_e64 v18, 0, 1, s[40:41]
	v_cmp_ne_u32_e64 s[42:43], 1, v18
	s_andn2_b64 vcc, exec, s[40:41]
	s_cbranch_vccz .LBB24_205
	s_branch .LBB24_210
.LBB24_214:                             ;   in Loop: Header=BB24_14 Depth=1
	v_mov_b32_e32 v53, 0
	v_mov_b32_e32 v65, 0xfeffffff
	;; [unrolled: 1-line block ×17, first 2 shown]
.LBB24_215:                             ;   in Loop: Header=BB24_14 Depth=1
	s_lshl_b32 s92, s39, 6
	v_readlane_b32 s40, v254, 4
	v_cmp_eq_u64_e32 vcc, 0, v[54:55]
	s_sub_i32 s39, s40, s92
	v_cmp_ne_u64_e64 s[48:49], 0, v[54:55]
	v_readlane_b32 s41, v254, 5
	s_cbranch_vccnz .LBB24_225
; %bb.216:                              ;   in Loop: Header=BB24_14 Depth=1
	v_cmp_le_i32_e32 vcc, s39, v26
                                        ; implicit-def: $sgpr44
	s_and_saveexec_b64 s[40:41], vcc
	s_xor_b64 s[40:41], exec, s[40:41]
	s_cbranch_execz .LBB24_218
; %bb.217:                              ;   in Loop: Header=BB24_14 Depth=1
	ds_write_b16 v105, v102 offset:17408
	ds_write_b16 v106, v102 offset:17408
	s_mov_b32 s44, 0
                                        ; implicit-def: $vgpr71
                                        ; implicit-def: $vgpr247
                                        ; implicit-def: $vgpr249
                                        ; implicit-def: $vgpr246
.LBB24_218:                             ;   in Loop: Header=BB24_14 Depth=1
	s_or_saveexec_b64 s[42:43], s[40:41]
	s_lshl_b64 s[40:41], s[92:93], 1
	v_mov_b32_e32 v1, s41
	v_add_co_u32_e64 v18, s[40:41], s40, v54
	v_addc_co_u32_e64 v19, s[40:41], v55, v1, s[40:41]
	v_lshlrev_b32_e32 v1, 1, v26
	v_add_co_u32_e64 v1, s[40:41], v18, v1
	v_addc_co_u32_e64 v18, s[40:41], 0, v19, s[40:41]
	v_mov_b32_e32 v19, s44
	v_mov_b32_e32 v20, s44
	s_xor_b64 exec, exec, s[42:43]
	s_cbranch_execz .LBB24_220
; %bb.219:                              ;   in Loop: Header=BB24_14 Depth=1
	v_mul_hi_u32 v19, s94, v71
	v_add_u32_e32 v19, v71, v19
	v_lshrrev_b32_e32 v19, s95, v19
	v_mul_lo_u32 v19, v19, s80
	v_readlane_b32 s40, v254, 60
	v_sub_u32_e32 v19, v71, v19
	v_readlane_b32 s41, v254, 61
	s_mov_b32 s44, s40
	v_mad_i64_i32 v[20:21], s[40:41], v19, s44, 0
	v_lshlrev_b64 v[20:21], 1, v[20:21]
	v_add_co_u32_e64 v20, s[40:41], v1, v20
	v_addc_co_u32_e64 v21, s[40:41], v18, v21, s[40:41]
	flat_load_ushort v19, v[20:21]
	v_mul_hi_u32 v20, s94, v247
	v_add_u32_e32 v20, v247, v20
	v_lshrrev_b32_e32 v20, s95, v20
	v_mul_lo_u32 v20, v20, s80
	v_sub_u32_e32 v20, v247, v20
	v_mad_i64_i32 v[20:21], s[40:41], v20, s44, 0
	v_lshlrev_b64 v[20:21], 1, v[20:21]
	v_add_co_u32_e64 v20, s[40:41], v1, v20
	v_addc_co_u32_e64 v21, s[40:41], v18, v21, s[40:41]
	flat_load_ushort v20, v[20:21]
	s_waitcnt vmcnt(0) lgkmcnt(0)
	ds_write_b16 v105, v19 offset:17408
	ds_write_b16 v106, v20 offset:17408
	v_mul_hi_u32 v19, s94, v249
	v_add_u32_e32 v19, v249, v19
	v_lshrrev_b32_e32 v19, s95, v19
	v_mul_lo_u32 v19, v19, s80
	v_sub_u32_e32 v19, v249, v19
	v_mad_i64_i32 v[20:21], s[40:41], v19, s44, 0
	v_lshlrev_b64 v[20:21], 1, v[20:21]
	v_add_co_u32_e64 v20, s[40:41], v1, v20
	v_addc_co_u32_e64 v21, s[40:41], v18, v21, s[40:41]
	flat_load_ushort v19, v[20:21]
	v_mul_hi_u32 v20, s94, v246
	v_add_u32_e32 v20, v246, v20
	v_lshrrev_b32_e32 v20, s95, v20
	v_mul_lo_u32 v20, v20, s80
	v_sub_u32_e32 v20, v246, v20
	v_mad_i64_i32 v[20:21], s[40:41], v20, s44, 0
	v_lshlrev_b64 v[20:21], 1, v[20:21]
	v_add_co_u32_e64 v20, s[40:41], v1, v20
	v_addc_co_u32_e64 v21, s[40:41], v18, v21, s[40:41]
	flat_load_ushort v20, v[20:21]
.LBB24_220:                             ;   in Loop: Header=BB24_14 Depth=1
	s_or_b64 exec, exec, s[42:43]
	s_waitcnt vmcnt(0) lgkmcnt(0)
	ds_write_b16 v107, v19 offset:17408
	ds_write_b16 v108, v20 offset:17408
                                        ; implicit-def: $sgpr42
	s_and_saveexec_b64 s[40:41], vcc
	s_xor_b64 s[40:41], exec, s[40:41]
	s_cbranch_execz .LBB24_222
; %bb.221:                              ;   in Loop: Header=BB24_14 Depth=1
	ds_write_b16 v109, v102 offset:17408
	ds_write_b16 v110, v102 offset:17408
	s_mov_b32 s42, 0
                                        ; implicit-def: $vgpr67
                                        ; implicit-def: $vgpr1
                                        ; implicit-def: $vgpr18
                                        ; implicit-def: $vgpr69
                                        ; implicit-def: $vgpr73
                                        ; implicit-def: $vgpr248
.LBB24_222:                             ;   in Loop: Header=BB24_14 Depth=1
	s_or_saveexec_b64 s[40:41], s[40:41]
	v_mov_b32_e32 v19, s42
	v_mov_b32_e32 v20, s42
	s_xor_b64 exec, exec, s[40:41]
	s_cbranch_execz .LBB24_224
; %bb.223:                              ;   in Loop: Header=BB24_14 Depth=1
	v_mul_hi_u32 v19, s94, v67
	v_add_u32_e32 v19, v67, v19
	v_lshrrev_b32_e32 v19, s95, v19
	v_mul_lo_u32 v19, v19, s80
	v_readlane_b32 s42, v254, 60
	v_sub_u32_e32 v19, v67, v19
	v_readlane_b32 s43, v254, 61
	s_mov_b32 s44, s42
	v_mad_i64_i32 v[20:21], s[42:43], v19, s44, 0
	v_lshlrev_b64 v[20:21], 1, v[20:21]
	v_add_co_u32_e32 v20, vcc, v1, v20
	v_addc_co_u32_e32 v21, vcc, v18, v21, vcc
	flat_load_ushort v19, v[20:21]
	v_mul_hi_u32 v20, s94, v69
	v_add_u32_e32 v20, v69, v20
	v_lshrrev_b32_e32 v20, s95, v20
	v_mul_lo_u32 v20, v20, s80
	v_sub_u32_e32 v20, v69, v20
	v_mad_i64_i32 v[20:21], s[42:43], v20, s44, 0
	v_lshlrev_b64 v[20:21], 1, v[20:21]
	v_add_co_u32_e32 v20, vcc, v1, v20
	v_addc_co_u32_e32 v21, vcc, v18, v21, vcc
	flat_load_ushort v20, v[20:21]
	s_waitcnt vmcnt(0) lgkmcnt(0)
	ds_write_b16 v109, v19 offset:17408
	ds_write_b16 v110, v20 offset:17408
	v_mul_hi_u32 v19, s94, v73
	v_add_u32_e32 v19, v73, v19
	v_lshrrev_b32_e32 v19, s95, v19
	v_mul_lo_u32 v19, v19, s80
	v_sub_u32_e32 v19, v73, v19
	v_mad_i64_i32 v[20:21], s[42:43], v19, s44, 0
	v_lshlrev_b64 v[20:21], 1, v[20:21]
	v_add_co_u32_e32 v20, vcc, v1, v20
	v_addc_co_u32_e32 v21, vcc, v18, v21, vcc
	flat_load_ushort v19, v[20:21]
	v_mul_hi_u32 v20, s94, v248
	v_add_u32_e32 v20, v248, v20
	v_lshrrev_b32_e32 v20, s95, v20
	v_mul_lo_u32 v20, v20, s80
	v_sub_u32_e32 v20, v248, v20
	v_mad_i64_i32 v[20:21], s[42:43], v20, s44, 0
	v_lshlrev_b64 v[20:21], 1, v[20:21]
	v_add_co_u32_e32 v20, vcc, v1, v20
	v_addc_co_u32_e32 v21, vcc, v18, v21, vcc
	flat_load_ushort v20, v[20:21]
.LBB24_224:                             ;   in Loop: Header=BB24_14 Depth=1
	s_or_b64 exec, exec, s[40:41]
	s_waitcnt vmcnt(0) lgkmcnt(0)
	ds_write_b16 v111, v19 offset:17408
	ds_write_b16 v112, v20 offset:17408
.LBB24_225:                             ;   in Loop: Header=BB24_14 Depth=1
	s_mul_i32 s40, s92, s83
	s_mul_hi_u32 s41, s92, s82
	s_add_i32 s41, s41, s40
	s_mul_i32 s40, s92, s82
	s_lshl_b64 s[40:41], s[40:41], 2
	s_add_u32 s38, s38, s40
	s_addc_u32 s37, s37, s41
	v_mov_b32_e32 v1, s37
	v_add_co_u32_e32 v18, vcc, s38, v44
	v_addc_co_u32_e32 v1, vcc, v1, v45, vcc
	v_lshlrev_b32_e32 v20, 2, v30
	v_add_co_u32_e32 v18, vcc, v18, v20
	v_addc_co_u32_e32 v1, vcc, 0, v1, vcc
	v_mov_b32_e32 v21, s9
	v_cmp_gt_i32_e64 s[46:47], s39, v113
	v_cndmask_b32_e64 v19, v21, v1, s[46:47]
	v_mov_b32_e32 v1, s8
	buffer_store_dword v102, off, s[0:3], 0
	buffer_store_dword v102, off, s[0:3], 0 offset:4
	buffer_store_dword v102, off, s[0:3], 0 offset:8
	;; [unrolled: 1-line block ×3, first 2 shown]
	v_cndmask_b32_e64 v18, v1, v18, s[46:47]
	flat_load_dwordx4 v[22:25], v[18:19]
	v_mov_b32_e32 v18, s37
	v_add_co_u32_e32 v19, vcc, s38, v46
	v_addc_co_u32_e32 v18, vcc, v18, v47, vcc
	v_add_co_u32_e32 v27, vcc, v19, v20
	v_addc_co_u32_e32 v18, vcc, 0, v18, vcc
	v_cmp_gt_i32_e64 s[44:45], s39, v115
	v_cndmask_b32_e64 v19, v21, v18, s[44:45]
	v_cndmask_b32_e64 v18, v1, v27, s[44:45]
	v_cmp_gt_i32_e64 s[40:41], s39, v117
	v_cmp_gt_i32_e64 s[42:43], s39, v119
	s_waitcnt vmcnt(0) lgkmcnt(0)
	ds_write_b128 v114, v[22:25]
	flat_load_dwordx4 v[22:25], v[18:19]
	v_mov_b32_e32 v18, s37
	v_add_co_u32_e32 v19, vcc, s38, v48
	v_addc_co_u32_e32 v18, vcc, v18, v49, vcc
	v_add_co_u32_e32 v27, vcc, v19, v20
	v_addc_co_u32_e32 v18, vcc, 0, v18, vcc
	v_cndmask_b32_e64 v19, v21, v18, s[40:41]
	v_cndmask_b32_e64 v18, v1, v27, s[40:41]
	s_waitcnt vmcnt(0) lgkmcnt(0)
	ds_write_b128 v116, v[22:25]
	flat_load_dwordx4 v[22:25], v[18:19]
	v_mov_b32_e32 v18, s37
	v_add_co_u32_e32 v19, vcc, s38, v50
	v_addc_co_u32_e32 v18, vcc, v18, v51, vcc
	v_add_co_u32_e32 v27, vcc, v19, v20
	v_addc_co_u32_e32 v18, vcc, 0, v18, vcc
	v_cndmask_b32_e64 v19, v21, v18, s[42:43]
	v_cndmask_b32_e64 v18, v1, v27, s[42:43]
	v_add_u32_e32 v1, v103, v121
	s_andn2_b64 vcc, exec, s[48:49]
	s_waitcnt vmcnt(0) lgkmcnt(0)
	ds_write_b128 v118, v[22:25]
	flat_load_dwordx4 v[22:25], v[18:19]
	v_add_u32_e32 v18, 0x2000, v1
	s_waitcnt vmcnt(0) lgkmcnt(0)
	ds_write_b128 v120, v[22:25]
	s_waitcnt lgkmcnt(0)
	s_barrier
	ds_read2_b64 v[22:25], v1 offset1:4
	ds_read2_b64 v[58:61], v18 offset0:64 offset1:68
	s_waitcnt lgkmcnt(1)
	v_mfma_f32_16x16x16f16 v[54:57], v[22:23], v[14:15], 0
	s_waitcnt lgkmcnt(0)
	v_mfma_f32_16x16x16f16 v[66:69], v[58:59], v[14:15], 0
	v_mfma_f32_16x16x16f16 v[22:25], v[24:25], v[16:17], v[54:57]
	;; [unrolled: 1-line block ×3, first 2 shown]
	s_nop 6
	ds_read2_b64 v[54:57], v1 offset0:8 offset1:12
	ds_read2_b64 v[58:61], v18 offset0:72 offset1:76
	s_waitcnt lgkmcnt(1)
	v_mfma_f32_16x16x16f16 v[22:25], v[54:55], v[10:11], v[22:25]
	s_waitcnt lgkmcnt(0)
	v_mfma_f32_16x16x16f16 v[14:17], v[58:59], v[10:11], v[14:17]
	v_mfma_f32_16x16x16f16 v[22:25], v[56:57], v[12:13], v[22:25]
	ds_read2_b64 v[54:57], v18 offset0:80 offset1:84
	v_mfma_f32_16x16x16f16 v[10:13], v[60:61], v[12:13], v[14:17]
	s_nop 7
	ds_read2_b64 v[14:17], v1 offset0:16 offset1:20
	s_waitcnt lgkmcnt(0)
	v_mfma_f32_16x16x16f16 v[22:25], v[14:15], v[6:7], v[22:25]
	v_mfma_f32_16x16x16f16 v[10:13], v[54:55], v[6:7], v[10:13]
	;; [unrolled: 1-line block ×4, first 2 shown]
	s_nop 7
	ds_read2_b64 v[22:25], v18 offset0:88 offset1:92
	ds_read2_b64 v[10:13], v1 offset0:24 offset1:28
	s_waitcnt lgkmcnt(0)
	v_mfma_f32_16x16x16f16 v[14:17], v[10:11], v[2:3], v[14:17]
	s_barrier
	v_mfma_f32_16x16x16f16 v[54:57], v[22:23], v[2:3], v[6:9]
	v_mfma_f32_16x16x16f16 v[6:9], v[12:13], v[4:5], v[14:17]
	;; [unrolled: 1-line block ×3, first 2 shown]
	s_cbranch_vccnz .LBB24_227
; %bb.226:                              ;   in Loop: Header=BB24_14 Depth=1
	v_add_u32_e32 v1, 0x4400, v123
	ds_read2_b32 v[10:11], v1 offset1:1
	ds_read_b32 v1, v125 offset:17408
	s_waitcnt lgkmcnt(1)
	v_cvt_f32_f16_e32 v12, v10
	v_cvt_f32_f16_sdwa v13, v10 dst_sel:DWORD dst_unused:UNUSED_PAD src0_sel:WORD_1
	v_cvt_f32_f16_e32 v10, v11
	v_cvt_f32_f16_sdwa v11, v11 dst_sel:DWORD dst_unused:UNUSED_PAD src0_sel:WORD_1
	s_nop 0
	v_pk_fma_f32 v[6:7], v[52:53], v[12:13], v[6:7] op_sel_hi:[0,1,1]
	v_pk_fma_f32 v[8:9], v[52:53], v[10:11], v[8:9] op_sel_hi:[0,1,1]
	s_waitcnt lgkmcnt(0)
	v_cvt_f32_f16_sdwa v11, v1 dst_sel:DWORD dst_unused:UNUSED_PAD src0_sel:WORD_1
	v_cvt_f32_f16_e32 v10, v1
	ds_read_b32 v1, v127 offset:17408
	v_pk_fma_f32 v[2:3], v[52:53], v[10:11], v[2:3] op_sel_hi:[0,1,1]
	s_waitcnt lgkmcnt(0)
	v_cvt_f32_f16_sdwa v13, v1 dst_sel:DWORD dst_unused:UNUSED_PAD src0_sel:WORD_1
	v_cvt_f32_f16_e32 v12, v1
	v_pk_fma_f32 v[4:5], v[52:53], v[12:13], v[4:5] op_sel_hi:[0,1,1]
.LBB24_227:                             ;   in Loop: Header=BB24_14 Depth=1
	s_mul_i32 s37, s92, s63
	s_mul_hi_u32 s38, s92, s62
	s_add_i32 s49, s38, s37
	s_mul_i32 s48, s92, s62
	s_lshl_b64 s[48:49], s[48:49], 2
	s_add_u32 s37, s87, s48
	s_addc_u32 s33, s33, s49
	v_mov_b32_e32 v1, s33
	v_add_co_u32_e32 v10, vcc, s37, v36
	v_addc_co_u32_e32 v1, vcc, v1, v37, vcc
	v_add_co_u32_e32 v10, vcc, v10, v20
	v_addc_co_u32_e32 v1, vcc, 0, v1, vcc
	v_mov_b32_e32 v21, s9
	v_mov_b32_e32 v27, s8
	v_cndmask_b32_e64 v11, v21, v1, s[46:47]
	v_cndmask_b32_e64 v10, v27, v10, s[46:47]
	buffer_store_dword v102, off, s[0:3], 0
	buffer_store_dword v102, off, s[0:3], 0 offset:4
	buffer_store_dword v102, off, s[0:3], 0 offset:8
	;; [unrolled: 1-line block ×3, first 2 shown]
	flat_load_dwordx4 v[22:25], v[10:11]
	v_add_f32_e32 v16, 0x40051340, v6
	v_max_f32_e32 v17, v65, v65
	v_and_b32_e32 v18, 64, v245
	v_xor_b32_e32 v19, 32, v245
	v_max_f32_e32 v16, v17, v16
	v_add_u32_e32 v17, 64, v18
	v_xor_b32_e32 v54, 16, v245
	v_cmp_gt_u32_e64 s[56:57], s39, v122
	v_cmp_lt_i32_e32 vcc, v19, v17
	v_cndmask_b32_e64 v16, v65, v16, s[56:57]
	v_cndmask_b32_e32 v18, v245, v19, vcc
	v_cmp_lt_i32_e32 vcc, v54, v17
	v_add_f32_e32 v29, 0x40051340, v7
	v_cndmask_b32_e32 v17, v245, v54, vcc
	v_max_f32_e32 v54, v16, v16
	v_lshlrev_b32_e32 v19, 2, v17
	v_max_f32_e32 v17, v54, v29
	v_cmp_gt_u32_e32 vcc, s39, v167
	v_cndmask_b32_e32 v29, v16, v17, vcc
	v_mov_b32_e32 v16, s33
	v_add_co_u32_e64 v17, s[46:47], s37, v38
	v_addc_co_u32_e64 v16, s[46:47], v16, v39, s[46:47]
	v_add_co_u32_e64 v17, s[46:47], v17, v20
	v_addc_co_u32_e64 v54, s[46:47], 0, v16, s[46:47]
	v_cndmask_b32_e64 v16, v27, v17, s[44:45]
	v_cndmask_b32_e64 v17, v21, v54, s[44:45]
	v_add_f32_e32 v31, 0x40051340, v8
	v_cndmask_b32_e32 v58, v8, v8, vcc
	v_mov_b32_e32 v8, s33
	v_add_co_u32_e64 v54, s[44:45], s37, v40
	v_cmp_gt_u32_e64 s[54:55], s39, v168
	v_addc_co_u32_e64 v8, s[44:45], v8, v41, s[44:45]
	v_add_f32_e32 v35, 0x40051340, v9
	v_add_co_u32_e64 v59, s[44:45], s37, v42
	v_cmp_gt_u32_e64 s[46:47], s39, v169
	v_add_f32_e32 v52, 0x40051340, v2
	v_add_f32_e32 v55, 0x40051340, v3
	v_cmp_gt_u32_e64 s[48:49], s39, v170
	v_add_f32_e32 v56, 0x40051340, v4
	v_cmp_gt_u32_e64 s[50:51], s39, v126
	;; [unrolled: 2-line block ×3, first 2 shown]
	v_lshlrev_b32_e32 v18, 2, v18
	v_cndmask_b32_e32 v9, v9, v9, vcc
	v_mov_b32_e32 v1, s93
	v_mov_b32_e32 v14, s93
	;; [unrolled: 1-line block ×7, first 2 shown]
	s_cmp_eq_u64 s[98:99], 0
	s_waitcnt vmcnt(0) lgkmcnt(0)
	ds_write_b128 v114, v[22:25]
	flat_load_dwordx4 v[22:25], v[16:17]
	v_max_f32_e32 v17, v29, v29
	v_max_f32_e32 v17, v17, v31
	v_cndmask_b32_e64 v17, v29, v17, s[54:55]
	v_mov_b32_e32 v16, s33
	v_max_f32_e32 v29, v17, v17
	v_addc_co_u32_e64 v16, s[44:45], v16, v43, s[44:45]
	v_max_f32_e32 v29, v29, v35
	v_add_co_u32_e64 v31, s[44:45], v54, v20
	v_cndmask_b32_e64 v17, v17, v29, s[46:47]
	v_addc_co_u32_e64 v8, s[44:45], 0, v8, s[44:45]
	v_max_f32_e32 v29, v17, v17
	v_max_f32_e32 v29, v29, v52
	v_cmp_gt_u32_e64 s[44:45], s39, v124
	v_cndmask_b32_e64 v17, v17, v29, s[44:45]
	v_max_f32_e32 v29, v17, v17
	v_max_f32_e32 v29, v29, v55
	v_cndmask_b32_e64 v17, v17, v29, s[48:49]
	v_max_f32_e32 v29, v17, v17
	v_max_f32_e32 v29, v29, v56
	v_cndmask_b32_e64 v17, v17, v29, s[50:51]
	v_max_f32_e32 v29, v17, v17
	v_max_f32_e32 v29, v29, v57
	v_cndmask_b32_e64 v17, v17, v29, s[52:53]
	ds_bpermute_b32 v29, v18, v17
	v_cndmask_b32_e64 v55, v21, v8, s[40:41]
	v_max_f32_e32 v8, v17, v17
	v_add_co_u32_e64 v20, s[60:61], v59, v20
	s_waitcnt lgkmcnt(0)
	v_max_f32_e32 v17, v29, v29
	v_max_f32_e32 v8, v8, v17
	v_cndmask_b32_e64 v54, v27, v31, s[40:41]
	v_addc_co_u32_e64 v31, s[60:61], 0, v16, s[60:61]
	v_cndmask_b32_e64 v16, v27, v20, s[42:43]
	ds_bpermute_b32 v20, v19, v8
	v_cndmask_b32_e64 v5, v5, v5, s[44:45]
	v_cndmask_b32_e64 v4, v4, v4, s[44:45]
	;; [unrolled: 1-line block ×4, first 2 shown]
	s_waitcnt lgkmcnt(0)
	v_max_f32_e32 v20, v20, v20
	v_max_f32_e32 v8, v8, v20
	v_sub_f32_e32 v29, v2, v8
	v_sub_f32_e32 v31, v3, v8
	;; [unrolled: 1-line block ×8, first 2 shown]
	v_mul_f32_e32 v20, 0x3fb8aa3b, v6
	v_sub_f32_e32 v56, v65, v8
	v_mul_f32_e32 v21, 0x3fb8aa3b, v7
	v_mul_f32_e32 v57, 0x3fb8aa3b, v27
	;; [unrolled: 1-line block ×4, first 2 shown]
	v_fma_f32 v64, v6, s30, -v20
	v_rndne_f32_e32 v65, v20
	v_mul_f32_e32 v59, 0x3fb8aa3b, v29
	v_mul_f32_e32 v62, 0x3fb8aa3b, v52
	v_fma_f32 v66, v7, s30, -v21
	v_fma_f32 v70, v35, s30, -v61
	v_rndne_f32_e32 v71, v61
	v_fmac_f32_e32 v64, 0x32a5705f, v6
	v_sub_f32_e32 v20, v20, v65
	v_mul_f32_e32 v60, 0x3fb8aa3b, v31
	v_mul_f32_e32 v63, 0x3fb8aa3b, v56
	v_rndne_f32_e32 v67, v59
	v_fma_f32 v72, v52, s30, -v62
	v_rndne_f32_e32 v73, v62
	v_fmac_f32_e32 v66, 0x32a5705f, v7
	v_fmac_f32_e32 v70, 0x32a5705f, v35
	v_sub_f32_e32 v61, v61, v71
	v_add_f32_e32 v20, v20, v64
	v_fma_f32 v68, v31, s30, -v60
	v_rndne_f32_e32 v69, v60
	v_fma_f32 v74, v56, s30, -v63
	s_waitcnt vmcnt(0)
	ds_write_b128 v116, v[22:25]
	flat_load_dwordx4 v[2:5], v[54:55]
	v_rndne_f32_e32 v22, v21
	v_fma_f32 v23, v27, s30, -v57
	v_rndne_f32_e32 v24, v57
	v_fma_f32 v25, v9, s30, -v58
	;; [unrolled: 2-line block ×3, first 2 shown]
	v_sub_f32_e32 v21, v21, v22
	v_fmac_f32_e32 v23, 0x32a5705f, v27
	v_sub_f32_e32 v57, v57, v24
	v_fmac_f32_e32 v25, 0x32a5705f, v9
	v_sub_f32_e32 v58, v58, v54
	v_rndne_f32_e32 v75, v63
	v_cvt_i32_f32_e32 v65, v65
	v_fmac_f32_e32 v55, 0x32a5705f, v29
	v_sub_f32_e32 v59, v59, v67
	v_fmac_f32_e32 v72, 0x32a5705f, v52
	v_sub_f32_e32 v62, v62, v73
	v_add_f32_e32 v21, v21, v66
	v_add_f32_e32 v23, v57, v23
	;; [unrolled: 1-line block ×4, first 2 shown]
	v_exp_f32_e32 v20, v20
	v_cvt_i32_f32_e32 v22, v22
	v_cvt_i32_f32_e32 v24, v24
	;; [unrolled: 1-line block ×3, first 2 shown]
	v_fmac_f32_e32 v68, 0x32a5705f, v31
	v_sub_f32_e32 v60, v60, v69
	v_cvt_i32_f32_e32 v71, v71
	v_fmac_f32_e32 v74, 0x32a5705f, v56
	v_sub_f32_e32 v63, v63, v75
	v_add_f32_e32 v55, v59, v55
	v_add_f32_e32 v59, v62, v72
	v_exp_f32_e32 v21, v21
	v_exp_f32_e32 v23, v23
	;; [unrolled: 1-line block ×4, first 2 shown]
	v_cvt_i32_f32_e32 v67, v67
	v_cvt_i32_f32_e32 v73, v73
	v_add_f32_e32 v57, v60, v68
	v_add_f32_e32 v60, v63, v74
	v_exp_f32_e32 v55, v55
	v_exp_f32_e32 v59, v59
	v_cvt_i32_f32_e32 v69, v69
	v_cvt_i32_f32_e32 v75, v75
	v_exp_f32_e32 v57, v57
	v_exp_f32_e32 v60, v60
	v_ldexp_f32 v20, v20, v65
	v_cmp_ngt_f32_e64 s[40:41], s31, v6
	v_ldexp_f32 v21, v21, v22
	v_ldexp_f32 v22, v23, v24
	;; [unrolled: 1-line block ×4, first 2 shown]
	v_cndmask_b32_e64 v58, 0, v20, s[40:41]
	v_cmp_ngt_f32_e64 s[40:41], s31, v7
	v_ldexp_f32 v24, v55, v67
	v_ldexp_f32 v55, v59, v73
	v_cndmask_b32_e64 v59, 0, v21, s[40:41]
	v_cmp_ngt_f32_e64 s[40:41], s31, v27
	v_ldexp_f32 v25, v57, v69
	v_ldexp_f32 v57, v60, v75
	v_cndmask_b32_e64 v60, 0, v22, s[40:41]
	v_cmp_ngt_f32_e64 s[40:41], s31, v9
	v_cndmask_b32_e64 v61, 0, v23, s[40:41]
	v_cmp_ngt_f32_e64 s[40:41], s31, v29
	v_cndmask_b32_e64 v24, 0, v24, s[40:41]
	v_cmp_ngt_f32_e64 s[40:41], s31, v31
	s_cselect_b64 s[38:39], -1, 0
	s_waitcnt vmcnt(0) lgkmcnt(0)
	ds_write_b128 v118, v[2:5]
	flat_load_dwordx4 v[20:23], v[16:17]
	v_cndmask_b32_e64 v2, 0, v25, s[40:41]
	v_cmp_ngt_f32_e64 s[40:41], s31, v35
	v_cndmask_b32_e64 v3, 0, v54, s[40:41]
	v_cmp_ngt_f32_e64 s[40:41], s31, v52
	;; [unrolled: 2-line block ×3, first 2 shown]
	v_cndmask_b32_e64 v5, 0, v57, s[40:41]
	v_cmp_nlt_f32_e64 s[40:41], s97, v6
	v_cndmask_b32_e64 v6, v243, v58, s[40:41]
	v_cmp_nlt_f32_e64 s[40:41], s97, v7
	;; [unrolled: 2-line block ×9, first 2 shown]
	v_cndmask_b32_e64 v3, v243, v5, s[40:41]
	v_cndmask_b32_e64 v2, 0, v6, s[56:57]
	v_cmp_le_f32_e64 s[40:41], s84, v56
	v_cndmask_b32_e32 v1, v1, v7, vcc
	v_cndmask_b32_e64 v6, v14, v24, s[44:45]
	v_cndmask_b32_e64 v14, 0, v3, s[40:41]
	v_add_f32_e32 v3, v7, v2
	v_cvt_f16_f32_e32 v31, v14
	v_cvt_f16_f32_e32 v7, v2
	;; [unrolled: 1-line block ×3, first 2 shown]
	v_cndmask_b32_e32 v2, v2, v3, vcc
	v_add_f32_e32 v3, v2, v16
	v_cndmask_b32_e64 v2, v2, v3, s[54:55]
	v_add_f32_e32 v3, v2, v9
	v_cndmask_b32_e64 v4, v10, v16, s[54:55]
	v_cvt_f16_f32_e32 v35, v6
	v_pk_mul_f16 v6, v31, v253 op_sel_hi:[0,1]
	v_pack_b32_f16 v16, v7, v1
	v_cndmask_b32_e64 v1, v2, v3, s[46:47]
	v_cvt_f32_f16_e32 v2, v6
	v_cvt_f32_f16_sdwa v3, v6 dst_sel:DWORD dst_unused:UNUSED_PAD src0_sel:WORD_1
	v_add_f32_e32 v6, v24, v1
	v_cndmask_b32_e64 v1, v1, v6, s[44:45]
	v_cndmask_b32_e64 v5, v11, v9, s[46:47]
	v_add_f32_e32 v6, v25, v1
	v_cvt_f16_f32_e32 v4, v4
	v_cvt_f16_f32_e32 v5, v5
	v_cndmask_b32_e64 v1, v1, v6, s[48:49]
	v_add_f32_e32 v6, v27, v1
	v_cndmask_b32_e64 v1, v1, v6, s[50:51]
	v_pk_mul_f16 v9, v31, v252 op_sel_hi:[0,1]
	v_add_f32_e32 v6, v29, v1
	v_pack_b32_f16 v17, v4, v5
	v_cvt_f32_f16_e32 v4, v9
	v_cvt_f32_f16_sdwa v5, v9 dst_sel:DWORD dst_unused:UNUSED_PAD src0_sel:WORD_1
	v_cndmask_b32_e64 v9, v1, v6, s[52:53]
	v_cndmask_b32_e64 v11, v12, v27, s[50:51]
	v_cndmask_b32_e64 v12, v15, v29, s[52:53]
	v_fmac_f32_e32 v9, v53, v14
	v_cndmask_b32_e64 v10, v13, v25, s[48:49]
	v_cvt_f16_f32_e32 v10, v10
	v_cvt_f16_f32_e32 v52, v11
	;; [unrolled: 1-line block ×3, first 2 shown]
	v_pk_mul_f16 v54, v31, v216 op_sel_hi:[0,1]
	v_pk_mul_f16 v55, v31, v219 op_sel_hi:[0,1]
	v_pack_b32_f16 v24, v35, v10
	v_pack_b32_f16 v25, v52, v12
	v_pk_mul_f16 v56, v31, v217 op_sel_hi:[0,1]
	v_pk_mul_f16 v57, v31, v220 op_sel_hi:[0,1]
	;; [unrolled: 1-line block ×8, first 2 shown]
	s_waitcnt vmcnt(0) lgkmcnt(0)
	ds_write_b128 v120, v[20:23]
	s_waitcnt lgkmcnt(0)
	s_barrier
	ds_read_u16 v1, v130
	ds_read_u16 v23, v130 offset:32
	ds_read_u16 v27, v130 offset:64
	;; [unrolled: 1-line block ×12, first 2 shown]
	s_waitcnt lgkmcnt(7)
	v_perm_b32 v7, v1, v6, s85
	ds_read_u16 v1, v128
	ds_read_u16 v66, v128 offset:32
	ds_read_u16 v67, v128 offset:64
	;; [unrolled: 1-line block ×7, first 2 shown]
	s_waitcnt lgkmcnt(7)
	v_perm_b32 v6, v14, v1, s85
	v_perm_b32 v14, v21, v20, s85
	;; [unrolled: 1-line block ×3, first 2 shown]
	v_mfma_f32_16x16x16f16 v[2:5], v[6:7], v[16:17], v[2:5]
	v_perm_b32 v7, v23, v65, s85
	s_waitcnt lgkmcnt(6)
	v_perm_b32 v6, v53, v66, s85
	v_cvt_f32_f16_e32 v20, v54
	v_cvt_f32_f16_sdwa v21, v54 dst_sel:DWORD dst_unused:UNUSED_PAD src0_sel:WORD_1
	v_cvt_f32_f16_e32 v22, v55
	v_cvt_f32_f16_sdwa v23, v55 dst_sel:DWORD dst_unused:UNUSED_PAD src0_sel:WORD_1
	ds_read_u16 v73, v130 offset:160
	ds_read_u16 v74, v130 offset:192
	;; [unrolled: 1-line block ×3, first 2 shown]
	s_nop 0
	v_cvt_f16_f32_e32 v1, v2
	v_cvt_f16_f32_e32 v3, v3
	;; [unrolled: 1-line block ×4, first 2 shown]
	v_cvt_f32_f16_e32 v2, v1
	v_cvt_f32_f16_e32 v3, v3
	;; [unrolled: 1-line block ×4, first 2 shown]
	v_mfma_f32_16x16x16f16 v[20:23], v[6:7], v[16:17], v[20:23]
	v_cvt_f32_f16_sdwa v53, v58 dst_sel:DWORD dst_unused:UNUSED_PAD src0_sel:WORD_1
	v_cvt_f32_f16_e32 v54, v59
	v_cvt_f32_f16_sdwa v55, v59 dst_sel:DWORD dst_unused:UNUSED_PAD src0_sel:WORD_1
	v_pk_mul_f16 v13, v31, v208 op_sel_hi:[0,1]
	v_pk_mul_f16 v11, v31, v207 op_sel_hi:[0,1]
	;; [unrolled: 1-line block ×4, first 2 shown]
	v_mfma_f32_16x16x16f16 v[2:5], v[14:15], v[24:25], v[2:5]
	s_nop 2
	v_cvt_f16_f32_e32 v6, v21
	v_cvt_f16_f32_e32 v7, v22
	;; [unrolled: 1-line block ×3, first 2 shown]
	v_readlane_b32 s44, v254, 38
	v_cvt_f32_f16_e32 v21, v6
	v_cvt_f32_f16_e32 v22, v7
	v_cvt_f32_f16_e32 v23, v10
	s_nop 0
	v_cvt_f16_f32_e32 v1, v2
	v_cvt_f16_f32_e32 v2, v3
	;; [unrolled: 1-line block ×4, first 2 shown]
	v_readlane_b32 s45, v254, 39
	v_pack_b32_f16 v2, v1, v2
	v_cvt_f32_f16_e32 v20, v3
	ds_read_u16 v3, v133 offset:8704
	ds_read_u16 v6, v134 offset:272
	;; [unrolled: 1-line block ×8, first 2 shown]
	s_waitcnt lgkmcnt(4)
	v_perm_b32 v7, v12, v7, s85
	v_perm_b32 v6, v6, v3, s85
	s_waitcnt lgkmcnt(2)
	v_perm_b32 v15, v27, v15, s85
	v_perm_b32 v14, v14, v67, s85
	v_cvt_f16_f32_e32 v3, v4
	v_mfma_f32_16x16x16f16 v[4:7], v[6:7], v[24:25], v[20:23]
	s_xor_b64 s[40:41], s[44:45], -1
	v_pack_b32_f16 v1, v3, v10
	s_or_b64 s[38:39], s[40:41], s[38:39]
	s_nop 3
	v_cvt_f32_f16_e32 v20, v56
	v_cvt_f32_f16_sdwa v21, v56 dst_sel:DWORD dst_unused:UNUSED_PAD src0_sel:WORD_1
	v_cvt_f32_f16_e32 v22, v57
	v_cvt_f32_f16_sdwa v23, v57 dst_sel:DWORD dst_unused:UNUSED_PAD src0_sel:WORD_1
	v_cvt_f16_f32_e32 v3, v4
	v_cvt_f16_f32_e32 v4, v5
	v_mfma_f32_16x16x16f16 v[20:23], v[14:15], v[16:17], v[20:23]
	s_waitcnt lgkmcnt(0)
	v_perm_b32 v14, v52, v35, s85
	v_cvt_f32_f16_e32 v52, v58
	v_pack_b32_f16 v4, v3, v4
	s_nop 6
	v_cvt_f16_f32_e32 v5, v20
	v_cvt_f16_f32_e32 v10, v21
	;; [unrolled: 1-line block ×4, first 2 shown]
	v_cvt_f32_f16_e32 v20, v5
	v_cvt_f32_f16_e32 v21, v10
	;; [unrolled: 1-line block ×3, first 2 shown]
	ds_read_u16 v5, v140 offset:544
	ds_read_u16 v10, v141 offset:8704
	;; [unrolled: 1-line block ×8, first 2 shown]
	s_waitcnt lgkmcnt(6)
	v_perm_b32 v15, v10, v5, s85
	v_cvt_f16_f32_e32 v5, v6
	v_cvt_f16_f32_e32 v10, v7
	s_waitcnt lgkmcnt(4)
	v_perm_b32 v7, v29, v27, s85
	v_perm_b32 v6, v12, v68, s85
	v_cvt_f32_f16_e32 v23, v23
	v_pack_b32_f16 v3, v5, v10
	v_mfma_f32_16x16x16f16 v[52:55], v[6:7], v[16:17], v[52:55]
	v_mfma_f32_16x16x16f16 v[20:23], v[14:15], v[24:25], v[20:23]
	s_nop 7
	s_nop 1
	v_cvt_f16_f32_e32 v6, v52
	v_cvt_f16_f32_e32 v7, v53
	;; [unrolled: 1-line block ×3, first 2 shown]
	s_waitcnt lgkmcnt(0)
	v_perm_b32 v15, v66, v65, s85
	v_perm_b32 v14, v57, v56, s85
	v_cvt_f32_f16_e32 v52, v6
	v_cvt_f32_f16_e32 v53, v7
	v_cvt_f16_f32_e32 v5, v20
	v_cvt_f16_f32_e32 v20, v55
	;; [unrolled: 1-line block ×3, first 2 shown]
	v_cvt_f32_f16_e32 v54, v12
	v_cvt_f16_f32_e32 v7, v22
	v_cvt_f32_f16_e32 v55, v20
	v_cvt_f16_f32_e32 v12, v23
	v_pack_b32_f16 v6, v5, v10
	v_mfma_f32_16x16x16f16 v[20:23], v[14:15], v[24:25], v[52:55]
	ds_read_u16 v5, v147 offset:272
	ds_read_u16 v10, v147 offset:544
	ds_read_u16 v27, v148 offset:8704
	ds_read_u16 v29, v149 offset:272
	ds_read_u16 v35, v150 offset:544
	ds_read_u16 v56, v151 offset:8704
	ds_read_u16 v57, v152 offset:272
	ds_read_u16 v58, v152 offset:544
	s_waitcnt lgkmcnt(6)
	v_perm_b32 v15, v64, v10, s85
	v_perm_b32 v14, v5, v69, s85
	v_cvt_f32_f16_e32 v52, v60
	v_cvt_f32_f16_sdwa v53, v60 dst_sel:DWORD dst_unused:UNUSED_PAD src0_sel:WORD_1
	v_cvt_f32_f16_e32 v54, v61
	v_cvt_f32_f16_sdwa v55, v61 dst_sel:DWORD dst_unused:UNUSED_PAD src0_sel:WORD_1
	v_pack_b32_f16 v5, v7, v12
	v_cvt_f16_f32_e32 v7, v20
	v_mfma_f32_16x16x16f16 v[52:55], v[14:15], v[16:17], v[52:55]
	v_cvt_f16_f32_e32 v10, v21
	v_pack_b32_f16 v10, v7, v10
	s_nop 7
	s_nop 0
	v_cvt_f16_f32_e32 v14, v53
	v_cvt_f16_f32_e32 v15, v54
	;; [unrolled: 1-line block ×4, first 2 shown]
	v_cvt_f32_f16_e32 v53, v14
	v_cvt_f32_f16_e32 v54, v15
	s_waitcnt lgkmcnt(2)
	v_perm_b32 v15, v56, v35, s85
	v_perm_b32 v14, v29, v27, s85
	v_cvt_f32_f16_e32 v52, v12
	v_cvt_f32_f16_e32 v55, v20
	v_cvt_f16_f32_e32 v12, v22
	v_cvt_f16_f32_e32 v27, v23
	v_mfma_f32_16x16x16f16 v[20:23], v[14:15], v[24:25], v[52:55]
	s_waitcnt lgkmcnt(0)
	v_perm_b32 v15, v73, v58, s85
	v_perm_b32 v14, v57, v70, s85
	v_pack_b32_f16 v7, v12, v27
	s_nop 2
	v_cvt_f32_f16_e32 v52, v62
	v_cvt_f32_f16_sdwa v53, v62 dst_sel:DWORD dst_unused:UNUSED_PAD src0_sel:WORD_1
	v_cvt_f32_f16_e32 v54, v63
	v_cvt_f32_f16_sdwa v55, v63 dst_sel:DWORD dst_unused:UNUSED_PAD src0_sel:WORD_1
	v_cvt_f16_f32_e32 v12, v20
	v_cvt_f16_f32_e32 v20, v21
	v_mfma_f32_16x16x16f16 v[52:55], v[14:15], v[16:17], v[52:55]
	v_pack_b32_f16 v12, v12, v20
	s_nop 7
	s_nop 1
	v_cvt_f16_f32_e32 v14, v52
	v_cvt_f16_f32_e32 v15, v53
	;; [unrolled: 1-line block ×4, first 2 shown]
	v_cvt_f32_f16_e32 v52, v14
	v_cvt_f32_f16_e32 v53, v15
	;; [unrolled: 1-line block ×3, first 2 shown]
	ds_read_u16 v14, v153 offset:8704
	ds_read_u16 v21, v154 offset:272
	;; [unrolled: 1-line block ×8, first 2 shown]
	s_waitcnt lgkmcnt(4)
	v_perm_b32 v15, v29, v15, s85
	v_perm_b32 v14, v21, v14, s85
	v_cvt_f32_f16_e32 v55, v27
	v_cvt_f16_f32_e32 v27, v22
	v_cvt_f16_f32_e32 v29, v23
	v_mfma_f32_16x16x16f16 v[20:23], v[14:15], v[24:25], v[52:55]
	s_waitcnt lgkmcnt(2)
	v_perm_b32 v15, v74, v56, s85
	v_perm_b32 v14, v35, v71, s85
	s_nop 3
	v_cvt_f32_f16_e32 v52, v13
	v_cvt_f32_f16_sdwa v53, v13 dst_sel:DWORD dst_unused:UNUSED_PAD src0_sel:WORD_1
	v_cvt_f32_f16_e32 v54, v11
	v_cvt_f32_f16_sdwa v55, v11 dst_sel:DWORD dst_unused:UNUSED_PAD src0_sel:WORD_1
	v_cvt_f16_f32_e32 v13, v20
	v_pack_b32_f16 v11, v27, v29
	v_mfma_f32_16x16x16f16 v[52:55], v[14:15], v[16:17], v[52:55]
	v_cvt_f16_f32_e32 v27, v21
	s_nop 7
	s_nop 1
	v_cvt_f16_f32_e32 v14, v52
	v_cvt_f16_f32_e32 v15, v53
	;; [unrolled: 1-line block ×4, first 2 shown]
	v_cvt_f32_f16_e32 v52, v14
	v_cvt_f32_f16_e32 v53, v15
	;; [unrolled: 1-line block ×3, first 2 shown]
	ds_read_u16 v14, v160 offset:544
	ds_read_u16 v15, v161 offset:8704
	;; [unrolled: 1-line block ×8, first 2 shown]
	s_waitcnt lgkmcnt(6)
	v_perm_b32 v21, v15, v14, s85
	v_perm_b32 v20, v58, v57, s85
	v_cvt_f32_f16_e32 v55, v29
	s_waitcnt lgkmcnt(4)
	v_perm_b32 v57, v75, v56, s85
	v_perm_b32 v56, v35, v72, s85
	v_cvt_f16_f32_e32 v15, v22
	v_cvt_f16_f32_e32 v29, v23
	v_mfma_f32_16x16x16f16 v[20:23], v[20:21], v[24:25], v[52:55]
	v_pack_b32_f16 v14, v13, v27
	s_waitcnt lgkmcnt(0)
	v_pack_b32_f16 v13, v15, v29
	s_barrier
	s_nop 2
	v_cvt_f32_f16_e32 v52, v76
	v_cvt_f32_f16_sdwa v53, v76 dst_sel:DWORD dst_unused:UNUSED_PAD src0_sel:WORD_1
	v_cvt_f32_f16_e32 v54, v31
	v_cvt_f32_f16_sdwa v55, v31 dst_sel:DWORD dst_unused:UNUSED_PAD src0_sel:WORD_1
	v_cvt_f16_f32_e32 v15, v20
	v_cvt_f16_f32_e32 v27, v21
	v_mfma_f32_16x16x16f16 v[52:55], v[56:57], v[16:17], v[52:55]
	v_perm_b32 v21, v62, v61, s85
	s_nop 7
	s_nop 1
	v_cvt_f16_f32_e32 v20, v54
	v_cvt_f16_f32_e32 v16, v52
	;; [unrolled: 1-line block ×4, first 2 shown]
	v_cvt_f32_f16_e32 v54, v20
	v_perm_b32 v20, v60, v59, s85
	v_cvt_f32_f16_e32 v52, v16
	v_cvt_f32_f16_e32 v53, v17
	;; [unrolled: 1-line block ×3, first 2 shown]
	v_cvt_f16_f32_e32 v17, v22
	v_cvt_f16_f32_e32 v29, v23
	v_mfma_f32_16x16x16f16 v[20:23], v[20:21], v[24:25], v[52:55]
	ds_bpermute_b32 v24, v18, v9
	v_pack_b32_f16 v16, v15, v27
	v_pack_b32_f16 v15, v17, v29
	s_waitcnt lgkmcnt(0)
	v_add_f32_e32 v9, v9, v24
	s_nop 5
	v_cvt_f16_f32_e32 v20, v20
	v_cvt_f16_f32_e32 v21, v21
	;; [unrolled: 1-line block ×4, first 2 shown]
	v_pack_b32_f16 v18, v20, v21
	ds_bpermute_b32 v20, v19, v9
	v_pack_b32_f16 v17, v17, v22
	s_waitcnt lgkmcnt(0)
	v_add_f32_e32 v9, v9, v20
	s_and_saveexec_b64 s[40:41], s[38:39]
	s_xor_b64 s[40:41], exec, s[40:41]
	s_andn2_saveexec_b64 s[40:41], s[40:41]
	s_cbranch_execz .LBB24_229
; %bb.228:                              ;   in Loop: Header=BB24_14 Depth=1
	global_load_dword v21, v102, s[98:99]
	v_max_f32_e32 v22, v8, v8
	s_waitcnt vmcnt(0)
	v_max_f32_e32 v20, v21, v21
	v_max_f32_e32 v20, v22, v20
	v_sub_f32_e32 v8, v8, v20
	v_mul_f32_e32 v22, 0x3fb8aa3b, v8
	v_fma_f32 v23, v8, s30, -v22
	v_rndne_f32_e32 v24, v22
	v_fmac_f32_e32 v23, 0x32a5705f, v8
	v_sub_f32_e32 v22, v22, v24
	v_add_f32_e32 v22, v22, v23
	v_exp_f32_e32 v22, v22
	v_cvt_i32_f32_e32 v23, v24
	v_cmp_ngt_f32_e32 vcc, s31, v8
	v_sub_f32_e32 v21, v21, v20
	v_ldexp_f32 v22, v22, v23
	v_cndmask_b32_e32 v22, 0, v22, vcc
	v_cmp_nlt_f32_e32 vcc, s97, v8
	v_cndmask_b32_e32 v22, v243, v22, vcc
	v_cmp_le_f32_e32 vcc, s84, v8
	v_cndmask_b32_e32 v8, 0, v22, vcc
	v_cvt_f16_f32_e32 v22, v8
	v_cmp_ngt_f32_e32 vcc, s31, v21
	v_pk_mul_f16 v2, v22, v2 op_sel_hi:[0,1]
	v_pk_mul_f16 v1, v22, v1 op_sel_hi:[0,1]
	;; [unrolled: 1-line block ×16, first 2 shown]
	v_mul_f32_e32 v22, 0x3fb8aa3b, v21
	v_fma_f32 v23, v21, s30, -v22
	v_rndne_f32_e32 v24, v22
	v_fmac_f32_e32 v23, 0x32a5705f, v21
	v_sub_f32_e32 v22, v22, v24
	v_add_f32_e32 v22, v22, v23
	v_exp_f32_e32 v22, v22
	v_cvt_i32_f32_e32 v23, v24
	v_ldexp_f32 v22, v22, v23
	v_cndmask_b32_e32 v22, 0, v22, vcc
	v_cmp_nlt_f32_e32 vcc, s97, v21
	v_cndmask_b32_e32 v21, v243, v22, vcc
	v_fmac_f32_e32 v21, v9, v8
	v_pk_mov_b32 v[8:9], v[20:21], v[20:21] op_sel:[0,1]
.LBB24_229:                             ;   in Loop: Header=BB24_14 Depth=1
	s_or_b64 exec, exec, s[40:41]
	s_mov_b64 s[40:41], exec
	v_readlane_b32 s38, v254, 42
	v_readlane_b32 s39, v254, 43
	s_and_b64 s[38:39], s[40:41], s[38:39]
	v_readlane_b32 s50, v255, 0
	s_mov_b64 exec, s[38:39]
	s_cbranch_execz .LBB24_231
; %bb.230:                              ;   in Loop: Header=BB24_14 Depth=1
	v_add_u32_e32 v20, 0, v172
	ds_write2_b32 v20, v8, v9 offset0:64 offset1:65
.LBB24_231:                             ;   in Loop: Header=BB24_14 Depth=1
	s_or_b64 exec, exec, s[40:41]
	v_readlane_b32 s40, v254, 40
	v_readlane_b32 s41, v254, 41
	s_waitcnt lgkmcnt(0)
	s_barrier
	s_and_saveexec_b64 s[38:39], s[40:41]
	s_xor_b64 s[40:41], exec, s[38:39]
	s_cbranch_execz .LBB24_233
; %bb.232:                              ;   in Loop: Header=BB24_14 Depth=1
	s_barrier
	s_waitcnt lgkmcnt(0)
                                        ; implicit-def: $vgpr19
.LBB24_233:                             ;   in Loop: Header=BB24_14 Depth=1
	s_andn2_saveexec_b64 s[40:41], s[40:41]
	s_cbranch_execz .LBB24_237
; %bb.234:                              ;   in Loop: Header=BB24_14 Depth=1
	v_add_u32_e32 v20, 0, v173
	ds_read_b64 v[8:9], v20 offset:256
	s_waitcnt lgkmcnt(0)
	s_barrier
	ds_bpermute_b32 v21, v19, v8
	v_max_f32_e32 v22, v8, v8
	s_waitcnt lgkmcnt(0)
	v_max_f32_e32 v21, v21, v21
	v_max_f32_e32 v21, v22, v21
	v_sub_f32_e32 v8, v8, v21
	v_mul_f32_e32 v21, 0x3fb8aa3b, v8
	v_fma_f32 v22, v8, s30, -v21
	v_rndne_f32_e32 v23, v21
	v_fmac_f32_e32 v22, 0x32a5705f, v8
	v_sub_f32_e32 v21, v21, v23
	v_add_f32_e32 v21, v21, v22
	v_cvt_i32_f32_e32 v23, v23
	v_exp_f32_e32 v21, v21
	v_cmp_ngt_f32_e32 vcc, s31, v8
	v_ldexp_f32 v21, v21, v23
	v_cndmask_b32_e32 v21, 0, v21, vcc
	v_cmp_nlt_f32_e32 vcc, s97, v8
	v_cndmask_b32_e32 v8, v243, v21, vcc
	v_mul_f32_e32 v9, v9, v8
	ds_bpermute_b32 v19, v19, v9
	s_mov_b64 s[42:43], exec
	v_readlane_b32 s38, v254, 44
	v_readlane_b32 s39, v254, 45
	s_and_b64 s[38:39], s[42:43], s[38:39]
	s_mov_b64 exec, s[38:39]
	s_cbranch_execz .LBB24_236
; %bb.235:                              ;   in Loop: Header=BB24_14 Depth=1
	s_waitcnt lgkmcnt(0)
	v_add_f32_e32 v9, v9, v19
	ds_write_b64 v20, v[8:9] offset:256
.LBB24_236:                             ;   in Loop: Header=BB24_14 Depth=1
	s_or_b64 exec, exec, s[42:43]
.LBB24_237:                             ;   in Loop: Header=BB24_14 Depth=1
	s_or_b64 exec, exec, s[40:41]
	ds_write2_b32 v174, v2, v1 offset1:1
	ds_write2_b32 v174, v4, v3 offset0:8 offset1:9
	ds_write2_b32 v174, v6, v5 offset0:16 offset1:17
	ds_write2_b32 v174, v10, v7 offset0:24 offset1:25
	ds_write2_b32 v174, v12, v11 offset0:32 offset1:33
	ds_write2_b32 v174, v14, v13 offset0:40 offset1:41
	ds_write2_b32 v174, v16, v15 offset0:48 offset1:49
	ds_write2_b32 v174, v18, v17 offset0:56 offset1:57
	s_waitcnt lgkmcnt(0)
	s_barrier
	s_and_saveexec_b64 s[40:41], s[44:45]
	s_cbranch_execz .LBB24_12
; %bb.238:                              ;   in Loop: Header=BB24_14 Depth=1
	v_add_u32_e32 v2, s81, v175
	v_cmp_gt_i32_e32 vcc, s80, v2
	v_mov_b32_e32 v1, 0x47
	s_and_saveexec_b64 s[42:43], vcc
	s_cbranch_execz .LBB24_240
; %bb.239:                              ;   in Loop: Header=BB24_14 Depth=1
	v_add_u32_e32 v1, 0, v177
	ds_read2_b32 v[4:5], v1 offset0:64 offset1:65
	ds_read2st64_b32 v[6:7], v178 offset1:17
	ds_read_b32 v8, v1 offset:4608
	v_readlane_b32 s33, v254, 47
	v_mad_u64_u32 v[2:3], s[38:39], s33, v2, v[26:27]
	s_waitcnt lgkmcnt(1)
	v_cvt_f32_f16_sdwa v11, v6 dst_sel:DWORD dst_unused:UNUSED_PAD src0_sel:WORD_1
	v_cvt_f32_f16_e32 v10, v6
	v_cvt_f32_f16_sdwa v13, v7 dst_sel:DWORD dst_unused:UNUSED_PAD src0_sel:WORD_1
	v_cvt_f32_f16_e32 v12, v7
	v_ashrrev_i32_e32 v3, 31, v2
	v_lshlrev_b64 v[2:3], 3, v[2:3]
	v_readlane_b32 s33, v255, 2
	v_add_co_u32_e32 v2, vcc, s33, v2
	v_readlane_b32 s33, v255, 3
	v_pk_fma_f32 v[10:11], v[4:5], v[10:11], 0 op_sel_hi:[0,1,0]
	v_mov_b32_e32 v1, s33
	s_waitcnt lgkmcnt(0)
	v_pk_fma_f32 v[6:7], v[8:9], v[12:13], v[10:11] op_sel_hi:[0,1,1]
	v_addc_co_u32_e32 v3, vcc, v1, v3, vcc
	v_div_scale_f32 v1, s[38:39], v5, v5, v7
	v_rcp_f32_e32 v4, v1
	v_fma_f32 v8, -v1, v4, 1.0
	v_fmac_f32_e32 v4, v8, v4
	v_div_scale_f32 v8, vcc, v7, v5, v7
	v_mul_f32_e32 v9, v8, v4
	v_fma_f32 v10, -v1, v9, v8
	v_fmac_f32_e32 v9, v10, v4
	v_fma_f32 v1, -v1, v9, v8
	v_div_fmas_f32 v1, v1, v4, v9
	v_div_fixup_f32 v7, v1, v5, v7
	v_div_scale_f32 v1, s[38:39], v5, v5, v6
	v_rcp_f32_e32 v4, v1
	v_fma_f32 v8, -v1, v4, 1.0
	v_fmac_f32_e32 v4, v8, v4
	v_div_scale_f32 v8, vcc, v6, v5, v6
	v_mul_f32_e32 v9, v8, v4
	v_fma_f32 v10, -v1, v9, v8
	v_fmac_f32_e32 v9, v10, v4
	v_fma_f32 v1, -v1, v9, v8
	v_div_fmas_f32 v1, v1, v4, v9
	v_div_fixup_f32 v6, v1, v5, v6
	v_mov_b32_e32 v1, 0
	global_store_dwordx2 v[2:3], v[6:7], off
.LBB24_240:                             ;   in Loop: Header=BB24_14 Depth=1
	s_or_b64 exec, exec, s[42:43]
	s_movk_i32 s33, 0x47
	v_cmp_gt_i32_e32 vcc, s33, v1
	s_mov_b64 s[42:43], -1
	s_and_saveexec_b64 s[44:45], vcc
; %bb.241:                              ;   in Loop: Header=BB24_14 Depth=1
	v_cmp_eq_u32_e32 vcc, 0, v1
	s_orn2_b64 s[42:43], vcc, exec
; %bb.242:                              ;   in Loop: Header=BB24_14 Depth=1
	s_or_b64 exec, exec, s[44:45]
	s_and_b64 exec, exec, s[42:43]
	s_cbranch_execz .LBB24_12
; %bb.243:                              ;   in Loop: Header=BB24_14 Depth=1
	v_add_u32_e32 v2, s81, v179
	v_cmp_gt_i32_e32 vcc, s80, v2
	v_mov_b32_e32 v1, 0x47
	s_and_saveexec_b64 s[42:43], vcc
	s_cbranch_execz .LBB24_245
; %bb.244:                              ;   in Loop: Header=BB24_14 Depth=1
	v_add_u32_e32 v1, 0, v180
	ds_read2_b32 v[4:5], v1 offset0:64 offset1:65
	ds_read2st64_b32 v[6:7], v181 offset1:17
	ds_read_b32 v8, v1 offset:4608
	v_readlane_b32 s33, v254, 47
	v_mad_u64_u32 v[2:3], s[38:39], s33, v2, v[26:27]
	s_waitcnt lgkmcnt(1)
	v_cvt_f32_f16_sdwa v11, v6 dst_sel:DWORD dst_unused:UNUSED_PAD src0_sel:WORD_1
	v_cvt_f32_f16_e32 v10, v6
	v_cvt_f32_f16_sdwa v13, v7 dst_sel:DWORD dst_unused:UNUSED_PAD src0_sel:WORD_1
	v_cvt_f32_f16_e32 v12, v7
	v_ashrrev_i32_e32 v3, 31, v2
	v_lshlrev_b64 v[2:3], 3, v[2:3]
	v_readlane_b32 s33, v255, 2
	v_add_co_u32_e32 v2, vcc, s33, v2
	v_readlane_b32 s33, v255, 3
	v_pk_fma_f32 v[10:11], v[4:5], v[10:11], 0 op_sel_hi:[0,1,0]
	v_mov_b32_e32 v1, s33
	s_waitcnt lgkmcnt(0)
	v_pk_fma_f32 v[6:7], v[8:9], v[12:13], v[10:11] op_sel_hi:[0,1,1]
	v_addc_co_u32_e32 v3, vcc, v1, v3, vcc
	v_div_scale_f32 v1, s[38:39], v5, v5, v7
	v_rcp_f32_e32 v4, v1
	v_fma_f32 v8, -v1, v4, 1.0
	v_fmac_f32_e32 v4, v8, v4
	v_div_scale_f32 v8, vcc, v7, v5, v7
	v_mul_f32_e32 v9, v8, v4
	v_fma_f32 v10, -v1, v9, v8
	v_fmac_f32_e32 v9, v10, v4
	v_fma_f32 v1, -v1, v9, v8
	v_div_fmas_f32 v1, v1, v4, v9
	v_div_fixup_f32 v7, v1, v5, v7
	v_div_scale_f32 v1, s[38:39], v5, v5, v6
	v_rcp_f32_e32 v4, v1
	v_fma_f32 v8, -v1, v4, 1.0
	v_fmac_f32_e32 v4, v8, v4
	v_div_scale_f32 v8, vcc, v6, v5, v6
	v_mul_f32_e32 v9, v8, v4
	v_fma_f32 v10, -v1, v9, v8
	v_fmac_f32_e32 v9, v10, v4
	v_fma_f32 v1, -v1, v9, v8
	v_div_fmas_f32 v1, v1, v4, v9
	v_div_fixup_f32 v6, v1, v5, v6
	v_mov_b32_e32 v1, 0
	global_store_dwordx2 v[2:3], v[6:7], off
.LBB24_245:                             ;   in Loop: Header=BB24_14 Depth=1
	s_or_b64 exec, exec, s[42:43]
	s_movk_i32 s33, 0x47
	v_cmp_gt_i32_e32 vcc, s33, v1
	s_mov_b64 s[42:43], -1
	s_and_saveexec_b64 s[44:45], vcc
; %bb.246:                              ;   in Loop: Header=BB24_14 Depth=1
	v_cmp_eq_u32_e32 vcc, 0, v1
	s_orn2_b64 s[42:43], vcc, exec
; %bb.247:                              ;   in Loop: Header=BB24_14 Depth=1
	s_or_b64 exec, exec, s[44:45]
	s_and_b64 exec, exec, s[42:43]
	s_cbranch_execz .LBB24_12
; %bb.248:                              ;   in Loop: Header=BB24_14 Depth=1
	v_add_u32_e32 v2, s81, v182
	v_cmp_gt_i32_e32 vcc, s80, v2
	v_mov_b32_e32 v1, 0x47
	s_and_saveexec_b64 s[42:43], vcc
	s_cbranch_execz .LBB24_250
; %bb.249:                              ;   in Loop: Header=BB24_14 Depth=1
	v_add_u32_e32 v1, 0, v183
	ds_read2_b32 v[4:5], v1 offset0:64 offset1:65
	ds_read2st64_b32 v[6:7], v184 offset1:17
	ds_read_b32 v8, v1 offset:4608
	v_readlane_b32 s33, v254, 47
	v_mad_u64_u32 v[2:3], s[38:39], s33, v2, v[26:27]
	s_waitcnt lgkmcnt(1)
	v_cvt_f32_f16_sdwa v11, v6 dst_sel:DWORD dst_unused:UNUSED_PAD src0_sel:WORD_1
	v_cvt_f32_f16_e32 v10, v6
	v_cvt_f32_f16_sdwa v13, v7 dst_sel:DWORD dst_unused:UNUSED_PAD src0_sel:WORD_1
	v_cvt_f32_f16_e32 v12, v7
	v_ashrrev_i32_e32 v3, 31, v2
	v_lshlrev_b64 v[2:3], 3, v[2:3]
	v_readlane_b32 s33, v255, 2
	v_add_co_u32_e32 v2, vcc, s33, v2
	v_readlane_b32 s33, v255, 3
	v_pk_fma_f32 v[10:11], v[4:5], v[10:11], 0 op_sel_hi:[0,1,0]
	v_mov_b32_e32 v1, s33
	s_waitcnt lgkmcnt(0)
	v_pk_fma_f32 v[6:7], v[8:9], v[12:13], v[10:11] op_sel_hi:[0,1,1]
	v_addc_co_u32_e32 v3, vcc, v1, v3, vcc
	v_div_scale_f32 v1, s[38:39], v5, v5, v7
	v_rcp_f32_e32 v4, v1
	v_fma_f32 v8, -v1, v4, 1.0
	v_fmac_f32_e32 v4, v8, v4
	v_div_scale_f32 v8, vcc, v7, v5, v7
	v_mul_f32_e32 v9, v8, v4
	v_fma_f32 v10, -v1, v9, v8
	v_fmac_f32_e32 v9, v10, v4
	v_fma_f32 v1, -v1, v9, v8
	v_div_fmas_f32 v1, v1, v4, v9
	v_div_fixup_f32 v7, v1, v5, v7
	v_div_scale_f32 v1, s[38:39], v5, v5, v6
	v_rcp_f32_e32 v4, v1
	v_fma_f32 v8, -v1, v4, 1.0
	v_fmac_f32_e32 v4, v8, v4
	v_div_scale_f32 v8, vcc, v6, v5, v6
	v_mul_f32_e32 v9, v8, v4
	v_fma_f32 v10, -v1, v9, v8
	v_fmac_f32_e32 v9, v10, v4
	v_fma_f32 v1, -v1, v9, v8
	v_div_fmas_f32 v1, v1, v4, v9
	v_div_fixup_f32 v6, v1, v5, v6
	v_mov_b32_e32 v1, 0
	global_store_dwordx2 v[2:3], v[6:7], off
.LBB24_250:                             ;   in Loop: Header=BB24_14 Depth=1
	s_or_b64 exec, exec, s[42:43]
	s_movk_i32 s33, 0x47
	v_cmp_gt_i32_e32 vcc, s33, v1
	s_mov_b64 s[42:43], -1
	s_and_saveexec_b64 s[44:45], vcc
; %bb.251:                              ;   in Loop: Header=BB24_14 Depth=1
	v_cmp_eq_u32_e32 vcc, 0, v1
	s_orn2_b64 s[42:43], vcc, exec
; %bb.252:                              ;   in Loop: Header=BB24_14 Depth=1
	s_or_b64 exec, exec, s[44:45]
	s_and_b64 exec, exec, s[42:43]
	s_cbranch_execz .LBB24_12
; %bb.253:                              ;   in Loop: Header=BB24_14 Depth=1
	v_add_u32_e32 v2, s81, v185
	v_cmp_gt_i32_e32 vcc, s80, v2
	v_mov_b32_e32 v1, 0x47
	s_and_saveexec_b64 s[42:43], vcc
	s_cbranch_execz .LBB24_255
; %bb.254:                              ;   in Loop: Header=BB24_14 Depth=1
	v_add_u32_e32 v1, 0, v199
	ds_read2_b32 v[4:5], v1 offset0:64 offset1:65
	ds_read2st64_b32 v[6:7], v196 offset1:17
	ds_read_b32 v8, v1 offset:4608
	v_readlane_b32 s33, v254, 47
	v_mad_u64_u32 v[2:3], s[38:39], s33, v2, v[26:27]
	s_waitcnt lgkmcnt(1)
	v_cvt_f32_f16_sdwa v11, v6 dst_sel:DWORD dst_unused:UNUSED_PAD src0_sel:WORD_1
	v_cvt_f32_f16_e32 v10, v6
	v_cvt_f32_f16_sdwa v13, v7 dst_sel:DWORD dst_unused:UNUSED_PAD src0_sel:WORD_1
	v_cvt_f32_f16_e32 v12, v7
	v_ashrrev_i32_e32 v3, 31, v2
	v_lshlrev_b64 v[2:3], 3, v[2:3]
	v_readlane_b32 s33, v255, 2
	v_add_co_u32_e32 v2, vcc, s33, v2
	v_readlane_b32 s33, v255, 3
	v_pk_fma_f32 v[10:11], v[4:5], v[10:11], 0 op_sel_hi:[0,1,0]
	v_mov_b32_e32 v1, s33
	s_waitcnt lgkmcnt(0)
	v_pk_fma_f32 v[6:7], v[8:9], v[12:13], v[10:11] op_sel_hi:[0,1,1]
	v_addc_co_u32_e32 v3, vcc, v1, v3, vcc
	v_div_scale_f32 v1, s[38:39], v5, v5, v7
	v_rcp_f32_e32 v4, v1
	v_fma_f32 v8, -v1, v4, 1.0
	v_fmac_f32_e32 v4, v8, v4
	v_div_scale_f32 v8, vcc, v7, v5, v7
	v_mul_f32_e32 v9, v8, v4
	v_fma_f32 v10, -v1, v9, v8
	v_fmac_f32_e32 v9, v10, v4
	v_fma_f32 v1, -v1, v9, v8
	v_div_fmas_f32 v1, v1, v4, v9
	v_div_fixup_f32 v7, v1, v5, v7
	v_div_scale_f32 v1, s[38:39], v5, v5, v6
	v_rcp_f32_e32 v4, v1
	v_fma_f32 v8, -v1, v4, 1.0
	v_fmac_f32_e32 v4, v8, v4
	v_div_scale_f32 v8, vcc, v6, v5, v6
	v_mul_f32_e32 v9, v8, v4
	v_fma_f32 v10, -v1, v9, v8
	v_fmac_f32_e32 v9, v10, v4
	v_fma_f32 v1, -v1, v9, v8
	v_div_fmas_f32 v1, v1, v4, v9
	v_div_fixup_f32 v6, v1, v5, v6
	v_mov_b32_e32 v1, 0
	global_store_dwordx2 v[2:3], v[6:7], off
.LBB24_255:                             ;   in Loop: Header=BB24_14 Depth=1
	s_or_b64 exec, exec, s[42:43]
	s_movk_i32 s33, 0x47
	v_cmp_gt_i32_e32 vcc, s33, v1
	s_mov_b64 s[42:43], -1
	s_and_saveexec_b64 s[44:45], vcc
; %bb.256:                              ;   in Loop: Header=BB24_14 Depth=1
	v_cmp_eq_u32_e32 vcc, 0, v1
	s_orn2_b64 s[42:43], vcc, exec
; %bb.257:                              ;   in Loop: Header=BB24_14 Depth=1
	s_or_b64 exec, exec, s[44:45]
	s_and_b64 exec, exec, s[42:43]
	s_cbranch_execz .LBB24_12
; %bb.258:                              ;   in Loop: Header=BB24_14 Depth=1
	v_add_u32_e32 v2, s81, v188
	v_cmp_gt_i32_e32 vcc, s80, v2
	v_mov_b32_e32 v1, 0x47
	s_and_saveexec_b64 s[42:43], vcc
	s_cbranch_execz .LBB24_260
; %bb.259:                              ;   in Loop: Header=BB24_14 Depth=1
	buffer_load_dword v1, off, s[0:3], 0 offset:16 ; 4-byte Folded Reload
	v_readlane_b32 s33, v254, 47
	v_mad_u64_u32 v[2:3], s[38:39], s33, v2, v[26:27]
	v_ashrrev_i32_e32 v3, 31, v2
	v_lshlrev_b64 v[2:3], 3, v[2:3]
	v_readlane_b32 s33, v255, 2
	v_add_co_u32_e32 v2, vcc, s33, v2
	v_readlane_b32 s33, v255, 3
	s_waitcnt vmcnt(0)
	v_add_u32_e32 v1, 0, v1
	ds_read2_b32 v[4:5], v1 offset0:64 offset1:65
	ds_read2st64_b32 v[6:7], v190 offset1:17
	ds_read_b32 v8, v1 offset:4608
	v_mov_b32_e32 v1, s33
	v_addc_co_u32_e32 v3, vcc, v1, v3, vcc
	s_waitcnt lgkmcnt(1)
	v_cvt_f32_f16_sdwa v11, v6 dst_sel:DWORD dst_unused:UNUSED_PAD src0_sel:WORD_1
	v_cvt_f32_f16_e32 v10, v6
	v_cvt_f32_f16_sdwa v13, v7 dst_sel:DWORD dst_unused:UNUSED_PAD src0_sel:WORD_1
	v_cvt_f32_f16_e32 v12, v7
	v_pk_fma_f32 v[10:11], v[4:5], v[10:11], 0 op_sel_hi:[0,1,0]
	s_waitcnt lgkmcnt(0)
	v_pk_fma_f32 v[6:7], v[8:9], v[12:13], v[10:11] op_sel_hi:[0,1,1]
	v_div_scale_f32 v1, s[38:39], v5, v5, v7
	v_rcp_f32_e32 v4, v1
	v_fma_f32 v8, -v1, v4, 1.0
	v_fmac_f32_e32 v4, v8, v4
	v_div_scale_f32 v8, vcc, v7, v5, v7
	v_mul_f32_e32 v9, v8, v4
	v_fma_f32 v10, -v1, v9, v8
	v_fmac_f32_e32 v9, v10, v4
	v_fma_f32 v1, -v1, v9, v8
	v_div_fmas_f32 v1, v1, v4, v9
	v_div_fixup_f32 v7, v1, v5, v7
	v_div_scale_f32 v1, s[38:39], v5, v5, v6
	v_rcp_f32_e32 v4, v1
	v_fma_f32 v8, -v1, v4, 1.0
	v_fmac_f32_e32 v4, v8, v4
	v_div_scale_f32 v8, vcc, v6, v5, v6
	v_mul_f32_e32 v9, v8, v4
	v_fma_f32 v10, -v1, v9, v8
	v_fmac_f32_e32 v9, v10, v4
	v_fma_f32 v1, -v1, v9, v8
	v_div_fmas_f32 v1, v1, v4, v9
	v_div_fixup_f32 v6, v1, v5, v6
	v_mov_b32_e32 v1, 0
	global_store_dwordx2 v[2:3], v[6:7], off
.LBB24_260:                             ;   in Loop: Header=BB24_14 Depth=1
	s_or_b64 exec, exec, s[42:43]
	s_movk_i32 s33, 0x47
	v_cmp_gt_i32_e32 vcc, s33, v1
	s_mov_b64 s[42:43], -1
	s_and_saveexec_b64 s[44:45], vcc
; %bb.261:                              ;   in Loop: Header=BB24_14 Depth=1
	v_cmp_eq_u32_e32 vcc, 0, v1
	s_orn2_b64 s[42:43], vcc, exec
; %bb.262:                              ;   in Loop: Header=BB24_14 Depth=1
	s_or_b64 exec, exec, s[44:45]
	s_and_b64 exec, exec, s[42:43]
	s_cbranch_execz .LBB24_12
; %bb.263:                              ;   in Loop: Header=BB24_14 Depth=1
	v_add_u32_e32 v2, s81, v191
	v_cmp_gt_i32_e32 vcc, s80, v2
	v_mov_b32_e32 v1, 0x47
	s_and_saveexec_b64 s[42:43], vcc
	s_cbranch_execz .LBB24_265
; %bb.264:                              ;   in Loop: Header=BB24_14 Depth=1
	buffer_load_dword v1, off, s[0:3], 0 offset:20 ; 4-byte Folded Reload
	buffer_load_dword v3, off, s[0:3], 0 offset:24 ; 4-byte Folded Reload
	v_readlane_b32 s33, v254, 47
	s_waitcnt vmcnt(1)
	v_add_u32_e32 v1, 0, v1
	ds_read2_b32 v[4:5], v1 offset0:64 offset1:65
	s_waitcnt vmcnt(0)
	ds_read2st64_b32 v[6:7], v3 offset1:17
	ds_read_b32 v8, v1 offset:4608
	v_mad_u64_u32 v[2:3], s[38:39], s33, v2, v[26:27]
	v_ashrrev_i32_e32 v3, 31, v2
	s_waitcnt lgkmcnt(1)
	v_cvt_f32_f16_sdwa v11, v6 dst_sel:DWORD dst_unused:UNUSED_PAD src0_sel:WORD_1
	v_cvt_f32_f16_e32 v10, v6
	v_cvt_f32_f16_sdwa v13, v7 dst_sel:DWORD dst_unused:UNUSED_PAD src0_sel:WORD_1
	v_cvt_f32_f16_e32 v12, v7
	v_lshlrev_b64 v[2:3], 3, v[2:3]
	v_readlane_b32 s33, v255, 2
	v_add_co_u32_e32 v2, vcc, s33, v2
	v_readlane_b32 s33, v255, 3
	v_pk_fma_f32 v[10:11], v[4:5], v[10:11], 0 op_sel_hi:[0,1,0]
	v_mov_b32_e32 v1, s33
	s_waitcnt lgkmcnt(0)
	v_pk_fma_f32 v[6:7], v[8:9], v[12:13], v[10:11] op_sel_hi:[0,1,1]
	v_addc_co_u32_e32 v3, vcc, v1, v3, vcc
	v_div_scale_f32 v1, s[38:39], v5, v5, v7
	v_rcp_f32_e32 v4, v1
	v_fma_f32 v8, -v1, v4, 1.0
	v_fmac_f32_e32 v4, v8, v4
	v_div_scale_f32 v8, vcc, v7, v5, v7
	v_mul_f32_e32 v9, v8, v4
	v_fma_f32 v10, -v1, v9, v8
	v_fmac_f32_e32 v9, v10, v4
	v_fma_f32 v1, -v1, v9, v8
	v_div_fmas_f32 v1, v1, v4, v9
	v_div_fixup_f32 v7, v1, v5, v7
	v_div_scale_f32 v1, s[38:39], v5, v5, v6
	v_rcp_f32_e32 v4, v1
	v_fma_f32 v8, -v1, v4, 1.0
	v_fmac_f32_e32 v4, v8, v4
	v_div_scale_f32 v8, vcc, v6, v5, v6
	v_mul_f32_e32 v9, v8, v4
	v_fma_f32 v10, -v1, v9, v8
	v_fmac_f32_e32 v9, v10, v4
	v_fma_f32 v1, -v1, v9, v8
	v_div_fmas_f32 v1, v1, v4, v9
	v_div_fixup_f32 v6, v1, v5, v6
	v_mov_b32_e32 v1, 0
	global_store_dwordx2 v[2:3], v[6:7], off
.LBB24_265:                             ;   in Loop: Header=BB24_14 Depth=1
	s_or_b64 exec, exec, s[42:43]
	s_movk_i32 s33, 0x47
	v_cmp_gt_i32_e32 vcc, s33, v1
	s_mov_b64 s[42:43], -1
	s_and_saveexec_b64 s[44:45], vcc
; %bb.266:                              ;   in Loop: Header=BB24_14 Depth=1
	v_cmp_eq_u32_e32 vcc, 0, v1
	s_orn2_b64 s[42:43], vcc, exec
; %bb.267:                              ;   in Loop: Header=BB24_14 Depth=1
	s_or_b64 exec, exec, s[44:45]
	s_and_b64 exec, exec, s[42:43]
	s_cbranch_execz .LBB24_12
; %bb.268:                              ;   in Loop: Header=BB24_14 Depth=1
	v_add_u32_e32 v2, s81, v189
	v_cmp_gt_i32_e32 vcc, s80, v2
	v_mov_b32_e32 v1, 0x47
	s_and_saveexec_b64 s[42:43], vcc
	s_cbranch_execz .LBB24_270
; %bb.269:                              ;   in Loop: Header=BB24_14 Depth=1
	buffer_load_dword v1, off, s[0:3], 0 offset:28 ; 4-byte Folded Reload
	buffer_load_dword v3, off, s[0:3], 0 offset:32 ; 4-byte Folded Reload
	v_readlane_b32 s33, v254, 47
	s_waitcnt vmcnt(1)
	v_add_u32_e32 v1, 0, v1
	ds_read2_b32 v[4:5], v1 offset0:64 offset1:65
	s_waitcnt vmcnt(0)
	ds_read2st64_b32 v[6:7], v3 offset1:17
	ds_read_b32 v8, v1 offset:4608
	v_mad_u64_u32 v[2:3], s[38:39], s33, v2, v[26:27]
	v_ashrrev_i32_e32 v3, 31, v2
	s_waitcnt lgkmcnt(1)
	v_cvt_f32_f16_sdwa v11, v6 dst_sel:DWORD dst_unused:UNUSED_PAD src0_sel:WORD_1
	v_cvt_f32_f16_e32 v10, v6
	v_cvt_f32_f16_sdwa v13, v7 dst_sel:DWORD dst_unused:UNUSED_PAD src0_sel:WORD_1
	v_cvt_f32_f16_e32 v12, v7
	v_lshlrev_b64 v[2:3], 3, v[2:3]
	v_readlane_b32 s33, v255, 2
	v_add_co_u32_e32 v2, vcc, s33, v2
	v_readlane_b32 s33, v255, 3
	v_pk_fma_f32 v[10:11], v[4:5], v[10:11], 0 op_sel_hi:[0,1,0]
	v_mov_b32_e32 v1, s33
	s_waitcnt lgkmcnt(0)
	v_pk_fma_f32 v[6:7], v[8:9], v[12:13], v[10:11] op_sel_hi:[0,1,1]
	v_addc_co_u32_e32 v3, vcc, v1, v3, vcc
	v_div_scale_f32 v1, s[38:39], v5, v5, v7
	v_rcp_f32_e32 v4, v1
	v_fma_f32 v8, -v1, v4, 1.0
	v_fmac_f32_e32 v4, v8, v4
	v_div_scale_f32 v8, vcc, v7, v5, v7
	v_mul_f32_e32 v9, v8, v4
	v_fma_f32 v10, -v1, v9, v8
	v_fmac_f32_e32 v9, v10, v4
	v_fma_f32 v1, -v1, v9, v8
	v_div_fmas_f32 v1, v1, v4, v9
	v_div_fixup_f32 v7, v1, v5, v7
	v_div_scale_f32 v1, s[38:39], v5, v5, v6
	v_rcp_f32_e32 v4, v1
	v_fma_f32 v8, -v1, v4, 1.0
	v_fmac_f32_e32 v4, v8, v4
	v_div_scale_f32 v8, vcc, v6, v5, v6
	v_mul_f32_e32 v9, v8, v4
	v_fma_f32 v10, -v1, v9, v8
	v_fmac_f32_e32 v9, v10, v4
	v_fma_f32 v1, -v1, v9, v8
	v_div_fmas_f32 v1, v1, v4, v9
	v_div_fixup_f32 v6, v1, v5, v6
	v_mov_b32_e32 v1, 0
	global_store_dwordx2 v[2:3], v[6:7], off
.LBB24_270:                             ;   in Loop: Header=BB24_14 Depth=1
	s_or_b64 exec, exec, s[42:43]
	s_movk_i32 s33, 0x47
	v_cmp_gt_i32_e32 vcc, s33, v1
	s_mov_b64 s[42:43], -1
	s_and_saveexec_b64 s[44:45], vcc
; %bb.271:                              ;   in Loop: Header=BB24_14 Depth=1
	v_cmp_eq_u32_e32 vcc, 0, v1
	s_orn2_b64 s[42:43], vcc, exec
; %bb.272:                              ;   in Loop: Header=BB24_14 Depth=1
	s_or_b64 exec, exec, s[44:45]
	s_and_b64 exec, exec, s[42:43]
	s_cbranch_execz .LBB24_12
; %bb.273:                              ;   in Loop: Header=BB24_14 Depth=1
	v_add_u32_e32 v2, s81, v197
	v_cmp_gt_i32_e32 vcc, s80, v2
	v_mov_b32_e32 v1, 0x47
	s_and_saveexec_b64 s[42:43], vcc
	s_cbranch_execz .LBB24_275
; %bb.274:                              ;   in Loop: Header=BB24_14 Depth=1
	buffer_load_dword v1, off, s[0:3], 0 offset:36 ; 4-byte Folded Reload
	buffer_load_dword v3, off, s[0:3], 0 offset:40 ; 4-byte Folded Reload
	v_readlane_b32 s33, v254, 47
	s_waitcnt vmcnt(1)
	v_add_u32_e32 v1, 0, v1
	ds_read2_b32 v[4:5], v1 offset0:64 offset1:65
	s_waitcnt vmcnt(0)
	ds_read2st64_b32 v[6:7], v3 offset1:17
	ds_read_b32 v8, v1 offset:4608
	v_mad_u64_u32 v[2:3], s[38:39], s33, v2, v[26:27]
	v_ashrrev_i32_e32 v3, 31, v2
	s_waitcnt lgkmcnt(1)
	v_cvt_f32_f16_sdwa v11, v6 dst_sel:DWORD dst_unused:UNUSED_PAD src0_sel:WORD_1
	v_cvt_f32_f16_e32 v10, v6
	v_cvt_f32_f16_sdwa v13, v7 dst_sel:DWORD dst_unused:UNUSED_PAD src0_sel:WORD_1
	v_cvt_f32_f16_e32 v12, v7
	v_lshlrev_b64 v[2:3], 3, v[2:3]
	v_readlane_b32 s33, v255, 2
	v_add_co_u32_e32 v2, vcc, s33, v2
	v_readlane_b32 s33, v255, 3
	v_pk_fma_f32 v[10:11], v[4:5], v[10:11], 0 op_sel_hi:[0,1,0]
	v_mov_b32_e32 v1, s33
	s_waitcnt lgkmcnt(0)
	v_pk_fma_f32 v[6:7], v[8:9], v[12:13], v[10:11] op_sel_hi:[0,1,1]
	v_addc_co_u32_e32 v3, vcc, v1, v3, vcc
	v_div_scale_f32 v1, s[38:39], v5, v5, v7
	v_rcp_f32_e32 v4, v1
	v_fma_f32 v8, -v1, v4, 1.0
	v_fmac_f32_e32 v4, v8, v4
	v_div_scale_f32 v8, vcc, v7, v5, v7
	v_mul_f32_e32 v9, v8, v4
	v_fma_f32 v10, -v1, v9, v8
	v_fmac_f32_e32 v9, v10, v4
	v_fma_f32 v1, -v1, v9, v8
	v_div_fmas_f32 v1, v1, v4, v9
	v_div_fixup_f32 v7, v1, v5, v7
	v_div_scale_f32 v1, s[38:39], v5, v5, v6
	v_rcp_f32_e32 v4, v1
	v_fma_f32 v8, -v1, v4, 1.0
	v_fmac_f32_e32 v4, v8, v4
	v_div_scale_f32 v8, vcc, v6, v5, v6
	v_mul_f32_e32 v9, v8, v4
	v_fma_f32 v10, -v1, v9, v8
	v_fmac_f32_e32 v9, v10, v4
	v_fma_f32 v1, -v1, v9, v8
	v_div_fmas_f32 v1, v1, v4, v9
	v_div_fixup_f32 v6, v1, v5, v6
	v_mov_b32_e32 v1, 0
	global_store_dwordx2 v[2:3], v[6:7], off
.LBB24_275:                             ;   in Loop: Header=BB24_14 Depth=1
	s_or_b64 exec, exec, s[42:43]
	s_movk_i32 s33, 0x47
	v_cmp_gt_i32_e32 vcc, s33, v1
	s_mov_b64 s[42:43], -1
	s_and_saveexec_b64 s[44:45], vcc
; %bb.276:                              ;   in Loop: Header=BB24_14 Depth=1
	v_cmp_eq_u32_e32 vcc, 0, v1
	s_orn2_b64 s[42:43], vcc, exec
; %bb.277:                              ;   in Loop: Header=BB24_14 Depth=1
	s_or_b64 exec, exec, s[44:45]
	s_and_b64 exec, exec, s[42:43]
	s_cbranch_execz .LBB24_12
; %bb.278:                              ;   in Loop: Header=BB24_14 Depth=1
	v_add_u32_e32 v2, s81, v200
	v_cmp_gt_i32_e32 vcc, s80, v2
	v_mov_b32_e32 v1, 0x47
	s_and_saveexec_b64 s[42:43], vcc
	s_cbranch_execz .LBB24_280
; %bb.279:                              ;   in Loop: Header=BB24_14 Depth=1
	buffer_load_dword v1, off, s[0:3], 0 offset:44 ; 4-byte Folded Reload
	buffer_load_dword v3, off, s[0:3], 0 offset:48 ; 4-byte Folded Reload
	v_readlane_b32 s33, v254, 47
	s_waitcnt vmcnt(1)
	v_add_u32_e32 v1, 0, v1
	ds_read2_b32 v[4:5], v1 offset0:64 offset1:65
	s_waitcnt vmcnt(0)
	ds_read2st64_b32 v[6:7], v3 offset1:17
	ds_read_b32 v8, v1 offset:4608
	v_mad_u64_u32 v[2:3], s[38:39], s33, v2, v[26:27]
	v_ashrrev_i32_e32 v3, 31, v2
	s_waitcnt lgkmcnt(1)
	v_cvt_f32_f16_sdwa v11, v6 dst_sel:DWORD dst_unused:UNUSED_PAD src0_sel:WORD_1
	v_cvt_f32_f16_e32 v10, v6
	v_cvt_f32_f16_sdwa v13, v7 dst_sel:DWORD dst_unused:UNUSED_PAD src0_sel:WORD_1
	v_cvt_f32_f16_e32 v12, v7
	v_lshlrev_b64 v[2:3], 3, v[2:3]
	v_readlane_b32 s33, v255, 2
	v_add_co_u32_e32 v2, vcc, s33, v2
	v_readlane_b32 s33, v255, 3
	v_pk_fma_f32 v[10:11], v[4:5], v[10:11], 0 op_sel_hi:[0,1,0]
	v_mov_b32_e32 v1, s33
	s_waitcnt lgkmcnt(0)
	v_pk_fma_f32 v[6:7], v[8:9], v[12:13], v[10:11] op_sel_hi:[0,1,1]
	v_addc_co_u32_e32 v3, vcc, v1, v3, vcc
	v_div_scale_f32 v1, s[38:39], v5, v5, v7
	v_rcp_f32_e32 v4, v1
	v_fma_f32 v8, -v1, v4, 1.0
	v_fmac_f32_e32 v4, v8, v4
	v_div_scale_f32 v8, vcc, v7, v5, v7
	v_mul_f32_e32 v9, v8, v4
	v_fma_f32 v10, -v1, v9, v8
	v_fmac_f32_e32 v9, v10, v4
	v_fma_f32 v1, -v1, v9, v8
	v_div_fmas_f32 v1, v1, v4, v9
	v_div_fixup_f32 v7, v1, v5, v7
	v_div_scale_f32 v1, s[38:39], v5, v5, v6
	v_rcp_f32_e32 v4, v1
	v_fma_f32 v8, -v1, v4, 1.0
	v_fmac_f32_e32 v4, v8, v4
	v_div_scale_f32 v8, vcc, v6, v5, v6
	v_mul_f32_e32 v9, v8, v4
	v_fma_f32 v10, -v1, v9, v8
	v_fmac_f32_e32 v9, v10, v4
	v_fma_f32 v1, -v1, v9, v8
	v_div_fmas_f32 v1, v1, v4, v9
	v_div_fixup_f32 v6, v1, v5, v6
	v_mov_b32_e32 v1, 0
	global_store_dwordx2 v[2:3], v[6:7], off
.LBB24_280:                             ;   in Loop: Header=BB24_14 Depth=1
	s_or_b64 exec, exec, s[42:43]
	s_movk_i32 s33, 0x47
	v_cmp_gt_i32_e32 vcc, s33, v1
	s_mov_b64 s[42:43], -1
	s_and_saveexec_b64 s[44:45], vcc
; %bb.281:                              ;   in Loop: Header=BB24_14 Depth=1
	v_cmp_eq_u32_e32 vcc, 0, v1
	s_orn2_b64 s[42:43], vcc, exec
; %bb.282:                              ;   in Loop: Header=BB24_14 Depth=1
	s_or_b64 exec, exec, s[44:45]
	s_and_b64 exec, exec, s[42:43]
	s_cbranch_execz .LBB24_12
; %bb.283:                              ;   in Loop: Header=BB24_14 Depth=1
	v_add_u32_e32 v2, s81, v203
	v_cmp_gt_i32_e32 vcc, s80, v2
	v_mov_b32_e32 v1, 0x47
	s_and_saveexec_b64 s[42:43], vcc
	s_cbranch_execz .LBB24_285
; %bb.284:                              ;   in Loop: Header=BB24_14 Depth=1
	buffer_load_dword v1, off, s[0:3], 0 offset:52 ; 4-byte Folded Reload
	buffer_load_dword v3, off, s[0:3], 0 offset:56 ; 4-byte Folded Reload
	v_readlane_b32 s33, v254, 47
	s_waitcnt vmcnt(1)
	v_add_u32_e32 v1, 0, v1
	ds_read2_b32 v[4:5], v1 offset0:64 offset1:65
	s_waitcnt vmcnt(0)
	ds_read2st64_b32 v[6:7], v3 offset1:17
	ds_read_b32 v8, v1 offset:4608
	v_mad_u64_u32 v[2:3], s[38:39], s33, v2, v[26:27]
	v_ashrrev_i32_e32 v3, 31, v2
	s_waitcnt lgkmcnt(1)
	v_cvt_f32_f16_sdwa v11, v6 dst_sel:DWORD dst_unused:UNUSED_PAD src0_sel:WORD_1
	v_cvt_f32_f16_e32 v10, v6
	v_cvt_f32_f16_sdwa v13, v7 dst_sel:DWORD dst_unused:UNUSED_PAD src0_sel:WORD_1
	v_cvt_f32_f16_e32 v12, v7
	v_lshlrev_b64 v[2:3], 3, v[2:3]
	v_readlane_b32 s33, v255, 2
	v_add_co_u32_e32 v2, vcc, s33, v2
	v_readlane_b32 s33, v255, 3
	v_pk_fma_f32 v[10:11], v[4:5], v[10:11], 0 op_sel_hi:[0,1,0]
	v_mov_b32_e32 v1, s33
	s_waitcnt lgkmcnt(0)
	v_pk_fma_f32 v[6:7], v[8:9], v[12:13], v[10:11] op_sel_hi:[0,1,1]
	v_addc_co_u32_e32 v3, vcc, v1, v3, vcc
	v_div_scale_f32 v1, s[38:39], v5, v5, v7
	v_rcp_f32_e32 v4, v1
	v_fma_f32 v8, -v1, v4, 1.0
	v_fmac_f32_e32 v4, v8, v4
	v_div_scale_f32 v8, vcc, v7, v5, v7
	v_mul_f32_e32 v9, v8, v4
	v_fma_f32 v10, -v1, v9, v8
	v_fmac_f32_e32 v9, v10, v4
	v_fma_f32 v1, -v1, v9, v8
	v_div_fmas_f32 v1, v1, v4, v9
	v_div_fixup_f32 v7, v1, v5, v7
	v_div_scale_f32 v1, s[38:39], v5, v5, v6
	v_rcp_f32_e32 v4, v1
	v_fma_f32 v8, -v1, v4, 1.0
	v_fmac_f32_e32 v4, v8, v4
	v_div_scale_f32 v8, vcc, v6, v5, v6
	v_mul_f32_e32 v9, v8, v4
	v_fma_f32 v10, -v1, v9, v8
	v_fmac_f32_e32 v9, v10, v4
	v_fma_f32 v1, -v1, v9, v8
	v_div_fmas_f32 v1, v1, v4, v9
	v_div_fixup_f32 v6, v1, v5, v6
	v_mov_b32_e32 v1, 0
	global_store_dwordx2 v[2:3], v[6:7], off
.LBB24_285:                             ;   in Loop: Header=BB24_14 Depth=1
	s_or_b64 exec, exec, s[42:43]
	s_movk_i32 s33, 0x47
	v_cmp_gt_i32_e32 vcc, s33, v1
	s_mov_b64 s[42:43], -1
	s_and_saveexec_b64 s[44:45], vcc
; %bb.286:                              ;   in Loop: Header=BB24_14 Depth=1
	v_cmp_eq_u32_e32 vcc, 0, v1
	s_orn2_b64 s[42:43], vcc, exec
; %bb.287:                              ;   in Loop: Header=BB24_14 Depth=1
	s_or_b64 exec, exec, s[44:45]
	s_and_b64 exec, exec, s[42:43]
	s_cbranch_execz .LBB24_12
; %bb.288:                              ;   in Loop: Header=BB24_14 Depth=1
	v_add_u32_e32 v2, s81, v206
	v_cmp_gt_i32_e32 vcc, s80, v2
	v_mov_b32_e32 v1, 0x47
	s_and_saveexec_b64 s[42:43], vcc
	s_cbranch_execz .LBB24_290
; %bb.289:                              ;   in Loop: Header=BB24_14 Depth=1
	buffer_load_dword v1, off, s[0:3], 0 offset:60 ; 4-byte Folded Reload
	buffer_load_dword v3, off, s[0:3], 0 offset:64 ; 4-byte Folded Reload
	v_readlane_b32 s33, v254, 47
	s_waitcnt vmcnt(1)
	v_add_u32_e32 v1, 0, v1
	ds_read2_b32 v[4:5], v1 offset0:64 offset1:65
	s_waitcnt vmcnt(0)
	ds_read2st64_b32 v[6:7], v3 offset1:17
	ds_read_b32 v8, v1 offset:4608
	v_mad_u64_u32 v[2:3], s[38:39], s33, v2, v[26:27]
	v_ashrrev_i32_e32 v3, 31, v2
	s_waitcnt lgkmcnt(1)
	v_cvt_f32_f16_sdwa v11, v6 dst_sel:DWORD dst_unused:UNUSED_PAD src0_sel:WORD_1
	v_cvt_f32_f16_e32 v10, v6
	v_cvt_f32_f16_sdwa v13, v7 dst_sel:DWORD dst_unused:UNUSED_PAD src0_sel:WORD_1
	v_cvt_f32_f16_e32 v12, v7
	v_lshlrev_b64 v[2:3], 3, v[2:3]
	v_readlane_b32 s33, v255, 2
	v_add_co_u32_e32 v2, vcc, s33, v2
	v_readlane_b32 s33, v255, 3
	v_pk_fma_f32 v[10:11], v[4:5], v[10:11], 0 op_sel_hi:[0,1,0]
	v_mov_b32_e32 v1, s33
	s_waitcnt lgkmcnt(0)
	v_pk_fma_f32 v[6:7], v[8:9], v[12:13], v[10:11] op_sel_hi:[0,1,1]
	v_addc_co_u32_e32 v3, vcc, v1, v3, vcc
	v_div_scale_f32 v1, s[38:39], v5, v5, v7
	v_rcp_f32_e32 v4, v1
	v_fma_f32 v8, -v1, v4, 1.0
	v_fmac_f32_e32 v4, v8, v4
	v_div_scale_f32 v8, vcc, v7, v5, v7
	v_mul_f32_e32 v9, v8, v4
	v_fma_f32 v10, -v1, v9, v8
	v_fmac_f32_e32 v9, v10, v4
	v_fma_f32 v1, -v1, v9, v8
	v_div_fmas_f32 v1, v1, v4, v9
	v_div_fixup_f32 v7, v1, v5, v7
	v_div_scale_f32 v1, s[38:39], v5, v5, v6
	v_rcp_f32_e32 v4, v1
	v_fma_f32 v8, -v1, v4, 1.0
	v_fmac_f32_e32 v4, v8, v4
	v_div_scale_f32 v8, vcc, v6, v5, v6
	v_mul_f32_e32 v9, v8, v4
	v_fma_f32 v10, -v1, v9, v8
	v_fmac_f32_e32 v9, v10, v4
	v_fma_f32 v1, -v1, v9, v8
	v_div_fmas_f32 v1, v1, v4, v9
	v_div_fixup_f32 v6, v1, v5, v6
	v_mov_b32_e32 v1, 0
	global_store_dwordx2 v[2:3], v[6:7], off
.LBB24_290:                             ;   in Loop: Header=BB24_14 Depth=1
	s_or_b64 exec, exec, s[42:43]
	s_movk_i32 s33, 0x47
	v_cmp_gt_i32_e32 vcc, s33, v1
	s_mov_b64 s[42:43], -1
	s_and_saveexec_b64 s[44:45], vcc
; %bb.291:                              ;   in Loop: Header=BB24_14 Depth=1
	v_cmp_eq_u32_e32 vcc, 0, v1
	s_orn2_b64 s[42:43], vcc, exec
; %bb.292:                              ;   in Loop: Header=BB24_14 Depth=1
	s_or_b64 exec, exec, s[44:45]
	s_and_b64 exec, exec, s[42:43]
	s_cbranch_execz .LBB24_12
; %bb.293:                              ;   in Loop: Header=BB24_14 Depth=1
	v_add_u32_e32 v2, s81, v209
	v_cmp_gt_i32_e32 vcc, s80, v2
	v_mov_b32_e32 v1, 0x47
	s_and_saveexec_b64 s[42:43], vcc
	s_cbranch_execz .LBB24_295
; %bb.294:                              ;   in Loop: Header=BB24_14 Depth=1
	buffer_load_dword v1, off, s[0:3], 0 offset:68 ; 4-byte Folded Reload
	buffer_load_dword v3, off, s[0:3], 0 offset:72 ; 4-byte Folded Reload
	v_readlane_b32 s33, v254, 47
	s_waitcnt vmcnt(1)
	v_add_u32_e32 v1, 0, v1
	ds_read2_b32 v[4:5], v1 offset0:64 offset1:65
	s_waitcnt vmcnt(0)
	ds_read2st64_b32 v[6:7], v3 offset1:17
	ds_read_b32 v8, v1 offset:4608
	v_mad_u64_u32 v[2:3], s[38:39], s33, v2, v[26:27]
	v_ashrrev_i32_e32 v3, 31, v2
	s_waitcnt lgkmcnt(1)
	v_cvt_f32_f16_sdwa v11, v6 dst_sel:DWORD dst_unused:UNUSED_PAD src0_sel:WORD_1
	v_cvt_f32_f16_e32 v10, v6
	v_cvt_f32_f16_sdwa v13, v7 dst_sel:DWORD dst_unused:UNUSED_PAD src0_sel:WORD_1
	v_cvt_f32_f16_e32 v12, v7
	v_lshlrev_b64 v[2:3], 3, v[2:3]
	v_readlane_b32 s33, v255, 2
	v_add_co_u32_e32 v2, vcc, s33, v2
	v_readlane_b32 s33, v255, 3
	v_pk_fma_f32 v[10:11], v[4:5], v[10:11], 0 op_sel_hi:[0,1,0]
	v_mov_b32_e32 v1, s33
	s_waitcnt lgkmcnt(0)
	v_pk_fma_f32 v[6:7], v[8:9], v[12:13], v[10:11] op_sel_hi:[0,1,1]
	v_addc_co_u32_e32 v3, vcc, v1, v3, vcc
	v_div_scale_f32 v1, s[38:39], v5, v5, v7
	v_rcp_f32_e32 v4, v1
	v_fma_f32 v8, -v1, v4, 1.0
	v_fmac_f32_e32 v4, v8, v4
	v_div_scale_f32 v8, vcc, v7, v5, v7
	v_mul_f32_e32 v9, v8, v4
	v_fma_f32 v10, -v1, v9, v8
	v_fmac_f32_e32 v9, v10, v4
	v_fma_f32 v1, -v1, v9, v8
	v_div_fmas_f32 v1, v1, v4, v9
	v_div_fixup_f32 v7, v1, v5, v7
	v_div_scale_f32 v1, s[38:39], v5, v5, v6
	v_rcp_f32_e32 v4, v1
	v_fma_f32 v8, -v1, v4, 1.0
	v_fmac_f32_e32 v4, v8, v4
	v_div_scale_f32 v8, vcc, v6, v5, v6
	v_mul_f32_e32 v9, v8, v4
	v_fma_f32 v10, -v1, v9, v8
	v_fmac_f32_e32 v9, v10, v4
	v_fma_f32 v1, -v1, v9, v8
	v_div_fmas_f32 v1, v1, v4, v9
	v_div_fixup_f32 v6, v1, v5, v6
	v_mov_b32_e32 v1, 0
	global_store_dwordx2 v[2:3], v[6:7], off
.LBB24_295:                             ;   in Loop: Header=BB24_14 Depth=1
	s_or_b64 exec, exec, s[42:43]
	s_movk_i32 s33, 0x47
	v_cmp_gt_i32_e32 vcc, s33, v1
	s_mov_b64 s[42:43], -1
	s_and_saveexec_b64 s[44:45], vcc
; %bb.296:                              ;   in Loop: Header=BB24_14 Depth=1
	v_cmp_eq_u32_e32 vcc, 0, v1
	s_orn2_b64 s[42:43], vcc, exec
; %bb.297:                              ;   in Loop: Header=BB24_14 Depth=1
	s_or_b64 exec, exec, s[44:45]
	s_and_b64 exec, exec, s[42:43]
	s_cbranch_execz .LBB24_12
; %bb.298:                              ;   in Loop: Header=BB24_14 Depth=1
	v_add_u32_e32 v2, s81, v212
	v_cmp_gt_i32_e32 vcc, s80, v2
	v_mov_b32_e32 v1, 0x47
	s_and_saveexec_b64 s[42:43], vcc
	s_cbranch_execz .LBB24_300
; %bb.299:                              ;   in Loop: Header=BB24_14 Depth=1
	buffer_load_dword v1, off, s[0:3], 0 offset:76 ; 4-byte Folded Reload
	buffer_load_dword v3, off, s[0:3], 0 offset:80 ; 4-byte Folded Reload
	v_readlane_b32 s33, v254, 47
	s_waitcnt vmcnt(1)
	v_add_u32_e32 v1, 0, v1
	ds_read2_b32 v[4:5], v1 offset0:64 offset1:65
	s_waitcnt vmcnt(0)
	ds_read2st64_b32 v[6:7], v3 offset1:17
	ds_read_b32 v8, v1 offset:4608
	v_mad_u64_u32 v[2:3], s[38:39], s33, v2, v[26:27]
	v_ashrrev_i32_e32 v3, 31, v2
	s_waitcnt lgkmcnt(1)
	v_cvt_f32_f16_sdwa v11, v6 dst_sel:DWORD dst_unused:UNUSED_PAD src0_sel:WORD_1
	v_cvt_f32_f16_e32 v10, v6
	v_cvt_f32_f16_sdwa v13, v7 dst_sel:DWORD dst_unused:UNUSED_PAD src0_sel:WORD_1
	v_cvt_f32_f16_e32 v12, v7
	v_lshlrev_b64 v[2:3], 3, v[2:3]
	v_readlane_b32 s33, v255, 2
	v_add_co_u32_e32 v2, vcc, s33, v2
	v_readlane_b32 s33, v255, 3
	v_pk_fma_f32 v[10:11], v[4:5], v[10:11], 0 op_sel_hi:[0,1,0]
	v_mov_b32_e32 v1, s33
	s_waitcnt lgkmcnt(0)
	v_pk_fma_f32 v[6:7], v[8:9], v[12:13], v[10:11] op_sel_hi:[0,1,1]
	v_addc_co_u32_e32 v3, vcc, v1, v3, vcc
	v_div_scale_f32 v1, s[38:39], v5, v5, v7
	v_rcp_f32_e32 v4, v1
	v_fma_f32 v8, -v1, v4, 1.0
	v_fmac_f32_e32 v4, v8, v4
	v_div_scale_f32 v8, vcc, v7, v5, v7
	v_mul_f32_e32 v9, v8, v4
	v_fma_f32 v10, -v1, v9, v8
	v_fmac_f32_e32 v9, v10, v4
	v_fma_f32 v1, -v1, v9, v8
	v_div_fmas_f32 v1, v1, v4, v9
	v_div_fixup_f32 v7, v1, v5, v7
	v_div_scale_f32 v1, s[38:39], v5, v5, v6
	v_rcp_f32_e32 v4, v1
	v_fma_f32 v8, -v1, v4, 1.0
	v_fmac_f32_e32 v4, v8, v4
	v_div_scale_f32 v8, vcc, v6, v5, v6
	v_mul_f32_e32 v9, v8, v4
	v_fma_f32 v10, -v1, v9, v8
	v_fmac_f32_e32 v9, v10, v4
	v_fma_f32 v1, -v1, v9, v8
	v_div_fmas_f32 v1, v1, v4, v9
	v_div_fixup_f32 v6, v1, v5, v6
	v_mov_b32_e32 v1, 0
	global_store_dwordx2 v[2:3], v[6:7], off
.LBB24_300:                             ;   in Loop: Header=BB24_14 Depth=1
	s_or_b64 exec, exec, s[42:43]
	s_movk_i32 s33, 0x47
	v_cmp_gt_i32_e32 vcc, s33, v1
	s_mov_b64 s[42:43], -1
	s_and_saveexec_b64 s[44:45], vcc
; %bb.301:                              ;   in Loop: Header=BB24_14 Depth=1
	v_cmp_eq_u32_e32 vcc, 0, v1
	s_orn2_b64 s[42:43], vcc, exec
; %bb.302:                              ;   in Loop: Header=BB24_14 Depth=1
	s_or_b64 exec, exec, s[44:45]
	s_and_b64 exec, exec, s[42:43]
	s_cbranch_execz .LBB24_12
; %bb.303:                              ;   in Loop: Header=BB24_14 Depth=1
	v_add_u32_e32 v2, s81, v215
	v_cmp_gt_i32_e32 vcc, s80, v2
	v_mov_b32_e32 v1, 0x47
	s_and_saveexec_b64 s[42:43], vcc
	s_cbranch_execz .LBB24_305
; %bb.304:                              ;   in Loop: Header=BB24_14 Depth=1
	buffer_load_dword v1, off, s[0:3], 0 offset:84 ; 4-byte Folded Reload
	buffer_load_dword v3, off, s[0:3], 0 offset:88 ; 4-byte Folded Reload
	v_readlane_b32 s33, v254, 47
	s_waitcnt vmcnt(1)
	v_add_u32_e32 v1, 0, v1
	ds_read2_b32 v[4:5], v1 offset0:64 offset1:65
	s_waitcnt vmcnt(0)
	ds_read2st64_b32 v[6:7], v3 offset1:17
	ds_read_b32 v8, v1 offset:4608
	v_mad_u64_u32 v[2:3], s[38:39], s33, v2, v[26:27]
	v_ashrrev_i32_e32 v3, 31, v2
	s_waitcnt lgkmcnt(1)
	v_cvt_f32_f16_sdwa v11, v6 dst_sel:DWORD dst_unused:UNUSED_PAD src0_sel:WORD_1
	v_cvt_f32_f16_e32 v10, v6
	v_cvt_f32_f16_sdwa v13, v7 dst_sel:DWORD dst_unused:UNUSED_PAD src0_sel:WORD_1
	v_cvt_f32_f16_e32 v12, v7
	v_lshlrev_b64 v[2:3], 3, v[2:3]
	v_readlane_b32 s33, v255, 2
	v_add_co_u32_e32 v2, vcc, s33, v2
	v_readlane_b32 s33, v255, 3
	v_pk_fma_f32 v[10:11], v[4:5], v[10:11], 0 op_sel_hi:[0,1,0]
	v_mov_b32_e32 v1, s33
	s_waitcnt lgkmcnt(0)
	v_pk_fma_f32 v[6:7], v[8:9], v[12:13], v[10:11] op_sel_hi:[0,1,1]
	v_addc_co_u32_e32 v3, vcc, v1, v3, vcc
	v_div_scale_f32 v1, s[38:39], v5, v5, v7
	v_rcp_f32_e32 v4, v1
	v_fma_f32 v8, -v1, v4, 1.0
	v_fmac_f32_e32 v4, v8, v4
	v_div_scale_f32 v8, vcc, v7, v5, v7
	v_mul_f32_e32 v9, v8, v4
	v_fma_f32 v10, -v1, v9, v8
	v_fmac_f32_e32 v9, v10, v4
	v_fma_f32 v1, -v1, v9, v8
	v_div_fmas_f32 v1, v1, v4, v9
	v_div_fixup_f32 v7, v1, v5, v7
	v_div_scale_f32 v1, s[38:39], v5, v5, v6
	v_rcp_f32_e32 v4, v1
	v_fma_f32 v8, -v1, v4, 1.0
	v_fmac_f32_e32 v4, v8, v4
	v_div_scale_f32 v8, vcc, v6, v5, v6
	v_mul_f32_e32 v9, v8, v4
	v_fma_f32 v10, -v1, v9, v8
	v_fmac_f32_e32 v9, v10, v4
	v_fma_f32 v1, -v1, v9, v8
	v_div_fmas_f32 v1, v1, v4, v9
	v_div_fixup_f32 v6, v1, v5, v6
	v_mov_b32_e32 v1, 0
	global_store_dwordx2 v[2:3], v[6:7], off
.LBB24_305:                             ;   in Loop: Header=BB24_14 Depth=1
	s_or_b64 exec, exec, s[42:43]
	s_movk_i32 s33, 0x47
	v_cmp_gt_i32_e32 vcc, s33, v1
	s_mov_b64 s[42:43], -1
	s_and_saveexec_b64 s[44:45], vcc
; %bb.306:                              ;   in Loop: Header=BB24_14 Depth=1
	v_cmp_eq_u32_e32 vcc, 0, v1
	s_orn2_b64 s[42:43], vcc, exec
; %bb.307:                              ;   in Loop: Header=BB24_14 Depth=1
	s_or_b64 exec, exec, s[44:45]
	s_and_b64 exec, exec, s[42:43]
	s_cbranch_execz .LBB24_12
; %bb.308:                              ;   in Loop: Header=BB24_14 Depth=1
	v_add_u32_e32 v2, s81, v218
	v_cmp_gt_i32_e32 vcc, s80, v2
	v_mov_b32_e32 v1, 0x47
	s_and_saveexec_b64 s[42:43], vcc
	s_cbranch_execz .LBB24_310
; %bb.309:                              ;   in Loop: Header=BB24_14 Depth=1
	buffer_load_dword v1, off, s[0:3], 0 offset:92 ; 4-byte Folded Reload
	buffer_load_dword v3, off, s[0:3], 0 offset:96 ; 4-byte Folded Reload
	v_readlane_b32 s33, v254, 47
	s_waitcnt vmcnt(1)
	v_add_u32_e32 v1, 0, v1
	ds_read2_b32 v[4:5], v1 offset0:64 offset1:65
	s_waitcnt vmcnt(0)
	ds_read2st64_b32 v[6:7], v3 offset1:17
	ds_read_b32 v8, v1 offset:4608
	v_mad_u64_u32 v[2:3], s[38:39], s33, v2, v[26:27]
	v_ashrrev_i32_e32 v3, 31, v2
	s_waitcnt lgkmcnt(1)
	v_cvt_f32_f16_sdwa v11, v6 dst_sel:DWORD dst_unused:UNUSED_PAD src0_sel:WORD_1
	v_cvt_f32_f16_e32 v10, v6
	v_cvt_f32_f16_sdwa v13, v7 dst_sel:DWORD dst_unused:UNUSED_PAD src0_sel:WORD_1
	v_cvt_f32_f16_e32 v12, v7
	v_lshlrev_b64 v[2:3], 3, v[2:3]
	v_readlane_b32 s33, v255, 2
	v_add_co_u32_e32 v2, vcc, s33, v2
	v_readlane_b32 s33, v255, 3
	v_pk_fma_f32 v[10:11], v[4:5], v[10:11], 0 op_sel_hi:[0,1,0]
	v_mov_b32_e32 v1, s33
	s_waitcnt lgkmcnt(0)
	v_pk_fma_f32 v[6:7], v[8:9], v[12:13], v[10:11] op_sel_hi:[0,1,1]
	v_addc_co_u32_e32 v3, vcc, v1, v3, vcc
	v_div_scale_f32 v1, s[38:39], v5, v5, v7
	v_rcp_f32_e32 v4, v1
	v_fma_f32 v8, -v1, v4, 1.0
	v_fmac_f32_e32 v4, v8, v4
	v_div_scale_f32 v8, vcc, v7, v5, v7
	v_mul_f32_e32 v9, v8, v4
	v_fma_f32 v10, -v1, v9, v8
	v_fmac_f32_e32 v9, v10, v4
	v_fma_f32 v1, -v1, v9, v8
	v_div_fmas_f32 v1, v1, v4, v9
	v_div_fixup_f32 v7, v1, v5, v7
	v_div_scale_f32 v1, s[38:39], v5, v5, v6
	v_rcp_f32_e32 v4, v1
	v_fma_f32 v8, -v1, v4, 1.0
	v_fmac_f32_e32 v4, v8, v4
	v_div_scale_f32 v8, vcc, v6, v5, v6
	v_mul_f32_e32 v9, v8, v4
	v_fma_f32 v10, -v1, v9, v8
	v_fmac_f32_e32 v9, v10, v4
	v_fma_f32 v1, -v1, v9, v8
	v_div_fmas_f32 v1, v1, v4, v9
	v_div_fixup_f32 v6, v1, v5, v6
	v_mov_b32_e32 v1, 0
	global_store_dwordx2 v[2:3], v[6:7], off
.LBB24_310:                             ;   in Loop: Header=BB24_14 Depth=1
	s_or_b64 exec, exec, s[42:43]
	s_movk_i32 s33, 0x47
	v_cmp_gt_i32_e32 vcc, s33, v1
	s_mov_b64 s[42:43], -1
	s_and_saveexec_b64 s[44:45], vcc
; %bb.311:                              ;   in Loop: Header=BB24_14 Depth=1
	v_cmp_eq_u32_e32 vcc, 0, v1
	s_orn2_b64 s[42:43], vcc, exec
; %bb.312:                              ;   in Loop: Header=BB24_14 Depth=1
	s_or_b64 exec, exec, s[44:45]
	s_and_b64 exec, exec, s[42:43]
	s_cbranch_execz .LBB24_12
; %bb.313:                              ;   in Loop: Header=BB24_14 Depth=1
	v_add_u32_e32 v1, s81, v221
	v_cmp_gt_i32_e32 vcc, s80, v1
	s_and_b64 exec, exec, vcc
	s_cbranch_execz .LBB24_12
; %bb.314:                              ;   in Loop: Header=BB24_14 Depth=1
	buffer_load_dword v2, off, s[0:3], 0 offset:100 ; 4-byte Folded Reload
	buffer_load_dword v4, off, s[0:3], 0 offset:104 ; 4-byte Folded Reload
	v_readlane_b32 s33, v254, 47
	v_mad_u64_u32 v[8:9], s[38:39], s33, v1, v[26:27]
	v_ashrrev_i32_e32 v9, 31, v8
	v_lshlrev_b64 v[8:9], 3, v[8:9]
	v_readlane_b32 s33, v255, 2
	v_add_co_u32_e32 v8, vcc, s33, v8
	v_readlane_b32 s33, v255, 3
	v_mov_b32_e32 v1, s33
	v_addc_co_u32_e32 v9, vcc, v1, v9, vcc
	s_waitcnt vmcnt(1)
	v_add_u32_e32 v6, 0, v2
	ds_read2_b32 v[2:3], v6 offset0:64 offset1:65
	s_waitcnt vmcnt(0)
	ds_read2st64_b32 v[4:5], v4 offset1:17
	ds_read_b32 v6, v6 offset:4608
	s_waitcnt lgkmcnt(1)
	v_cvt_f32_f16_sdwa v11, v4 dst_sel:DWORD dst_unused:UNUSED_PAD src0_sel:WORD_1
	v_cvt_f32_f16_e32 v10, v4
	v_cvt_f32_f16_sdwa v13, v5 dst_sel:DWORD dst_unused:UNUSED_PAD src0_sel:WORD_1
	v_cvt_f32_f16_e32 v12, v5
	v_pk_fma_f32 v[10:11], v[2:3], v[10:11], 0 op_sel_hi:[0,1,0]
	s_waitcnt lgkmcnt(0)
	v_pk_fma_f32 v[4:5], v[6:7], v[12:13], v[10:11] op_sel_hi:[0,1,1]
	v_div_scale_f32 v1, s[38:39], v3, v3, v5
	v_rcp_f32_e32 v2, v1
	v_fma_f32 v6, -v1, v2, 1.0
	v_fmac_f32_e32 v2, v6, v2
	v_div_scale_f32 v6, vcc, v5, v3, v5
	v_mul_f32_e32 v7, v6, v2
	v_fma_f32 v10, -v1, v7, v6
	v_fmac_f32_e32 v7, v10, v2
	v_fma_f32 v1, -v1, v7, v6
	v_div_fmas_f32 v1, v1, v2, v7
	v_div_fixup_f32 v5, v1, v3, v5
	v_div_scale_f32 v1, s[38:39], v3, v3, v4
	v_rcp_f32_e32 v2, v1
	v_fma_f32 v6, -v1, v2, 1.0
	v_fmac_f32_e32 v2, v6, v2
	v_div_scale_f32 v6, vcc, v4, v3, v4
	v_mul_f32_e32 v7, v6, v2
	v_fma_f32 v10, -v1, v7, v6
	v_fmac_f32_e32 v7, v10, v2
	v_fma_f32 v1, -v1, v7, v6
	v_div_fmas_f32 v1, v1, v2, v7
	v_div_fixup_f32 v4, v1, v3, v4
	global_store_dwordx2 v[8:9], v[4:5], off
	s_branch .LBB24_12
.LBB24_315:
	v_readlane_b32 s20, v254, 30
	v_readlane_b32 s60, v254, 46
	;; [unrolled: 1-line block ×10, first 2 shown]
	s_andn2_b64 vcc, exec, s[40:41]
	s_cbranch_vccnz .LBB24_10
.LBB24_316:
	v_readlane_b32 s10, v254, 7
	s_abs_i32 s4, s10
	v_cvt_f32_u32_e32 v1, s4
	s_sub_i32 s7, 0, s4
	s_abs_i32 s6, s88
	s_xor_b32 s5, s88, s10
	v_rcp_iflag_f32_e32 v1, v1
	s_ashr_i32 s5, s5, 31
	v_readlane_b32 s14, v254, 6
	v_readlane_b32 s11, v254, 3
	v_mul_f32_e32 v1, 0x4f7ffffe, v1
	v_cvt_u32_f32_e32 v1, v1
	v_readfirstlane_b32 s8, v1
	s_mul_i32 s7, s7, s8
	s_mul_hi_u32 s7, s8, s7
	s_add_i32 s8, s8, s7
	s_mul_hi_u32 s7, s6, s8
	s_mul_i32 s8, s7, s4
	s_sub_i32 s6, s6, s8
	s_add_i32 s9, s7, 1
	s_sub_i32 s8, s6, s4
	s_cmp_ge_u32 s6, s4
	s_cselect_b32 s7, s9, s7
	s_cselect_b32 s6, s8, s6
	s_add_i32 s8, s7, 1
	s_cmp_ge_u32 s6, s4
	s_cselect_b32 s4, s8, s7
	s_abs_i32 s6, s14
	v_cvt_f32_u32_e32 v1, s6
	s_xor_b32 s4, s4, s5
	s_sub_i32 s7, 0, s6
	s_sub_i32 s12, s4, s5
	v_rcp_iflag_f32_e32 v1, v1
	s_mul_i32 s4, s12, s10
	s_sub_i32 s4, s88, s4
	s_abs_i32 s8, s4
	v_mul_f32_e32 v1, 0x4f7ffffe, v1
	v_cvt_u32_f32_e32 v1, v1
	s_xor_b32 s5, s4, s14
	s_ashr_i32 s5, s5, 31
	v_readfirstlane_b32 s9, v1
	s_mul_i32 s7, s7, s9
	s_mul_hi_u32 s7, s9, s7
	s_add_i32 s9, s9, s7
	s_mul_hi_u32 s7, s8, s9
	s_mul_i32 s9, s7, s6
	s_sub_i32 s8, s8, s9
	s_add_i32 s10, s7, 1
	s_sub_i32 s9, s8, s6
	s_cmp_ge_u32 s8, s6
	s_cselect_b32 s7, s10, s7
	s_cselect_b32 s8, s9, s8
	s_add_i32 s9, s7, 1
	s_cmp_ge_u32 s8, s6
	s_cselect_b32 s6, s9, s7
	s_abs_i32 s7, s11
	v_cvt_f32_u32_e32 v1, s7
	s_xor_b32 s6, s6, s5
	s_sub_i32 s8, 0, s7
	s_sub_i32 s13, s6, s5
	v_rcp_iflag_f32_e32 v1, v1
	s_mul_i32 s5, s13, s14
	s_sub_i32 s5, s4, s5
	s_abs_i32 s6, s5
	v_mul_f32_e32 v1, 0x4f7ffffe, v1
	v_cvt_u32_f32_e32 v1, v1
	s_xor_b32 s4, s5, s11
	s_ashr_i32 s4, s4, 31
	v_readfirstlane_b32 s9, v1
	s_mul_i32 s8, s8, s9
	s_mul_hi_u32 s8, s9, s8
	s_add_i32 s9, s9, s8
	s_mul_hi_u32 s8, s6, s9
	s_mul_i32 s9, s8, s7
	s_sub_i32 s6, s6, s9
	s_add_i32 s10, s8, 1
	s_sub_i32 s9, s6, s7
	s_cmp_ge_u32 s6, s7
	s_cselect_b32 s8, s10, s8
	s_cselect_b32 s6, s9, s6
	s_add_i32 s9, s8, 1
	s_cmp_ge_u32 s6, s7
	s_cselect_b32 s6, s9, s8
	s_xor_b32 s6, s6, s4
	s_sub_i32 s4, s6, s4
	s_mul_i32 s6, s4, s11
	s_sub_i32 s5, s5, s6
	s_abs_i32 s16, s5
	s_ashr_i32 s14, s12, 31
	s_mul_hi_u32 s15, s16, s47
	s_cmp_eq_u64 s[70:71], 0
	s_mov_b64 s[8:9], 0
	s_cbranch_scc1 .LBB24_318
; %bb.317:
	s_abs_i32 s6, s38
	v_cvt_f32_u32_e32 v1, s6
	s_sub_i32 s8, 0, s6
	s_abs_i32 s7, s12
	v_readlane_b32 s10, v254, 15
	v_rcp_iflag_f32_e32 v1, v1
	v_readlane_b32 s11, v254, 16
	v_mul_f32_e32 v1, 0x4f7ffffe, v1
	v_cvt_u32_f32_e32 v1, v1
	v_readfirstlane_b32 s9, v1
	s_mul_i32 s8, s8, s9
	s_mul_hi_u32 s8, s9, s8
	s_add_i32 s9, s9, s8
	s_mul_hi_u32 s8, s7, s9
	s_mul_i32 s8, s8, s6
	s_sub_i32 s7, s7, s8
	s_sub_i32 s8, s7, s6
	s_cmp_ge_u32 s7, s6
	s_cselect_b32 s7, s8, s7
	s_sub_i32 s8, s7, s6
	s_cmp_ge_u32 s7, s6
	s_cselect_b32 s6, s8, s7
	s_xor_b32 s6, s6, s14
	s_sub_i32 s6, s6, s14
	s_ashr_i32 s7, s6, 31
	s_mul_i32 s8, s6, s11
	s_mul_hi_u32 s9, s6, s10
	s_add_i32 s8, s9, s8
	s_mul_i32 s7, s7, s10
	s_add_i32 s7, s8, s7
	s_mul_i32 s6, s6, s10
	s_add_u32 s8, s70, s6
	s_addc_u32 s9, s71, s7
.LBB24_318:
	s_ashr_i32 s18, s5, 31
	v_readlane_b32 s5, v254, 2
	s_mul_i32 s17, s13, s5
	s_add_i32 s17, s17, s4
	v_cmp_le_f32_e64 s[4:5], s21, 0
	s_and_b64 vcc, exec, s[4:5]
	v_mov_b32_e32 v24, 1.0
	s_cbranch_vccnz .LBB24_320
; %bb.319:
	v_readlane_b32 s5, v254, 12
	s_sub_i32 s4, s17, s5
	s_lshl_b32 s4, s4, 1
	s_add_i32 s6, s17, 1
	s_or_b32 s7, s4, 1
	s_cmp_lt_u32 s17, s5
	s_cselect_b64 vcc, -1, 0
	s_and_b64 s[4:5], vcc, exec
	v_mov_b32_e32 v1, s23
	v_mov_b32_e32 v2, s22
	s_cselect_b32 s4, s6, s7
	v_cndmask_b32_e32 v18, v1, v2, vcc
	v_cvt_f32_i32_e32 v1, s4
	v_cmp_neq_f32_e32 vcc, 1.0, v18
	s_mov_b32 s4, 0x3f2aaaab
	s_movk_i32 s6, 0x204
	v_cndmask_b32_e32 v19, 1.0, v1, vcc
	v_cmp_eq_f32_e32 vcc, 0, v19
	v_cndmask_b32_e64 v20, |v18|, 1.0, vcc
	v_frexp_mant_f32_e32 v1, v20
	v_cmp_gt_f32_e64 s[4:5], s4, v1
	v_cndmask_b32_e64 v2, 1.0, 2.0, s[4:5]
	v_mul_f32_e32 v1, v1, v2
	v_add_f32_e32 v2, 1.0, v1
	v_rcp_f32_e32 v10, v2
	v_add_f32_e32 v3, -1.0, v2
	v_sub_f32_e32 v5, v1, v3
	v_add_f32_e32 v3, -1.0, v1
	v_mul_f32_e32 v1, v3, v10
	v_mul_f32_e32 v4, v2, v1
	v_fma_f32 v6, v1, v2, -v4
	v_fmac_f32_e32 v6, v1, v5
	v_add_f32_e32 v2, v4, v6
	v_sub_f32_e32 v5, v3, v2
	v_pk_add_f32 v[8:9], v[2:3], v[4:5] neg_lo:[0,1] neg_hi:[0,1]
	v_mov_b32_e32 v7, v2
	v_pk_add_f32 v[2:3], v[8:9], v[6:7] neg_lo:[0,1] neg_hi:[0,1]
	v_add_f32_e32 v2, v2, v3
	v_add_f32_e32 v2, v5, v2
	v_mul_f32_e32 v3, v10, v2
	v_add_f32_e32 v2, v1, v3
	v_sub_f32_e32 v1, v2, v1
	v_sub_f32_e32 v1, v3, v1
	v_mul_f32_e32 v3, v2, v2
	v_fma_f32 v5, v2, v2, -v3
	v_add_f32_e32 v4, v1, v1
	v_fmac_f32_e32 v5, v2, v4
	v_add_f32_e32 v4, v3, v5
	v_mov_b32_e32 v6, 0x3e91f4c4
	v_fmac_f32_e32 v6, 0x3e76c4e1, v4
	v_mov_b32_e32 v7, 0x3ecccdef
	v_fmac_f32_e32 v7, v4, v6
	v_sub_f32_e32 v3, v4, v3
	v_sub_f32_e32 v12, v5, v3
	v_mul_f32_e32 v3, v4, v7
	v_fma_f32 v5, v4, v7, -v3
	v_fmac_f32_e32 v5, v12, v7
	v_add_f32_e32 v6, v3, v5
	v_add_f32_e32 v7, 0x3f2aaaaa, v6
	v_sub_f32_e32 v3, v6, v3
	v_sub_f32_e32 v3, v5, v3
	v_add_f32_e32 v5, 0xbf2aaaaa, v7
	v_add_f32_e32 v3, 0x31739010, v3
	v_sub_f32_e32 v5, v6, v5
	v_pk_mul_f32 v[8:9], v[2:3], v[4:5]
	v_fma_f32 v6, v4, v2, -v8
	v_pk_add_f32 v[10:11], v[2:3], v[4:5]
	v_fmac_f32_e32 v6, v4, v1
	v_mov_b32_e32 v9, v11
	v_fmac_f32_e32 v6, v12, v2
	v_pk_add_f32 v[4:5], v[8:9], v[6:7]
	v_sub_f32_e32 v3, v4, v8
	v_sub_f32_e32 v3, v6, v3
	;; [unrolled: 1-line block ×3, first 2 shown]
	v_add_f32_e32 v9, v11, v6
	v_mov_b32_e32 v6, v5
	v_pk_mul_f32 v[6:7], v[4:5], v[6:7]
	v_cvt_f64_f32_e32 v[10:11], v20
	v_frexp_exp_i32_f64_e32 v7, v[10:11]
	v_subbrev_co_u32_e64 v7, s[4:5], 0, v7, s[4:5]
	v_cvt_f32_i32_e32 v7, v7
	v_fma_f32 v8, v4, v5, -v6
	v_fmac_f32_e32 v8, v4, v9
	s_mov_b32 s4, 0x3f317218
	v_mul_f32_e32 v4, 0x3f317218, v7
	v_fmac_f32_e32 v8, v3, v5
	v_fma_f32 v10, v7, s4, -v4
	v_fmac_f32_e32 v10, 0xb102e308, v7
	v_ldexp_f32 v11, v2, 1
	v_add_f32_e32 v5, v6, v8
	v_pk_add_f32 v[2:3], v[4:5], v[10:11]
	v_mov_b32_e32 v12, v5
	v_mov_b32_e32 v13, v3
	;; [unrolled: 1-line block ×3, first 2 shown]
	v_pk_add_f32 v[6:7], v[12:13], v[6:7] neg_lo:[0,1] neg_hi:[0,1]
	v_mov_b32_e32 v9, v5
	v_ldexp_f32 v1, v1, 1
	v_pk_add_f32 v[6:7], v[8:9], v[6:7] neg_lo:[0,1] neg_hi:[0,1]
	v_add_f32_e32 v1, v1, v6
	v_add_f32_e32 v5, v1, v7
	v_pk_add_f32 v[6:7], v[2:3], v[4:5] neg_lo:[0,1] neg_hi:[0,1]
	v_pk_add_f32 v[8:9], v[2:3], v[4:5]
	v_mov_b32_e32 v12, v6
	v_mov_b32_e32 v13, v9
	;; [unrolled: 1-line block ×3, first 2 shown]
	v_pk_add_f32 v[12:13], v[10:11], v[12:13]
	v_mov_b32_e32 v4, v13
	v_pk_add_f32 v[14:15], v[4:5], v[2:3] neg_lo:[0,1] neg_hi:[0,1]
	v_mov_b32_e32 v1, v14
	v_mov_b32_e32 v12, v9
	;; [unrolled: 1-line block ×4, first 2 shown]
	v_pk_add_f32 v[6:7], v[10:11], v[6:7] neg_lo:[0,1] neg_hi:[0,1]
	v_pk_add_f32 v[16:17], v[8:9], v[0:1] neg_lo:[0,1] neg_hi:[0,1]
	;; [unrolled: 1-line block ×3, first 2 shown]
	v_mov_b32_e32 v10, v5
	v_pk_add_f32 v[2:3], v[10:11], v[2:3] neg_lo:[0,1] neg_hi:[0,1]
	v_mov_b32_e32 v16, v6
	v_pk_add_f32 v[8:9], v[16:17], v[2:3]
	v_mov_b32_e32 v10, v9
	v_pk_add_f32 v[10:11], v[8:9], v[10:11]
	v_pk_add_f32 v[4:5], v[4:5], v[10:11]
	v_mov_b32_e32 v7, v13
	v_mov_b32_e32 v9, v4
	v_pk_add_f32 v[12:13], v[8:9], v[6:7] neg_lo:[0,1] neg_hi:[0,1]
	v_mov_b32_e32 v3, v10
	v_sub_f32_e32 v1, v8, v12
	v_pk_add_f32 v[2:3], v[2:3], v[12:13] neg_lo:[0,1] neg_hi:[0,1]
	v_sub_f32_e32 v1, v6, v1
	v_add_f32_e32 v1, v2, v1
	v_add_f32_e32 v1, v1, v3
	;; [unrolled: 1-line block ×3, first 2 shown]
	v_sub_f32_e32 v3, v2, v4
	v_sub_f32_e32 v1, v1, v3
	v_mul_f32_e32 v3, v19, v2
	v_fma_f32 v2, v19, v2, -v3
	v_fmac_f32_e32 v2, v19, v1
	v_add_f32_e32 v1, v3, v2
	v_cmp_class_f32_e64 s[4:5], v3, s6
	v_sub_f32_e32 v4, v1, v3
	v_cndmask_b32_e64 v1, v1, v3, s[4:5]
	s_mov_b32 s10, 0x42b17218
	v_mov_b32_e32 v3, 0x37000000
	v_cmp_eq_f32_e64 s[4:5], s10, v1
	v_cndmask_b32_e64 v3, 0, v3, s[4:5]
	v_sub_f32_e32 v2, v2, v4
	v_sub_f32_e32 v4, v1, v3
	s_mov_b32 s4, 0x3fb8aa3b
	v_mul_f32_e32 v5, 0x3fb8aa3b, v4
	v_fma_f32 v6, v4, s4, -v5
	v_rndne_f32_e32 v7, v5
	v_fmac_f32_e32 v6, 0x32a5705f, v4
	v_sub_f32_e32 v5, v5, v7
	v_add_f32_e32 v5, v5, v6
	v_exp_f32_e32 v5, v5
	v_cvt_i32_f32_e32 v6, v7
	s_mov_b32 s7, 0x7f800000
	v_cmp_neq_f32_e64 s[4:5], |v1|, s7
	v_cndmask_b32_e64 v1, 0, v2, s[4:5]
	s_mov_b32 s4, 0xc2ce8ed0
	v_ldexp_f32 v2, v5, v6
	v_cmp_ngt_f32_e64 s[4:5], s4, v4
	v_add_f32_e32 v1, v3, v1
	v_cndmask_b32_e64 v2, 0, v2, s[4:5]
	v_mov_b32_e32 v3, 0x7f800000
	v_cmp_nlt_f32_e64 s[4:5], s10, v4
	v_cndmask_b32_e64 v2, v3, v2, s[4:5]
	v_fma_f32 v1, v2, v1, v2
	v_cmp_class_f32_e64 s[4:5], v2, s6
	v_trunc_f32_e32 v4, v19
	v_cndmask_b32_e64 v1, v1, v2, s[4:5]
	v_cndmask_b32_e64 v2, v18, 1.0, vcc
	v_cmp_eq_f32_e32 vcc, v4, v19
	v_mul_f32_e32 v4, 0.5, v19
	v_trunc_f32_e32 v6, v4
	v_cmp_neq_f32_e64 s[4:5], v6, v4
	s_and_b64 s[4:5], vcc, s[4:5]
	v_cndmask_b32_e64 v4, 1.0, v2, s[4:5]
	s_brev_b32 s19, -2
	v_mov_b32_e32 v5, 0x7fc00000
	v_bfi_b32 v1, s19, v1, v4
	v_cndmask_b32_e32 v4, v5, v1, vcc
	v_cmp_gt_f32_e32 vcc, 0, v2
	v_cndmask_b32_e32 v1, v1, v4, vcc
	v_cmp_eq_f32_e32 vcc, s7, v20
	v_cmp_eq_f32_e64 s[6:7], 0, v2
	v_cmp_gt_f32_e64 s[10:11], 0, v19
	s_xor_b64 s[10:11], s[10:11], s[6:7]
	v_cndmask_b32_e64 v3, v3, 0, s[10:11]
	v_cndmask_b32_e64 v4, 0, v2, s[4:5]
	v_bfi_b32 v3, s19, v3, v4
	s_or_b64 vcc, vcc, s[6:7]
	v_cndmask_b32_e32 v1, v1, v3, vcc
	v_cmp_o_f32_e32 vcc, v2, v2
	v_cndmask_b32_e32 v24, v5, v1, vcc
.LBB24_320:
	s_mul_i32 s5, s15, s89
	v_readlane_b32 s4, v254, 23
	s_sub_i32 s5, s16, s5
	s_xor_b32 s4, s18, s4
	s_add_i32 s6, s15, 1
	s_sub_i32 s7, s5, s89
	s_cmp_ge_u32 s5, s89
	s_cselect_b32 s6, s6, s15
	s_cselect_b32 s5, s7, s5
	s_add_i32 s7, s6, 1
	s_cmp_ge_u32 s5, s89
	s_cselect_b32 s5, s7, s6
	s_xor_b32 s5, s5, s4
	s_sub_i32 s4, s5, s4
	s_cmp_eq_u64 s[74:75], 0
	v_mov_b32_e32 v16, s86
	s_cbranch_scc1 .LBB24_322
; %bb.321:
	v_readlane_b32 s5, v254, 0
	s_mul_i32 s5, s12, s5
	s_add_i32 s6, s4, s5
	s_ashr_i32 s7, s6, 31
	s_lshl_b64 s[6:7], s[6:7], 2
	s_add_u32 s6, s74, s6
	s_addc_u32 s7, s75, s7
	v_mov_b32_e32 v1, 0
	global_load_dword v1, v1, s[6:7]
	s_waitcnt vmcnt(0)
	v_ashrrev_i32_e32 v2, 31, v1
	v_lshrrev_b32_e32 v2, 26, v2
	v_add_u32_e32 v1, v1, v2
	v_ashrrev_i32_e32 v1, 6, v1
	v_min_i32_e32 v16, s86, v1
.LBB24_322:
	v_readlane_b32 s10, v254, 8
	v_readlane_b32 s11, v254, 9
	s_mul_i32 s5, s12, s11
	s_ashr_i32 s6, s5, 31
	s_add_u32 s5, s64, s5
	s_mul_i32 s17, s17, s10
	s_addc_u32 s7, s65, s6
	s_ashr_i32 s10, s17, 31
	s_add_u32 s6, s5, s17
	s_addc_u32 s7, s7, s10
	s_lshl_b32 s10, s4, 5
	v_add_u32_e32 v84, s10, v90
	v_and_b32_e32 v34, 0x3ff, v0
	v_cmp_le_i32_e32 vcc, s80, v84
	s_and_saveexec_b64 s[4:5], vcc
	s_xor_b64 s[4:5], exec, s[4:5]
	s_cbranch_execz .LBB24_324
; %bb.323:
	s_movk_i32 s11, 0x44
	v_mad_u32_u24 v0, v90, s11, v34
	v_lshl_add_u32 v0, v0, 2, 0
	v_mov_b32_e32 v1, 0
	ds_write_b32 v0, v1
.LBB24_324:
	s_andn2_saveexec_b64 s[4:5], s[4:5]
	s_cbranch_execz .LBB24_326
; %bb.325:
	v_mad_u64_u32 v[0:1], s[16:17], v84, s50, v[34:35]
	v_ashrrev_i32_e32 v1, 31, v0
	v_lshlrev_b64 v[0:1], 3, v[0:1]
	v_mov_b32_e32 v2, s7
	v_add_co_u32_e32 v0, vcc, s6, v0
	v_addc_co_u32_e32 v1, vcc, v2, v1, vcc
	global_load_dwordx2 v[0:1], v[0:1], off
	s_movk_i32 s11, 0x44
	v_mad_u32_u24 v2, v90, s11, v34
	s_waitcnt vmcnt(0)
	v_cvt_f16_f32_e32 v0, v0
	v_cvt_f16_f32_e32 v1, v1
	v_pack_b32_f16 v0, v0, v1
	v_pk_mul_f16 v0, v94, v0
	v_lshl_add_u32 v1, v2, 2, 0
	ds_write_b32 v1, v0
.LBB24_326:
	s_or_b64 exec, exec, s[4:5]
	v_add_u32_e32 v85, s10, v101
	v_cmp_le_i32_e32 vcc, s80, v85
	s_and_saveexec_b64 s[4:5], vcc
	s_xor_b64 s[4:5], exec, s[4:5]
	s_cbranch_execz .LBB24_328
; %bb.327:
	s_movk_i32 s11, 0x44
	v_mad_u32_u24 v0, v101, s11, v34
	v_lshl_add_u32 v0, v0, 2, 0
	v_mov_b32_e32 v1, 0
	ds_write_b32 v0, v1
                                        ; implicit-def: $vgpr101
.LBB24_328:
	s_andn2_saveexec_b64 s[4:5], s[4:5]
	s_cbranch_execz .LBB24_330
; %bb.329:
	v_mad_u64_u32 v[0:1], s[16:17], v85, s50, v[34:35]
	v_ashrrev_i32_e32 v1, 31, v0
	v_lshlrev_b64 v[0:1], 3, v[0:1]
	v_mov_b32_e32 v2, s7
	v_add_co_u32_e32 v0, vcc, s6, v0
	v_addc_co_u32_e32 v1, vcc, v2, v1, vcc
	global_load_dwordx2 v[0:1], v[0:1], off
	s_movk_i32 s11, 0x44
	v_mad_u32_u24 v2, v101, s11, v34
	s_waitcnt vmcnt(0)
	v_cvt_f16_f32_e32 v0, v0
	v_cvt_f16_f32_e32 v1, v1
	v_pack_b32_f16 v0, v0, v1
	v_pk_mul_f16 v0, v94, v0
	v_lshl_add_u32 v1, v2, 2, 0
	ds_write_b32 v1, v0
.LBB24_330:
	s_or_b64 exec, exec, s[4:5]
	v_add_u32_e32 v87, s10, v100
	v_cmp_le_i32_e32 vcc, s80, v87
	s_and_saveexec_b64 s[4:5], vcc
	s_xor_b64 s[4:5], exec, s[4:5]
	s_cbranch_execz .LBB24_332
; %bb.331:
	s_movk_i32 s11, 0x44
	v_mad_u32_u24 v0, v100, s11, v34
	v_lshl_add_u32 v0, v0, 2, 0
	v_mov_b32_e32 v1, 0
	ds_write_b32 v0, v1
                                        ; implicit-def: $vgpr100
.LBB24_332:
	s_andn2_saveexec_b64 s[4:5], s[4:5]
	s_cbranch_execz .LBB24_334
; %bb.333:
	v_mad_u64_u32 v[0:1], s[16:17], v87, s50, v[34:35]
	v_ashrrev_i32_e32 v1, 31, v0
	v_lshlrev_b64 v[0:1], 3, v[0:1]
	v_mov_b32_e32 v2, s7
	v_add_co_u32_e32 v0, vcc, s6, v0
	v_addc_co_u32_e32 v1, vcc, v2, v1, vcc
	global_load_dwordx2 v[0:1], v[0:1], off
	s_movk_i32 s11, 0x44
	v_mad_u32_u24 v2, v100, s11, v34
	s_waitcnt vmcnt(0)
	v_cvt_f16_f32_e32 v0, v0
	v_cvt_f16_f32_e32 v1, v1
	v_pack_b32_f16 v0, v0, v1
	v_pk_mul_f16 v0, v94, v0
	v_lshl_add_u32 v1, v2, 2, 0
	ds_write_b32 v1, v0
.LBB24_334:
	s_or_b64 exec, exec, s[4:5]
	v_add_u32_e32 v88, s10, v99
	v_cmp_le_i32_e32 vcc, s80, v88
	s_and_saveexec_b64 s[4:5], vcc
	s_xor_b64 s[4:5], exec, s[4:5]
	s_cbranch_execz .LBB24_336
; %bb.335:
	s_movk_i32 s11, 0x44
	v_mad_u32_u24 v0, v99, s11, v34
	v_lshl_add_u32 v0, v0, 2, 0
	v_mov_b32_e32 v1, 0
	ds_write_b32 v0, v1
                                        ; implicit-def: $vgpr99
.LBB24_336:
	s_andn2_saveexec_b64 s[4:5], s[4:5]
	s_cbranch_execz .LBB24_338
; %bb.337:
	v_mad_u64_u32 v[0:1], s[16:17], v88, s50, v[34:35]
	v_ashrrev_i32_e32 v1, 31, v0
	v_lshlrev_b64 v[0:1], 3, v[0:1]
	v_mov_b32_e32 v2, s7
	v_add_co_u32_e32 v0, vcc, s6, v0
	v_addc_co_u32_e32 v1, vcc, v2, v1, vcc
	global_load_dwordx2 v[0:1], v[0:1], off
	s_movk_i32 s11, 0x44
	v_mad_u32_u24 v2, v99, s11, v34
	s_waitcnt vmcnt(0)
	v_cvt_f16_f32_e32 v0, v0
	v_cvt_f16_f32_e32 v1, v1
	v_pack_b32_f16 v0, v0, v1
	v_pk_mul_f16 v0, v94, v0
	v_lshl_add_u32 v1, v2, 2, 0
	ds_write_b32 v1, v0
.LBB24_338:
	s_or_b64 exec, exec, s[4:5]
	v_add_u32_e32 v99, s10, v98
	v_cmp_le_i32_e32 vcc, s80, v99
	s_and_saveexec_b64 s[4:5], vcc
	s_xor_b64 s[4:5], exec, s[4:5]
	s_cbranch_execz .LBB24_340
; %bb.339:
	s_movk_i32 s11, 0x44
	v_mad_u32_u24 v0, v98, s11, v34
	v_lshl_add_u32 v0, v0, 2, 0
	v_mov_b32_e32 v1, 0
	ds_write_b32 v0, v1
                                        ; implicit-def: $vgpr98
.LBB24_340:
	s_andn2_saveexec_b64 s[4:5], s[4:5]
	s_cbranch_execz .LBB24_342
; %bb.341:
	v_mad_u64_u32 v[0:1], s[16:17], v99, s50, v[34:35]
	v_ashrrev_i32_e32 v1, 31, v0
	v_lshlrev_b64 v[0:1], 3, v[0:1]
	v_mov_b32_e32 v2, s7
	v_add_co_u32_e32 v0, vcc, s6, v0
	v_addc_co_u32_e32 v1, vcc, v2, v1, vcc
	global_load_dwordx2 v[0:1], v[0:1], off
	s_movk_i32 s11, 0x44
	v_mad_u32_u24 v2, v98, s11, v34
	s_waitcnt vmcnt(0)
	v_cvt_f16_f32_e32 v0, v0
	v_cvt_f16_f32_e32 v1, v1
	v_pack_b32_f16 v0, v0, v1
	v_pk_mul_f16 v0, v94, v0
	v_lshl_add_u32 v1, v2, 2, 0
	ds_write_b32 v1, v0
.LBB24_342:
	s_or_b64 exec, exec, s[4:5]
	v_add_u32_e32 v98, s10, v97
	v_cmp_le_i32_e32 vcc, s80, v98
	s_and_saveexec_b64 s[4:5], vcc
	s_xor_b64 s[4:5], exec, s[4:5]
	s_cbranch_execz .LBB24_344
; %bb.343:
	s_movk_i32 s11, 0x44
	v_mad_u32_u24 v0, v97, s11, v34
	v_lshl_add_u32 v0, v0, 2, 0
	v_mov_b32_e32 v1, 0
	ds_write_b32 v0, v1
                                        ; implicit-def: $vgpr97
.LBB24_344:
	s_andn2_saveexec_b64 s[4:5], s[4:5]
	s_cbranch_execz .LBB24_346
; %bb.345:
	v_mad_u64_u32 v[0:1], s[16:17], v98, s50, v[34:35]
	v_ashrrev_i32_e32 v1, 31, v0
	v_lshlrev_b64 v[0:1], 3, v[0:1]
	v_mov_b32_e32 v2, s7
	v_add_co_u32_e32 v0, vcc, s6, v0
	v_addc_co_u32_e32 v1, vcc, v2, v1, vcc
	global_load_dwordx2 v[0:1], v[0:1], off
	s_movk_i32 s11, 0x44
	v_mad_u32_u24 v2, v97, s11, v34
	s_waitcnt vmcnt(0)
	v_cvt_f16_f32_e32 v0, v0
	v_cvt_f16_f32_e32 v1, v1
	v_pack_b32_f16 v0, v0, v1
	v_pk_mul_f16 v0, v94, v0
	v_lshl_add_u32 v1, v2, 2, 0
	ds_write_b32 v1, v0
.LBB24_346:
	s_or_b64 exec, exec, s[4:5]
	v_add_u32_e32 v97, s10, v96
	v_cmp_le_i32_e32 vcc, s80, v97
	s_and_saveexec_b64 s[4:5], vcc
	s_xor_b64 s[4:5], exec, s[4:5]
	s_cbranch_execz .LBB24_348
; %bb.347:
	s_movk_i32 s11, 0x44
	v_mad_u32_u24 v0, v96, s11, v34
	v_lshl_add_u32 v0, v0, 2, 0
	v_mov_b32_e32 v1, 0
	ds_write_b32 v0, v1
                                        ; implicit-def: $vgpr96
.LBB24_348:
	s_andn2_saveexec_b64 s[4:5], s[4:5]
	s_cbranch_execz .LBB24_350
; %bb.349:
	v_mad_u64_u32 v[0:1], s[16:17], v97, s50, v[34:35]
	v_ashrrev_i32_e32 v1, 31, v0
	v_lshlrev_b64 v[0:1], 3, v[0:1]
	v_mov_b32_e32 v2, s7
	v_add_co_u32_e32 v0, vcc, s6, v0
	v_addc_co_u32_e32 v1, vcc, v2, v1, vcc
	global_load_dwordx2 v[0:1], v[0:1], off
	s_movk_i32 s11, 0x44
	v_mad_u32_u24 v2, v96, s11, v34
	s_waitcnt vmcnt(0)
	v_cvt_f16_f32_e32 v0, v0
	v_cvt_f16_f32_e32 v1, v1
	v_pack_b32_f16 v0, v0, v1
	v_pk_mul_f16 v0, v94, v0
	v_lshl_add_u32 v1, v2, 2, 0
	ds_write_b32 v1, v0
.LBB24_350:
	s_or_b64 exec, exec, s[4:5]
	v_add_u32_e32 v96, s10, v95
	v_cmp_le_i32_e32 vcc, s80, v96
	s_and_saveexec_b64 s[4:5], vcc
	s_xor_b64 s[4:5], exec, s[4:5]
	s_cbranch_execz .LBB24_352
; %bb.351:
	s_movk_i32 s10, 0x44
	v_mad_u32_u24 v0, v95, s10, v34
	v_lshl_add_u32 v0, v0, 2, 0
	v_mov_b32_e32 v1, 0
	ds_write_b32 v0, v1
                                        ; implicit-def: $vgpr94
                                        ; implicit-def: $vgpr95
.LBB24_352:
	s_andn2_saveexec_b64 s[4:5], s[4:5]
	s_cbranch_execz .LBB24_354
; %bb.353:
	v_mad_u64_u32 v[0:1], s[10:11], v96, s50, v[34:35]
	v_ashrrev_i32_e32 v1, 31, v0
	v_lshlrev_b64 v[0:1], 3, v[0:1]
	v_mov_b32_e32 v2, s7
	v_add_co_u32_e32 v0, vcc, s6, v0
	v_addc_co_u32_e32 v1, vcc, v2, v1, vcc
	global_load_dwordx2 v[0:1], v[0:1], off
	s_movk_i32 s6, 0x44
	v_mad_u32_u24 v2, v95, s6, v34
	s_waitcnt vmcnt(0)
	v_cvt_f16_f32_e32 v0, v0
	v_cvt_f16_f32_e32 v1, v1
	v_pack_b32_f16 v0, v0, v1
	v_pk_mul_f16 v0, v94, v0
	v_lshl_add_u32 v1, v2, 2, 0
	ds_write_b32 v1, v0
.LBB24_354:
	s_or_b64 exec, exec, s[4:5]
	v_readlane_b32 s6, v254, 13
	v_readlane_b32 s7, v254, 14
	s_mul_i32 s4, s12, s7
	s_mul_hi_u32 s5, s12, s6
	s_add_i32 s4, s5, s4
	s_mul_i32 s5, s14, s6
	v_readlane_b32 s16, v254, 19
	s_add_i32 s4, s4, s5
	s_mul_i32 s5, s12, s6
	v_readlane_b32 s19, v254, 22
	v_lshrrev_b32_e32 v1, 3, v34
	s_add_u32 s5, s68, s5
	s_mul_i32 s6, s13, s19
	v_and_b32_e32 v17, 0x1ff0, v92
	s_movk_i32 s30, 0x110
	v_and_b32_e32 v66, 15, v34
	v_and_b32_e32 v67, 0x7e, v1
	s_addc_u32 s4, s69, s4
	s_ashr_i32 s7, s6, 31
	v_mad_u32_u24 v0, v17, s30, 0
	v_mul_u32_u24_e32 v94, 0x110, v66
	v_lshlrev_b32_e32 v95, 2, v67
	v_readlane_b32 s17, v254, 20
	s_add_u32 s33, s5, s6
	v_add3_u32 v0, v0, v94, v95
	s_addc_u32 s44, s4, s7
	s_mul_i32 s4, s12, s17
	s_mul_hi_u32 s5, s12, s16
	s_waitcnt lgkmcnt(0)
	s_barrier
	ds_read2_b64 v[12:15], v0 offset1:4
	ds_read2_b64 v[8:11], v0 offset0:8 offset1:12
	ds_read2_b64 v[4:7], v0 offset0:16 offset1:20
	;; [unrolled: 1-line block ×3, first 2 shown]
	s_add_i32 s4, s5, s4
	s_mul_i32 s14, s14, s16
	v_readlane_b32 s6, v254, 17
	s_add_i32 s4, s4, s14
	s_mul_i32 s12, s12, s16
	v_readlane_b32 s7, v254, 18
	s_add_u32 s5, s66, s12
	s_mul_i32 s13, s13, s7
	s_addc_u32 s4, s67, s4
	s_ashr_i32 s6, s13, 31
	v_add_u32_e32 v102, -1, v16
	s_add_u32 s45, s5, s13
	v_cmp_ge_i32_e32 vcc, s48, v102
	s_addc_u32 s46, s4, s6
	s_mov_b32 s47, 0
	s_and_b64 vcc, exec, vcc
	v_mov_b32_e32 v82, 0
	v_or_b32_e32 v89, v17, v66
	v_lshlrev_b32_e32 v101, 1, v34
	v_mbcnt_lo_u32_b32 v71, -1, 0
	v_lshrrev_b32_e32 v100, 4, v34
	v_lshlrev_b32_e32 v35, 2, v34
	v_lshrrev_b32_e32 v70, 2, v34
	v_and_b32_e32 v69, 8, v92
	v_lshlrev_b32_e32 v68, 1, v66
	v_readlane_b32 s18, v254, 21
	s_waitcnt lgkmcnt(0)
	s_barrier
	s_cbranch_vccnz .LBB24_367
; %bb.355:
	v_mul_hi_u32 v25, s94, v99
	v_add_u32_e32 v25, v99, v25
	v_lshrrev_b32_e32 v25, s95, v25
	v_mul_lo_u32 v25, v25, s80
	v_sub_u32_e32 v25, v99, v25
	v_mad_i64_i32 v[38:39], s[6:7], v25, s84, 0
	v_mul_hi_u32 v25, s94, v98
	v_add_u32_e32 v25, v98, v25
	v_lshrrev_b32_e32 v25, s95, v25
	v_mul_lo_u32 v25, v25, s80
	v_sub_u32_e32 v25, v98, v25
	v_mad_i64_i32 v[40:41], s[6:7], v25, s84, 0
	;; [unrolled: 6-line block ×4, first 2 shown]
	v_mbcnt_hi_u32_b32 v25, -1, v71
	v_mov_b32_e32 v16, s9
	v_add_co_u32_e32 v104, vcc, s8, v101
	v_and_b32_e32 v26, 64, v25
	v_addc_co_u32_e32 v105, vcc, 0, v16, vcc
	v_add_u32_e32 v26, 64, v26
	v_xor_b32_e32 v27, 32, v25
	v_cmp_lt_i32_e32 vcc, v27, v26
	v_cndmask_b32_e32 v27, v25, v27, vcc
	v_lshlrev_b32_e32 v114, 2, v27
	v_xor_b32_e32 v27, 16, v25
	v_mul_u32_u24_e32 v18, 0x90, v90
	v_cmp_lt_i32_e32 vcc, v27, v26
	v_mul_hi_u32 v16, s94, v84
	v_add3_u32 v106, 0, v18, v101
	v_mul_hi_u32 v18, s94, v85
	v_mul_hi_u32 v20, s94, v87
	;; [unrolled: 1-line block ×3, first 2 shown]
	v_cndmask_b32_e32 v25, v25, v27, vcc
	v_add_u32_e32 v16, v84, v16
	v_add_u32_e32 v18, v85, v18
	;; [unrolled: 1-line block ×4, first 2 shown]
	v_lshlrev_b32_e32 v115, 2, v25
	v_lshl_add_u32 v25, v90, 2, v100
	v_and_b32_e32 v48, 60, v35
	s_cmp_lg_u64 s[8:9], 0
	v_lshrrev_b32_e32 v16, s95, v16
	v_lshrrev_b32_e32 v18, s95, v18
	;; [unrolled: 1-line block ×4, first 2 shown]
	v_mul_u32_u24_e32 v26, 0x110, v25
	v_lshlrev_b32_e32 v27, 2, v48
	s_cselect_b64 s[36:37], -1, 0
	v_mul_lo_u32 v16, v16, s80
	v_mul_lo_u32 v18, v18, s80
	;; [unrolled: 1-line block ×4, first 2 shown]
	v_add3_u32 v116, 0, v26, v27
	v_and_b32_e32 v26, 16, v91
	v_and_b32_e32 v27, 0xfc, v70
	v_mul_lo_u32 v56, s62, v25
	s_lshl_b32 s40, s62, 4
	v_sub_u32_e32 v16, v84, v16
	s_movk_i32 s14, 0x90
	v_sub_u32_e32 v18, v85, v18
	v_sub_u32_e32 v20, v87, v20
	;; [unrolled: 1-line block ×3, first 2 shown]
	v_mul_lo_u32 v46, s82, v25
	s_lshl_b32 s15, s82, 4
	v_mul_u32_u24_e32 v65, 0x110, v26
	v_add_u32_e32 v28, v26, v27
	v_add_u16_e32 v26, v26, v27
	v_add_u32_e32 v58, s40, v56
	v_mad_i64_i32 v[16:17], s[6:7], v16, s84, 0
	v_mad_i64_i32 v[18:19], s[6:7], v18, s84, 0
	;; [unrolled: 1-line block ×4, first 2 shown]
	v_add_u32_e32 v50, s15, v46
	v_mad_u32_u24 v29, v89, s14, 0
	v_lshrrev_b16_e32 v26, 1, v26
	v_add_u32_e32 v60, s40, v58
	v_cmp_gt_u32_e64 s[6:7], 64, v25
	v_cmp_gt_u32_e64 s[34:35], 48, v25
	v_cmp_gt_u32_e64 s[10:11], 32, v25
	v_add_u32_e32 v52, s15, v50
	v_cmp_gt_u32_e64 s[12:13], 16, v25
	v_lshl_add_u32 v72, v26, 2, v29
	v_lshl_add_u32 v26, v28, 1, v29
	v_add_u32_e32 v62, s40, v60
	v_mul_u32_u24_e32 v25, 0x88, v27
	s_movk_i32 s40, 0x220
	v_add_u32_e32 v54, s15, v52
	v_add_u32_e32 v120, 64, v26
	;; [unrolled: 1-line block ×3, first 2 shown]
	v_cmp_gt_u32_e64 s[14:15], 64, v28
	v_cmp_gt_u32_e64 s[16:17], 63, v28
	;; [unrolled: 1-line block ×8, first 2 shown]
	v_or_b32_e32 v25, v25, v66
	v_mul_u32_u24_e32 v26, 0x110, v27
	v_or_b32_e32 v28, 3, v70
	v_mul_u32_u24_e32 v29, 0x220, v69
	v_mad_u32_u24 v30, v69, s40, 0
	v_mul_u32_u24_e32 v28, 0x110, v28
	v_lshlrev_b32_e32 v25, 1, v25
	v_add3_u32 v123, v30, v26, v68
	v_add3_u32 v26, 0, 32, v29
	v_add_u32_e32 v122, v30, v25
	v_add3_u32 v124, v30, v28, v68
	v_add_u32_e32 v127, v26, v25
	v_mad_u32_u24 v30, v27, s30, v26
	v_add3_u32 v130, v26, v28, v68
	v_add3_u32 v26, 0, 64, v29
	s_add_i32 s41, 0, 0x60
	v_add_u32_e32 v132, v26, v25
	v_mad_u32_u24 v29, v27, s30, v26
	v_add3_u32 v135, v26, v28, v68
	v_mov_b32_e32 v26, s41
	s_movk_i32 s31, 0x2200
	v_mad_u32_u24 v26, v69, s40, v26
	s_add_i32 s41, 0, 0x80
	v_add3_u32 v133, v29, v68, s31
	v_add_u32_e32 v137, v26, v25
	v_mad_u32_u24 v29, v27, s30, v26
	v_add3_u32 v140, v26, v28, v68
	v_mov_b32_e32 v26, s41
	v_mad_u32_u24 v26, v69, s40, v26
	s_add_i32 s41, 0, 0xa0
	v_add3_u32 v138, v29, v68, s31
	v_add_u32_e32 v142, v26, v25
	v_mad_u32_u24 v29, v27, s30, v26
	v_add3_u32 v145, v26, v28, v68
	v_mov_b32_e32 v26, s41
	;; [unrolled: 7-line block ×4, first 2 shown]
	v_mad_u32_u24 v26, v69, s40, v26
	s_mov_b64 s[38:39], src_private_base
	v_ashrrev_i32_e32 v47, 31, v46
	v_ashrrev_i32_e32 v51, 31, v50
	;; [unrolled: 1-line block ×4, first 2 shown]
	v_add3_u32 v64, 0, v94, v95
	v_ashrrev_i32_e32 v57, 31, v56
	v_ashrrev_i32_e32 v59, 31, v58
	;; [unrolled: 1-line block ×4, first 2 shown]
	v_add_u32_e32 v157, v26, v25
	v_mad_u32_u24 v25, v27, s30, v26
	v_cmp_lt_u32_e64 s[4:5], 63, v34
	v_mov_b32_e32 v103, 0
	v_add_u32_e32 v107, 0x240, v106
	v_add_u32_e32 v108, 0x480, v106
	;; [unrolled: 1-line block ×7, first 2 shown]
	s_mov_b32 s38, 0
	v_add_u32_e32 v117, 0x1100, v116
	v_add_u32_e32 v118, 0x2200, v116
	;; [unrolled: 1-line block ×5, first 2 shown]
	v_add3_u32 v128, v30, v68, s31
	v_add_u32_e32 v129, 0x2200, v127
	v_add_u32_e32 v131, 64, v123
	;; [unrolled: 1-line block ×10, first 2 shown]
	v_add3_u32 v153, v29, v68, s31
	v_add_u32_e32 v154, 0x2200, v152
	v_add_u32_e32 v156, 0xe0, v123
	v_add3_u32 v158, v25, v68, s31
	v_add_u32_e32 v159, 0x2200, v157
	v_add3_u32 v160, v26, v28, v68
	v_mov_b32_e32 v26, v24
	v_mov_b32_e32 v27, v24
	s_lshl_b32 s40, s48, 6
	v_mov_b32_e32 v81, 0xfeffffff
	v_lshlrev_b64 v[28:29], 1, v[16:17]
	v_lshlrev_b64 v[30:31], 1, v[18:19]
	v_lshlrev_b64 v[32:33], 1, v[20:21]
	v_lshlrev_b64 v[36:37], 1, v[22:23]
	v_lshlrev_b64 v[38:39], 1, v[38:39]
	v_lshlrev_b64 v[40:41], 1, v[40:41]
	v_lshlrev_b64 v[42:43], 1, v[42:43]
	v_lshlrev_b64 v[44:45], 1, v[44:45]
	v_lshlrev_b64 v[46:47], 2, v[46:47]
	v_lshlrev_b32_e32 v161, 2, v48
	v_lshlrev_b64 v[48:49], 2, v[50:51]
	v_lshlrev_b64 v[50:51], 2, v[52:53]
	;; [unrolled: 1-line block ×3, first 2 shown]
	v_add_u32_e32 v162, v64, v65
	v_add_u32_e32 v163, 0x4400, v72
	s_mov_b32 s49, 0x3fb8aa3b
	s_mov_b32 s50, 0xc2ce8ed0
	;; [unrolled: 1-line block ×4, first 2 shown]
	v_lshlrev_b64 v[54:55], 2, v[56:57]
	v_lshlrev_b64 v[56:57], 2, v[58:59]
	;; [unrolled: 1-line block ×4, first 2 shown]
	s_mov_b32 s53, 0x5040100
	v_mov_b32_e32 v164, 0x7f800000
	v_mov_b32_e32 v165, 0
	;; [unrolled: 1-line block ×18, first 2 shown]
.LBB24_356:                             ; =>This Inner Loop Header: Depth=1
	v_cndmask_b32_e64 v16, 0, 1, s[36:37]
	v_cmp_ne_u32_e64 s[30:31], 1, v16
	s_andn2_b64 vcc, exec, s[36:37]
	s_ashr_i32 s41, s40, 31
	s_cbranch_vccnz .LBB24_362
; %bb.357:                              ;   in Loop: Header=BB24_356 Depth=1
                                        ; implicit-def: $sgpr54
	s_and_saveexec_b64 s[42:43], s[4:5]
	s_xor_b64 s[42:43], exec, s[42:43]
	s_cbranch_execz .LBB24_359
; %bb.358:                              ;   in Loop: Header=BB24_356 Depth=1
	ds_write_b16 v106, v103 offset:17408
	ds_write_b16 v107, v103 offset:17408
	;; [unrolled: 1-line block ×4, first 2 shown]
	s_mov_b32 s54, 0
.LBB24_359:                             ;   in Loop: Header=BB24_356 Depth=1
	s_or_saveexec_b64 s[42:43], s[42:43]
	v_mov_b32_e32 v16, s54
	v_mov_b32_e32 v17, s54
	;; [unrolled: 1-line block ×4, first 2 shown]
	s_xor_b64 exec, exec, s[42:43]
	s_cbranch_execz .LBB24_361
; %bb.360:                              ;   in Loop: Header=BB24_356 Depth=1
	s_lshl_b64 s[54:55], s[40:41], 1
	v_mov_b32_e32 v16, s55
	v_add_co_u32_e32 v25, vcc, s54, v104
	v_addc_co_u32_e32 v166, vcc, v105, v16, vcc
	v_add_co_u32_e32 v16, vcc, v25, v28
	v_addc_co_u32_e32 v17, vcc, v166, v29, vcc
	;; [unrolled: 2-line block ×5, first 2 shown]
	flat_load_ushort v167, v[16:17]
	flat_load_ushort v168, v[18:19]
	;; [unrolled: 1-line block ×4, first 2 shown]
	v_add_co_u32_e32 v16, vcc, v25, v38
	v_addc_co_u32_e32 v17, vcc, v166, v39, vcc
	v_add_co_u32_e32 v18, vcc, v25, v40
	v_addc_co_u32_e32 v19, vcc, v166, v41, vcc
	;; [unrolled: 2-line block ×4, first 2 shown]
	s_waitcnt vmcnt(0) lgkmcnt(0)
	ds_write_b16 v106, v167 offset:17408
	ds_write_b16 v107, v168 offset:17408
	;; [unrolled: 1-line block ×4, first 2 shown]
	flat_load_ushort v16, v[16:17]
	s_nop 0
	flat_load_ushort v17, v[18:19]
	s_nop 0
	flat_load_ushort v18, v[20:21]
	flat_load_ushort v19, v[22:23]
.LBB24_361:                             ;   in Loop: Header=BB24_356 Depth=1
	s_or_b64 exec, exec, s[42:43]
	s_waitcnt vmcnt(0) lgkmcnt(0)
	ds_write_b16 v110, v16 offset:17408
	ds_write_b16 v111, v17 offset:17408
	;; [unrolled: 1-line block ×4, first 2 shown]
.LBB24_362:                             ;   in Loop: Header=BB24_356 Depth=1
	s_mul_hi_i32 s43, s40, s82
	s_mul_i32 s42, s40, s82
	s_lshl_b64 s[42:43], s[42:43], 2
	s_add_u32 s41, s45, s42
	s_addc_u32 s42, s46, s43
	v_mov_b32_e32 v16, s42
	v_add_co_u32_e32 v17, vcc, s41, v46
	v_addc_co_u32_e32 v16, vcc, v16, v47, vcc
	v_add_co_u32_e32 v18, vcc, v17, v161
	v_addc_co_u32_e32 v16, vcc, 0, v16, vcc
	v_mov_b32_e32 v22, s39
	v_mov_b32_e32 v23, s38
	buffer_store_dword v103, off, s[0:3], 0
	buffer_store_dword v103, off, s[0:3], 0 offset:4
	buffer_store_dword v103, off, s[0:3], 0 offset:8
	;; [unrolled: 1-line block ×3, first 2 shown]
	v_cndmask_b32_e64 v17, v22, v16, s[6:7]
	v_cndmask_b32_e64 v16, v23, v18, s[6:7]
	flat_load_dwordx4 v[16:19], v[16:17]
	v_mov_b32_e32 v20, s42
	v_add_co_u32_e32 v21, vcc, s41, v48
	v_addc_co_u32_e32 v20, vcc, v20, v49, vcc
	v_add_co_u32_e32 v21, vcc, v21, v161
	v_addc_co_u32_e32 v25, vcc, 0, v20, vcc
	v_cndmask_b32_e64 v20, v23, v21, s[34:35]
	v_cndmask_b32_e64 v21, v22, v25, s[34:35]
	s_waitcnt vmcnt(0) lgkmcnt(0)
	ds_write_b128 v116, v[16:19]
	flat_load_dwordx4 v[16:19], v[20:21]
	v_mov_b32_e32 v20, s42
	v_add_co_u32_e32 v21, vcc, s41, v50
	v_addc_co_u32_e32 v20, vcc, v20, v51, vcc
	v_add_co_u32_e32 v21, vcc, v21, v161
	v_addc_co_u32_e32 v25, vcc, 0, v20, vcc
	v_cndmask_b32_e64 v20, v23, v21, s[10:11]
	v_cndmask_b32_e64 v21, v22, v25, s[10:11]
	s_waitcnt vmcnt(0) lgkmcnt(0)
	ds_write_b128 v117, v[16:19]
	flat_load_dwordx4 v[16:19], v[20:21]
	v_mov_b32_e32 v20, s42
	v_add_co_u32_e32 v21, vcc, s41, v52
	v_addc_co_u32_e32 v20, vcc, v20, v53, vcc
	v_add_co_u32_e32 v21, vcc, v21, v161
	v_addc_co_u32_e32 v25, vcc, 0, v20, vcc
	v_cndmask_b32_e64 v20, v23, v21, s[12:13]
	v_cndmask_b32_e64 v21, v22, v25, s[12:13]
	v_add_u32_e32 v25, 0x2000, v162
	s_and_b64 vcc, exec, s[30:31]
	s_waitcnt vmcnt(0) lgkmcnt(0)
	ds_write_b128 v118, v[16:19]
	flat_load_dwordx4 v[16:19], v[20:21]
	s_waitcnt vmcnt(0) lgkmcnt(0)
	ds_write_b128 v119, v[16:19]
	s_waitcnt lgkmcnt(0)
	s_barrier
	ds_read2_b64 v[16:19], v162 offset1:4
	ds_read2_b64 v[166:169], v25 offset0:64 offset1:68
	s_waitcnt lgkmcnt(1)
	v_mfma_f32_16x16x16f16 v[20:23], v[16:17], v[12:13], 0
	s_waitcnt lgkmcnt(0)
	v_mfma_f32_16x16x16f16 v[170:173], v[166:167], v[12:13], 0
	v_mfma_f32_16x16x16f16 v[16:19], v[18:19], v[14:15], v[20:23]
	;; [unrolled: 1-line block ×3, first 2 shown]
	ds_read2_b64 v[166:169], v162 offset0:8 offset1:12
	s_nop 7
	ds_read2_b64 v[170:173], v25 offset0:72 offset1:76
	s_waitcnt lgkmcnt(1)
	v_mfma_f32_16x16x16f16 v[16:19], v[166:167], v[8:9], v[16:19]
	s_waitcnt lgkmcnt(0)
	v_mfma_f32_16x16x16f16 v[20:23], v[170:171], v[8:9], v[20:23]
	v_mfma_f32_16x16x16f16 v[16:19], v[168:169], v[10:11], v[16:19]
	ds_read2_b64 v[166:169], v162 offset0:16 offset1:20
	v_mfma_f32_16x16x16f16 v[20:23], v[172:173], v[10:11], v[20:23]
	ds_read2_b64 v[170:173], v25 offset0:80 offset1:84
	s_waitcnt lgkmcnt(1)
	v_mfma_f32_16x16x16f16 v[16:19], v[166:167], v[4:5], v[16:19]
	s_waitcnt lgkmcnt(0)
	v_mfma_f32_16x16x16f16 v[20:23], v[170:171], v[4:5], v[20:23]
	v_mfma_f32_16x16x16f16 v[16:19], v[168:169], v[6:7], v[16:19]
	ds_read2_b64 v[166:169], v162 offset0:24 offset1:28
	v_mfma_f32_16x16x16f16 v[20:23], v[172:173], v[6:7], v[20:23]
	ds_read2_b64 v[170:173], v25 offset0:88 offset1:92
	s_waitcnt lgkmcnt(0)
	s_barrier
	v_mfma_f32_16x16x16f16 v[16:19], v[166:167], v[0:1], v[16:19]
	v_mfma_f32_16x16x16f16 v[174:177], v[170:171], v[0:1], v[20:23]
	;; [unrolled: 1-line block ×4, first 2 shown]
	s_cbranch_vccnz .LBB24_364
; %bb.363:                              ;   in Loop: Header=BB24_356 Depth=1
	ds_read2_b32 v[166:167], v163 offset1:1
	ds_read_b32 v170, v120 offset:17408
	ds_read_b32 v172, v121 offset:17408
	v_mov_b32_e32 v25, v24
	s_waitcnt lgkmcnt(2)
	v_cvt_f32_f16_e32 v168, v166
	v_cvt_f32_f16_sdwa v169, v166 dst_sel:DWORD dst_unused:UNUSED_PAD src0_sel:WORD_1
	v_cvt_f32_f16_e32 v166, v167
	v_cvt_f32_f16_sdwa v167, v167 dst_sel:DWORD dst_unused:UNUSED_PAD src0_sel:WORD_1
	s_waitcnt lgkmcnt(1)
	v_cvt_f32_f16_sdwa v171, v170 dst_sel:DWORD dst_unused:UNUSED_PAD src0_sel:WORD_1
	s_waitcnt lgkmcnt(0)
	v_cvt_f32_f16_sdwa v173, v172 dst_sel:DWORD dst_unused:UNUSED_PAD src0_sel:WORD_1
	v_cvt_f32_f16_e32 v172, v172
	v_cvt_f32_f16_e32 v170, v170
	v_pk_fma_f32 v[22:23], v[24:25], v[166:167], v[22:23]
	v_pk_fma_f32 v[20:21], v[26:27], v[168:169], v[20:21]
	v_pk_fma_f32 v[18:19], v[24:25], v[172:173], v[18:19]
	v_pk_fma_f32 v[16:17], v[26:27], v[170:171], v[16:17]
.LBB24_364:                             ;   in Loop: Header=BB24_356 Depth=1
	s_mul_hi_i32 s31, s40, s62
	s_mul_i32 s30, s40, s62
	s_lshl_b64 s[30:31], s[30:31], 2
	s_add_u32 s30, s33, s30
	s_addc_u32 s31, s44, s31
	v_mov_b32_e32 v25, s31
	v_add_co_u32_e32 v166, vcc, s30, v54
	v_addc_co_u32_e32 v25, vcc, v25, v55, vcc
	v_add_co_u32_e32 v166, vcc, v166, v161
	v_addc_co_u32_e32 v25, vcc, 0, v25, vcc
	v_mov_b32_e32 v175, s39
	v_mov_b32_e32 v174, s38
	v_cndmask_b32_e64 v167, v175, v25, s[6:7]
	v_cndmask_b32_e64 v166, v174, v166, s[6:7]
	buffer_store_dword v103, off, s[0:3], 0
	buffer_store_dword v103, off, s[0:3], 0 offset:4
	buffer_store_dword v103, off, s[0:3], 0 offset:8
	;; [unrolled: 1-line block ×3, first 2 shown]
	flat_load_dwordx4 v[166:169], v[166:167]
	v_add_f32_e32 v172, 0x40051340, v20
	v_max_f32_e32 v173, v81, v81
	v_max_f32_e32 v25, v173, v172
	v_mov_b32_e32 v172, s31
	v_add_co_u32_e32 v173, vcc, s30, v56
	v_addc_co_u32_e32 v172, vcc, v172, v57, vcc
	v_add_co_u32_e32 v173, vcc, v173, v161
	v_addc_co_u32_e32 v188, vcc, 0, v172, vcc
	v_cndmask_b32_e64 v172, v174, v173, s[34:35]
	v_cndmask_b32_e64 v173, v175, v188, s[34:35]
	;; [unrolled: 1-line block ×3, first 2 shown]
	v_add_f32_e32 v176, 0x40051340, v21
	v_add_f32_e32 v177, 0x40051340, v22
	;; [unrolled: 1-line block ×7, first 2 shown]
	v_cndmask_b32_e64 v184, v22, v22, s[16:17]
	v_cndmask_b32_e64 v183, v23, v23, s[16:17]
	;; [unrolled: 1-line block ×5, first 2 shown]
	v_mov_b32_e32 v171, s47
	v_mov_b32_e32 v23, s47
	;; [unrolled: 1-line block ×7, first 2 shown]
	s_add_i32 s48, s48, 1
	s_add_i32 s40, s40, 64
	s_waitcnt vmcnt(0) lgkmcnt(0)
	ds_write_b128 v116, v[166:169]
	flat_load_dwordx4 v[166:169], v[172:173]
	v_max_f32_e32 v172, v25, v25
	v_max_f32_e32 v172, v172, v176
	v_mov_b32_e32 v173, s31
	v_cndmask_b32_e64 v25, v25, v172, s[16:17]
	v_add_co_u32_e32 v172, vcc, s30, v58
	v_addc_co_u32_e32 v173, vcc, v173, v59, vcc
	v_mov_b32_e32 v176, s31
	v_add_co_u32_e32 v188, vcc, s30, v60
	v_addc_co_u32_e32 v176, vcc, v176, v61, vcc
	v_add_co_u32_e32 v172, vcc, v172, v161
	v_addc_co_u32_e32 v173, vcc, 0, v173, vcc
	v_cndmask_b32_e64 v172, v174, v172, s[10:11]
	v_cndmask_b32_e64 v173, v175, v173, s[10:11]
	v_max_f32_e32 v189, v25, v25
	v_max_f32_e32 v177, v189, v177
	v_cndmask_b32_e64 v25, v25, v177, s[18:19]
	v_max_f32_e32 v177, v25, v25
	v_max_f32_e32 v177, v177, v178
	v_add_co_u32_e32 v178, vcc, v188, v161
	v_addc_co_u32_e32 v176, vcc, 0, v176, vcc
	v_cndmask_b32_e64 v174, v174, v178, s[12:13]
	v_cndmask_b32_e64 v175, v175, v176, s[12:13]
	;; [unrolled: 1-line block ×3, first 2 shown]
	v_max_f32_e32 v177, v25, v25
	v_max_f32_e32 v177, v177, v179
	v_cndmask_b32_e64 v25, v25, v177, s[22:23]
	v_max_f32_e32 v177, v25, v25
	v_max_f32_e32 v177, v177, v180
	v_cndmask_b32_e64 v25, v25, v177, s[24:25]
	;; [unrolled: 3-line block ×4, first 2 shown]
	ds_bpermute_b32 v177, v114, v25
	v_max_f32_e32 v25, v25, v25
	s_waitcnt lgkmcnt(0)
	v_max_f32_e32 v177, v177, v177
	v_max_f32_e32 v25, v25, v177
	ds_bpermute_b32 v177, v115, v25
	s_waitcnt lgkmcnt(0)
	v_max_f32_e32 v176, v177, v177
	v_max_f32_e32 v25, v25, v176
	v_sub_f32_e32 v20, v20, v25
	v_sub_f32_e32 v21, v21, v25
	v_mul_f32_e32 v181, 0x3fb8aa3b, v20
	v_sub_f32_e32 v176, v184, v25
	v_mul_f32_e32 v182, 0x3fb8aa3b, v21
	v_fma_f32 v190, v20, s49, -v181
	v_rndne_f32_e32 v191, v181
	v_sub_f32_e32 v177, v183, v25
	v_mul_f32_e32 v183, 0x3fb8aa3b, v176
	v_fma_f32 v192, v21, s49, -v182
	v_rndne_f32_e32 v193, v182
	v_fmac_f32_e32 v190, 0x32a5705f, v20
	v_sub_f32_e32 v181, v181, v191
	v_sub_f32_e32 v16, v16, v25
	v_mul_f32_e32 v184, 0x3fb8aa3b, v177
	v_fma_f32 v194, v176, s49, -v183
	v_rndne_f32_e32 v195, v183
	v_fmac_f32_e32 v192, 0x32a5705f, v21
	v_sub_f32_e32 v182, v182, v193
	v_add_f32_e32 v181, v181, v190
	v_sub_f32_e32 v178, v187, v25
	v_sub_f32_e32 v180, v185, v25
	s_waitcnt vmcnt(0)
	ds_write_b128 v117, v[166:169]
	flat_load_dwordx4 v[166:169], v[172:173]
	v_mul_f32_e32 v185, 0x3fb8aa3b, v16
	v_fma_f32 v196, v177, s49, -v184
	v_rndne_f32_e32 v197, v184
	v_cvt_i32_f32_e32 v191, v191
	v_fmac_f32_e32 v194, 0x32a5705f, v176
	v_sub_f32_e32 v183, v183, v195
	v_add_f32_e32 v182, v182, v192
	v_exp_f32_e32 v181, v181
	v_sub_f32_e32 v179, v186, v25
	v_mul_f32_e32 v186, 0x3fb8aa3b, v178
	v_fma_f32 v198, v16, s49, -v185
	v_rndne_f32_e32 v199, v185
	v_cvt_i32_f32_e32 v193, v193
	v_fmac_f32_e32 v196, 0x32a5705f, v177
	v_sub_f32_e32 v184, v184, v197
	v_add_f32_e32 v183, v183, v194
	v_exp_f32_e32 v182, v182
	v_mul_f32_e32 v187, 0x3fb8aa3b, v179
	v_fma_f32 v200, v178, s49, -v186
	v_rndne_f32_e32 v172, v186
	v_cvt_i32_f32_e32 v195, v195
	v_fmac_f32_e32 v198, 0x32a5705f, v16
	v_sub_f32_e32 v185, v185, v199
	v_add_f32_e32 v184, v184, v196
	v_exp_f32_e32 v183, v183
	v_sub_f32_e32 v81, v81, v25
	v_mul_f32_e32 v188, 0x3fb8aa3b, v180
	v_fma_f32 v173, v179, s49, -v187
	v_rndne_f32_e32 v201, v187
	v_cvt_i32_f32_e32 v197, v197
	v_fmac_f32_e32 v200, 0x32a5705f, v178
	v_sub_f32_e32 v186, v186, v172
	v_add_f32_e32 v185, v185, v198
	v_exp_f32_e32 v184, v184
	v_mul_f32_e32 v189, 0x3fb8aa3b, v81
	v_fma_f32 v202, v180, s49, -v188
	v_rndne_f32_e32 v203, v188
	v_cvt_i32_f32_e32 v199, v199
	v_fmac_f32_e32 v173, 0x32a5705f, v179
	v_sub_f32_e32 v187, v187, v201
	v_add_f32_e32 v186, v186, v200
	v_exp_f32_e32 v185, v185
	v_ldexp_f32 v181, v181, v191
	v_cmp_ngt_f32_e32 vcc, s50, v20
	v_fma_f32 v204, v81, s49, -v189
	v_rndne_f32_e32 v205, v189
	v_cvt_i32_f32_e32 v172, v172
	v_fmac_f32_e32 v202, 0x32a5705f, v180
	v_sub_f32_e32 v188, v188, v203
	v_add_f32_e32 v173, v187, v173
	v_exp_f32_e32 v186, v186
	v_ldexp_f32 v182, v182, v193
	v_cndmask_b32_e32 v181, 0, v181, vcc
	v_cmp_ngt_f32_e32 vcc, s50, v21
	v_cvt_i32_f32_e32 v201, v201
	v_fmac_f32_e32 v204, 0x32a5705f, v81
	v_sub_f32_e32 v189, v189, v205
	v_add_f32_e32 v187, v188, v202
	v_exp_f32_e32 v173, v173
	v_ldexp_f32 v183, v183, v195
	v_cndmask_b32_e32 v182, 0, v182, vcc
	v_cmp_ngt_f32_e32 vcc, s50, v176
	v_cvt_i32_f32_e32 v203, v203
	v_add_f32_e32 v188, v189, v204
	v_exp_f32_e32 v187, v187
	v_ldexp_f32 v184, v184, v197
	v_cndmask_b32_e32 v183, 0, v183, vcc
	v_cmp_ngt_f32_e32 vcc, s50, v177
	v_cvt_i32_f32_e32 v205, v205
	v_exp_f32_e32 v188, v188
	v_ldexp_f32 v185, v185, v199
	v_cndmask_b32_e32 v184, 0, v184, vcc
	v_cmp_ngt_f32_e32 vcc, s50, v16
	v_ldexp_f32 v172, v186, v172
	v_cndmask_b32_e32 v185, 0, v185, vcc
	v_cmp_ngt_f32_e32 vcc, s50, v178
	;; [unrolled: 3-line block ×3, first 2 shown]
	s_waitcnt vmcnt(0) lgkmcnt(0)
	ds_write_b128 v118, v[166:169]
	flat_load_dwordx4 v[166:169], v[174:175]
	v_ldexp_f32 v186, v187, v203
	v_cndmask_b32_e32 v173, 0, v173, vcc
	v_cmp_ngt_f32_e32 vcc, s50, v180
	v_ldexp_f32 v187, v188, v205
	v_cndmask_b32_e32 v186, 0, v186, vcc
	v_cmp_ngt_f32_e32 vcc, s50, v81
	v_cndmask_b32_e32 v187, 0, v187, vcc
	v_cmp_nlt_f32_e32 vcc, s51, v20
	v_cndmask_b32_e32 v20, v164, v181, vcc
	v_cmp_nlt_f32_e32 vcc, s51, v21
	;; [unrolled: 2-line block ×9, first 2 shown]
	v_cndmask_b32_e32 v178, v164, v187, vcc
	v_cndmask_b32_e64 v16, 0, v20, s[14:15]
	v_cmp_le_f32_e32 vcc, s52, v81
	v_cndmask_b32_e64 v20, v171, v21, s[16:17]
	v_cndmask_b32_e32 v171, 0, v178, vcc
	v_add_f32_e32 v21, v21, v16
	v_cvt_f16_f32_e32 v81, v171
	v_cvt_f16_f32_e32 v178, v16
	v_cndmask_b32_e64 v16, v16, v21, s[16:17]
	v_add_f32_e32 v21, v16, v174
	v_cndmask_b32_e64 v16, v16, v21, s[18:19]
	v_add_f32_e32 v21, v16, v175
	v_cndmask_b32_e64 v23, v23, v175, s[20:21]
	v_pk_mul_f16 v175, v81, v72 op_sel_hi:[0,1]
	v_cndmask_b32_e64 v72, v16, v21, s[20:21]
	v_cndmask_b32_e64 v22, v22, v174, s[18:19]
	v_pk_mul_f16 v174, v81, v73 op_sel_hi:[0,1]
	v_add_f32_e32 v73, v176, v72
	v_cndmask_b32_e64 v72, v72, v73, s[22:23]
	v_cndmask_b32_e64 v170, v170, v176, s[22:23]
	;; [unrolled: 1-line block ×5, first 2 shown]
	v_add_f32_e32 v73, v172, v72
	v_cvt_f16_f32_e32 v20, v20
	v_cvt_f16_f32_e32 v22, v22
	;; [unrolled: 1-line block ×7, first 2 shown]
	v_cndmask_b32_e64 v72, v72, v73, s[24:25]
	v_add_f32_e32 v73, v173, v72
	v_cndmask_b32_e64 v72, v72, v73, s[26:27]
	v_pk_mul_f16 v83, v81, v83 op_sel_hi:[0,1]
	v_pk_mul_f16 v82, v81, v82 op_sel_hi:[0,1]
	;; [unrolled: 1-line block ×4, first 2 shown]
	v_add_f32_e32 v73, v177, v72
	v_pk_mul_f16 v80, v81, v80 op_sel_hi:[0,1]
	v_pk_mul_f16 v79, v81, v79 op_sel_hi:[0,1]
	;; [unrolled: 1-line block ×10, first 2 shown]
	v_pack_b32_f16 v64, v178, v20
	v_pack_b32_f16 v65, v22, v23
	;; [unrolled: 1-line block ×4, first 2 shown]
	v_cvt_f32_f16_e32 v16, v83
	v_cvt_f32_f16_sdwa v17, v83 dst_sel:DWORD dst_unused:UNUSED_PAD src0_sel:WORD_1
	v_cvt_f32_f16_e32 v18, v82
	v_cvt_f32_f16_sdwa v19, v82 dst_sel:DWORD dst_unused:UNUSED_PAD src0_sel:WORD_1
	v_cvt_f32_f16_e32 v20, v86
	v_cvt_f32_f16_sdwa v21, v86 dst_sel:DWORD dst_unused:UNUSED_PAD src0_sel:WORD_1
	v_cvt_f32_f16_e32 v22, v75
	v_cvt_f32_f16_sdwa v23, v75 dst_sel:DWORD dst_unused:UNUSED_PAD src0_sel:WORD_1
	v_cndmask_b32_e64 v81, v72, v73, s[28:29]
	s_waitcnt vmcnt(0) lgkmcnt(0)
	ds_write_b128 v119, v[166:169]
	s_waitcnt lgkmcnt(0)
	s_barrier
	ds_read_u16 v72, v123 offset:544
	ds_read_u16 v73, v124
	ds_read_u16 v75, v124 offset:32
	ds_read_u16 v86, v124 offset:64
	;; [unrolled: 1-line block ×6, first 2 shown]
	ds_read_u16 v83, v122
	ds_read_u16 v169, v122 offset:32
	ds_read_u16 v170, v122 offset:64
	;; [unrolled: 1-line block ×7, first 2 shown]
	s_waitcnt lgkmcnt(14)
	v_perm_b32 v73, v73, v72, s53
	s_waitcnt lgkmcnt(7)
	v_perm_b32 v72, v82, v83, s53
	ds_read_u16 v82, v125 offset:544
	ds_read_u16 v83, v126 offset:272
	ds_read_u16 v183, v126 offset:544
	v_mfma_f32_16x16x16f16 v[16:19], v[72:73], v[64:65], v[16:19]
	s_waitcnt lgkmcnt(0)
	v_perm_b32 v73, v75, v183, s53
	v_perm_b32 v72, v83, v169, s53
	v_fmac_f32_e32 v81, v165, v171
	ds_read_u16 v165, v125 offset:272
	ds_read_u16 v171, v124 offset:8704
	;; [unrolled: 1-line block ×5, first 2 shown]
	v_cmp_lt_i32_e32 vcc, s48, v102
	s_and_b64 vcc, exec, vcc
	v_mfma_f32_16x16x16f16 v[20:23], v[72:73], v[64:65], v[20:23]
	v_cvt_f16_f32_e32 v16, v16
	v_cvt_f16_f32_e32 v17, v17
	;; [unrolled: 1-line block ×4, first 2 shown]
	s_waitcnt lgkmcnt(3)
	v_perm_b32 v83, v171, v82, s53
	v_perm_b32 v82, v165, v168, s53
	v_cvt_f32_f16_e32 v16, v16
	v_cvt_f32_f16_e32 v17, v17
	;; [unrolled: 1-line block ×4, first 2 shown]
	v_cvt_f16_f32_e32 v20, v20
	v_cvt_f16_f32_e32 v21, v21
	;; [unrolled: 1-line block ×4, first 2 shown]
	v_mfma_f32_16x16x16f16 v[16:19], v[82:83], v[62:63], v[16:19]
	ds_read_u16 v72, v127 offset:8704
	ds_read_u16 v75, v128 offset:272
	ds_read_u16 v73, v129 offset:544
	ds_read_u16 v165, v130 offset:8704
	ds_read_u16 v168, v131 offset:272
	ds_read_u16 v171, v131 offset:544
	ds_read_u16 v185, v132 offset:8704
	ds_read_u16 v186, v133 offset:272
	s_waitcnt lgkmcnt(4)
	v_perm_b32 v73, v165, v73, s53
	v_perm_b32 v72, v75, v72, s53
	v_cvt_f32_f16_e32 v20, v20
	v_cvt_f32_f16_e32 v21, v21
	;; [unrolled: 1-line block ×4, first 2 shown]
	v_cvt_f16_f32_e32 v75, v16
	v_cvt_f16_f32_e32 v82, v17
	;; [unrolled: 1-line block ×4, first 2 shown]
	v_mfma_f32_16x16x16f16 v[16:19], v[72:73], v[62:63], v[20:23]
	s_waitcnt lgkmcnt(2)
	v_perm_b32 v73, v86, v171, s53
	v_perm_b32 v72, v168, v170, s53
	v_pack_b32_f16 v83, v75, v82
	v_pack_b32_f16 v82, v165, v187
	s_nop 1
	v_cvt_f32_f16_e32 v20, v80
	v_cvt_f32_f16_sdwa v21, v80 dst_sel:DWORD dst_unused:UNUSED_PAD src0_sel:WORD_1
	v_cvt_f32_f16_e32 v22, v79
	v_cvt_f32_f16_sdwa v23, v79 dst_sel:DWORD dst_unused:UNUSED_PAD src0_sel:WORD_1
	v_cvt_f16_f32_e32 v75, v16
	v_cvt_f16_f32_e32 v86, v17
	v_mfma_f32_16x16x16f16 v[20:23], v[72:73], v[64:65], v[20:23]
	v_pack_b32_f16 v86, v75, v86
	s_nop 7
	s_nop 1
	v_cvt_f16_f32_e32 v16, v20
	v_cvt_f16_f32_e32 v21, v21
	;; [unrolled: 1-line block ×4, first 2 shown]
	v_cvt_f32_f16_e32 v20, v16
	ds_read_u16 v16, v134 offset:544
	ds_read_u16 v72, v135 offset:8704
	;; [unrolled: 1-line block ×8, first 2 shown]
	s_waitcnt lgkmcnt(6)
	v_perm_b32 v73, v72, v16, s53
	v_perm_b32 v72, v186, v185, s53
	v_cvt_f32_f16_e32 v21, v21
	v_cvt_f32_f16_e32 v22, v22
	;; [unrolled: 1-line block ×3, first 2 shown]
	v_cvt_f16_f32_e32 v185, v18
	v_cvt_f16_f32_e32 v186, v19
	v_mfma_f32_16x16x16f16 v[16:19], v[72:73], v[62:63], v[20:23]
	s_waitcnt lgkmcnt(4)
	v_perm_b32 v73, v166, v80, s53
	v_perm_b32 v72, v79, v172, s53
	v_pack_b32_f16 v75, v185, v186
	s_nop 2
	v_cvt_f32_f16_e32 v20, v174
	v_cvt_f32_f16_sdwa v21, v174 dst_sel:DWORD dst_unused:UNUSED_PAD src0_sel:WORD_1
	v_cvt_f32_f16_e32 v22, v175
	v_cvt_f32_f16_sdwa v23, v175 dst_sel:DWORD dst_unused:UNUSED_PAD src0_sel:WORD_1
	v_cvt_f16_f32_e32 v79, v16
	v_cvt_f16_f32_e32 v80, v17
	v_mfma_f32_16x16x16f16 v[20:23], v[72:73], v[64:65], v[20:23]
	s_waitcnt lgkmcnt(0)
	v_perm_b32 v73, v171, v170, s53
	v_perm_b32 v72, v168, v165, s53
	v_cvt_f16_f32_e32 v165, v18
	v_cvt_f16_f32_e32 v166, v19
	v_pack_b32_f16 v80, v79, v80
	s_nop 4
	v_cvt_f16_f32_e32 v16, v20
	v_cvt_f16_f32_e32 v21, v21
	;; [unrolled: 1-line block ×4, first 2 shown]
	v_cvt_f32_f16_e32 v20, v16
	v_cvt_f32_f16_e32 v21, v21
	;; [unrolled: 1-line block ×4, first 2 shown]
	v_pack_b32_f16 v79, v165, v166
	s_nop 0
	v_mfma_f32_16x16x16f16 v[16:19], v[72:73], v[62:63], v[20:23]
	s_nop 6
	ds_read_u16 v23, v141 offset:272
	ds_read_u16 v72, v141 offset:544
	;; [unrolled: 1-line block ×8, first 2 shown]
	s_waitcnt lgkmcnt(6)
	v_perm_b32 v73, v167, v72, s53
	v_perm_b32 v72, v23, v173, s53
	v_cvt_f32_f16_e32 v20, v179
	v_cvt_f32_f16_sdwa v21, v179 dst_sel:DWORD dst_unused:UNUSED_PAD src0_sel:WORD_1
	v_cvt_f32_f16_e32 v22, v180
	v_cvt_f32_f16_sdwa v23, v180 dst_sel:DWORD dst_unused:UNUSED_PAD src0_sel:WORD_1
	v_cvt_f16_f32_e32 v165, v16
	s_waitcnt lgkmcnt(0)
	v_perm_b32 v167, v169, v175, s53
	v_mfma_f32_16x16x16f16 v[20:23], v[72:73], v[64:65], v[20:23]
	v_perm_b32 v73, v172, v171, s53
	v_perm_b32 v72, v170, v168, s53
	;; [unrolled: 1-line block ×3, first 2 shown]
	v_cvt_f16_f32_e32 v168, v17
	v_cvt_f16_f32_e32 v170, v18
	;; [unrolled: 1-line block ×3, first 2 shown]
	s_nop 4
	v_cvt_f16_f32_e32 v16, v20
	v_cvt_f16_f32_e32 v21, v21
	;; [unrolled: 1-line block ×4, first 2 shown]
	v_cvt_f32_f16_e32 v20, v16
	v_cvt_f32_f16_e32 v21, v21
	;; [unrolled: 1-line block ×4, first 2 shown]
	s_nop 1
	v_mfma_f32_16x16x16f16 v[16:19], v[72:73], v[62:63], v[20:23]
	v_pack_b32_f16 v73, v165, v168
	v_pack_b32_f16 v72, v170, v171
	s_nop 4
	v_cvt_f32_f16_e32 v20, v181
	v_cvt_f32_f16_sdwa v21, v181 dst_sel:DWORD dst_unused:UNUSED_PAD src0_sel:WORD_1
	v_cvt_f32_f16_e32 v22, v182
	v_cvt_f32_f16_sdwa v23, v182 dst_sel:DWORD dst_unused:UNUSED_PAD src0_sel:WORD_1
	v_cvt_f16_f32_e32 v165, v16
	v_cvt_f16_f32_e32 v173, v18
	v_mfma_f32_16x16x16f16 v[20:23], v[166:167], v[64:65], v[20:23]
	v_cvt_f16_f32_e32 v174, v19
	s_nop 7
	s_nop 1
	v_cvt_f16_f32_e32 v16, v20
	v_cvt_f16_f32_e32 v21, v21
	;; [unrolled: 1-line block ×4, first 2 shown]
	v_cvt_f32_f16_e32 v20, v16
	ds_read_u16 v16, v147 offset:8704
	ds_read_u16 v166, v148 offset:272
	;; [unrolled: 1-line block ×8, first 2 shown]
	s_waitcnt lgkmcnt(4)
	v_perm_b32 v167, v168, v167, s53
	v_perm_b32 v166, v166, v16, s53
	v_cvt_f32_f16_e32 v21, v21
	v_cvt_f32_f16_e32 v22, v22
	;; [unrolled: 1-line block ×3, first 2 shown]
	v_cvt_f16_f32_e32 v168, v17
	s_nop 0
	v_mfma_f32_16x16x16f16 v[16:19], v[166:167], v[62:63], v[20:23]
	s_waitcnt lgkmcnt(2)
	v_perm_b32 v167, v183, v170, s53
	v_perm_b32 v166, v169, v177, s53
	s_nop 3
	v_cvt_f32_f16_e32 v20, v76
	v_cvt_f32_f16_sdwa v21, v76 dst_sel:DWORD dst_unused:UNUSED_PAD src0_sel:WORD_1
	v_cvt_f32_f16_e32 v22, v74
	v_cvt_f32_f16_sdwa v23, v74 dst_sel:DWORD dst_unused:UNUSED_PAD src0_sel:WORD_1
	v_pack_b32_f16 v76, v165, v168
	v_cvt_f16_f32_e32 v165, v16
	v_mfma_f32_16x16x16f16 v[20:23], v[166:167], v[64:65], v[20:23]
	v_pack_b32_f16 v74, v173, v174
	v_cvt_f16_f32_e32 v176, v19
	s_nop 7
	s_nop 0
	v_cvt_f16_f32_e32 v16, v20
	v_cvt_f16_f32_e32 v21, v21
	;; [unrolled: 1-line block ×4, first 2 shown]
	v_cvt_f32_f16_e32 v20, v16
	ds_read_u16 v16, v154 offset:544
	ds_read_u16 v166, v155 offset:8704
	ds_read_u16 v168, v156 offset:272
	ds_read_u16 v169, v156 offset:544
	ds_read_u16 v170, v157 offset:8704
	ds_read_u16 v173, v158 offset:272
	ds_read_u16 v174, v159 offset:544
	ds_read_u16 v175, v160 offset:8704
	s_waitcnt lgkmcnt(6)
	v_perm_b32 v167, v166, v16, s53
	v_perm_b32 v166, v172, v171, s53
	v_cvt_f32_f16_e32 v21, v21
	v_cvt_f32_f16_e32 v22, v22
	v_cvt_f32_f16_e32 v23, v23
	v_cvt_f16_f32_e32 v171, v17
	v_cvt_f16_f32_e32 v172, v18
	v_mfma_f32_16x16x16f16 v[16:19], v[166:167], v[62:63], v[20:23]
	s_waitcnt lgkmcnt(4)
	v_perm_b32 v167, v184, v169, s53
	v_perm_b32 v166, v168, v178, s53
	s_waitcnt lgkmcnt(0)
	s_barrier
	s_nop 1
	v_cvt_f32_f16_e32 v20, v78
	v_cvt_f32_f16_sdwa v21, v78 dst_sel:DWORD dst_unused:UNUSED_PAD src0_sel:WORD_1
	v_cvt_f32_f16_e32 v22, v77
	v_cvt_f32_f16_sdwa v23, v77 dst_sel:DWORD dst_unused:UNUSED_PAD src0_sel:WORD_1
	v_pack_b32_f16 v78, v165, v171
	v_cvt_f16_f32_e32 v165, v16
	v_mfma_f32_16x16x16f16 v[20:23], v[166:167], v[64:65], v[20:23]
	v_perm_b32 v65, v175, v174, s53
	v_perm_b32 v64, v173, v170, s53
	v_cvt_f16_f32_e32 v166, v17
	v_cvt_f16_f32_e32 v167, v18
	;; [unrolled: 1-line block ×3, first 2 shown]
	v_pack_b32_f16 v77, v172, v176
	s_nop 4
	v_cvt_f16_f32_e32 v16, v20
	v_cvt_f16_f32_e32 v21, v21
	;; [unrolled: 1-line block ×4, first 2 shown]
	v_cvt_f32_f16_e32 v20, v16
	v_cvt_f32_f16_e32 v21, v21
	;; [unrolled: 1-line block ×4, first 2 shown]
	s_nop 1
	v_mfma_f32_16x16x16f16 v[16:19], v[64:65], v[62:63], v[20:23]
	v_pack_b32_f16 v65, v165, v166
	v_pack_b32_f16 v64, v167, v168
	s_nop 7
	s_nop 0
	v_cvt_f16_f32_e32 v16, v16
	v_cvt_f16_f32_e32 v17, v17
	;; [unrolled: 1-line block ×4, first 2 shown]
	v_pack_b32_f16 v63, v16, v17
	v_pack_b32_f16 v62, v18, v19
	s_cbranch_vccz .LBB24_368
; %bb.365:                              ;   in Loop: Header=BB24_356 Depth=1
	v_mov_b32_e32 v165, v81
	v_mov_b32_e32 v81, v25
	s_branch .LBB24_356
.LBB24_366:
                                        ; implicit-def: $sgpr10_sgpr11
                                        ; kill: killed $sgpr10_sgpr11
	s_load_dwordx2 s[94:95], s[4:5], 0x5c
	s_branch .LBB24_7
.LBB24_367:
	v_mov_b32_e32 v81, 0
	v_mov_b32_e32 v25, 0xfeffffff
	;; [unrolled: 1-line block ×17, first 2 shown]
.LBB24_368:
	s_lshl_b32 s14, s48, 6
	v_readlane_b32 s4, v254, 4
	s_sub_i32 s22, s4, s14
	s_cmp_lg_u64 s[8:9], 0
	s_cselect_b64 s[16:17], -1, 0
	s_ashr_i32 s15, s14, 31
	s_cmp_eq_u64 s[8:9], 0
	v_readlane_b32 s5, v254, 5
	s_cbranch_scc1 .LBB24_386
; %bb.369:
	s_lshl_b64 s[4:5], s[14:15], 1
	s_add_u32 s4, s8, s4
	s_addc_u32 s5, s9, s5
	v_mov_b32_e32 v17, s5
	v_add_co_u32_e64 v16, s[4:5], s4, v101
	v_cmp_gt_i32_e32 vcc, s22, v34
	v_mov_b32_e32 v18, 0
	v_addc_co_u32_e64 v17, s[4:5], 0, v17, s[4:5]
	v_mov_b32_e32 v20, 0
	s_and_saveexec_b64 s[6:7], vcc
	s_cbranch_execz .LBB24_371
; %bb.370:
	v_mul_hi_u32 v19, s94, v84
	v_add_u32_e32 v19, v84, v19
	v_lshrrev_b32_e32 v19, s95, v19
	v_mul_lo_u32 v19, v19, s80
	v_sub_u32_e32 v19, v84, v19
	v_mad_i64_i32 v[20:21], s[4:5], v19, s84, 0
	v_lshlrev_b64 v[20:21], 1, v[20:21]
	v_add_co_u32_e64 v20, s[4:5], v16, v20
	v_addc_co_u32_e64 v21, s[4:5], v17, v21, s[4:5]
	flat_load_ushort v20, v[20:21]
.LBB24_371:
	s_or_b64 exec, exec, s[6:7]
	s_movk_i32 s4, 0x90
	v_mad_u32_u24 v19, v90, s4, 0
	v_lshl_add_u32 v21, v34, 1, v19
	s_waitcnt vmcnt(0) lgkmcnt(0)
	ds_write_b16 v21, v20 offset:17408
	s_and_saveexec_b64 s[6:7], vcc
	s_cbranch_execz .LBB24_373
; %bb.372:
	v_mul_hi_u32 v18, s94, v85
	v_add_u32_e32 v18, v85, v18
	v_lshrrev_b32_e32 v18, s95, v18
	v_mul_lo_u32 v18, v18, s80
	v_sub_u32_e32 v18, v85, v18
	v_mad_i64_i32 v[20:21], s[4:5], v18, s84, 0
	v_lshlrev_b64 v[20:21], 1, v[20:21]
	v_add_co_u32_e64 v20, s[4:5], v16, v20
	v_addc_co_u32_e64 v21, s[4:5], v17, v21, s[4:5]
	flat_load_ushort v18, v[20:21]
.LBB24_373:
	s_or_b64 exec, exec, s[6:7]
	v_add_u32_e32 v19, 0x240, v19
	v_lshl_add_u32 v20, v34, 1, v19
	s_waitcnt vmcnt(0) lgkmcnt(0)
	ds_write_b16 v20, v18 offset:17408
	v_mov_b32_e32 v18, 0
	v_mov_b32_e32 v20, 0
	s_and_saveexec_b64 s[6:7], vcc
	s_cbranch_execz .LBB24_375
; %bb.374:
	v_mul_hi_u32 v20, s94, v87
	v_add_u32_e32 v20, v87, v20
	v_lshrrev_b32_e32 v20, s95, v20
	v_mul_lo_u32 v20, v20, s80
	v_sub_u32_e32 v20, v87, v20
	v_mad_i64_i32 v[20:21], s[4:5], v20, s84, 0
	v_lshlrev_b64 v[20:21], 1, v[20:21]
	v_add_co_u32_e64 v20, s[4:5], v16, v20
	v_addc_co_u32_e64 v21, s[4:5], v17, v21, s[4:5]
	flat_load_ushort v20, v[20:21]
.LBB24_375:
	s_or_b64 exec, exec, s[6:7]
	v_add_u32_e32 v19, 0x240, v19
	v_lshl_add_u32 v21, v34, 1, v19
	s_waitcnt vmcnt(0) lgkmcnt(0)
	ds_write_b16 v21, v20 offset:17408
	s_and_saveexec_b64 s[6:7], vcc
	s_cbranch_execz .LBB24_377
; %bb.376:
	v_mul_hi_u32 v18, s94, v88
	v_add_u32_e32 v18, v88, v18
	v_lshrrev_b32_e32 v18, s95, v18
	v_mul_lo_u32 v18, v18, s80
	v_sub_u32_e32 v18, v88, v18
	v_mad_i64_i32 v[20:21], s[4:5], v18, s84, 0
	v_lshlrev_b64 v[20:21], 1, v[20:21]
	v_add_co_u32_e64 v20, s[4:5], v16, v20
	v_addc_co_u32_e64 v21, s[4:5], v17, v21, s[4:5]
	flat_load_ushort v18, v[20:21]
.LBB24_377:
	s_or_b64 exec, exec, s[6:7]
	v_add_u32_e32 v19, 0x240, v19
	v_lshl_add_u32 v20, v34, 1, v19
	s_waitcnt vmcnt(0) lgkmcnt(0)
	ds_write_b16 v20, v18 offset:17408
	v_mov_b32_e32 v18, 0
	v_mov_b32_e32 v20, 0
	s_and_saveexec_b64 s[6:7], vcc
	s_cbranch_execz .LBB24_379
; %bb.378:
	v_mul_hi_u32 v20, s94, v99
	v_add_u32_e32 v20, v99, v20
	v_lshrrev_b32_e32 v20, s95, v20
	v_mul_lo_u32 v20, v20, s80
	v_sub_u32_e32 v20, v99, v20
	v_mad_i64_i32 v[20:21], s[4:5], v20, s84, 0
	v_lshlrev_b64 v[20:21], 1, v[20:21]
	v_add_co_u32_e64 v20, s[4:5], v16, v20
	v_addc_co_u32_e64 v21, s[4:5], v17, v21, s[4:5]
	flat_load_ushort v20, v[20:21]
.LBB24_379:
	s_or_b64 exec, exec, s[6:7]
	v_add_u32_e32 v19, 0x240, v19
	;; [unrolled: 40-line block ×3, first 2 shown]
	v_lshl_add_u32 v19, v34, 1, v19
	s_waitcnt vmcnt(0) lgkmcnt(0)
	ds_write_b16 v19, v20 offset:17408
	s_and_saveexec_b64 s[4:5], vcc
	s_cbranch_execz .LBB24_385
; %bb.384:
	v_mul_hi_u32 v18, s94, v96
	v_add_u32_e32 v18, v96, v18
	v_lshrrev_b32_e32 v18, s95, v18
	v_mul_lo_u32 v18, v18, s80
	v_sub_u32_e32 v18, v96, v18
	v_mad_i64_i32 v[20:21], s[6:7], v18, s84, 0
	v_lshlrev_b64 v[20:21], 1, v[20:21]
	v_add_co_u32_e32 v16, vcc, v16, v20
	v_addc_co_u32_e32 v17, vcc, v17, v21, vcc
	flat_load_ushort v18, v[16:17]
.LBB24_385:
	s_or_b64 exec, exec, s[4:5]
	s_waitcnt vmcnt(0) lgkmcnt(0)
	ds_write_b16 v19, v18 offset:17984
.LBB24_386:
	s_mul_hi_i32 s5, s14, s82
	s_mul_i32 s4, s14, s82
	v_lshl_add_u32 v20, v90, 2, v100
	s_lshl_b64 s[4:5], s[4:5], 2
	v_mul_lo_u32 v22, s82, v20
	s_add_u32 s6, s45, s4
	v_ashrrev_i32_e32 v23, 31, v22
	s_addc_u32 s7, s46, s5
	v_mov_b32_e32 v16, 0
	v_lshlrev_b64 v[18:19], 2, v[22:23]
	buffer_store_dword v16, off, s[0:3], 0
	buffer_store_dword v16, off, s[0:3], 0 offset:4
	buffer_store_dword v16, off, s[0:3], 0 offset:8
	buffer_store_dword v16, off, s[0:3], 0 offset:12
	v_and_b32_e32 v16, 60, v35
	v_mov_b32_e32 v17, s7
	v_add_co_u32_e32 v18, vcc, s6, v18
	v_lshlrev_b32_e32 v16, 2, v16
	v_addc_co_u32_e32 v17, vcc, v17, v19, vcc
	s_mov_b64 s[4:5], src_private_base
	v_add_co_u32_e32 v18, vcc, v18, v16
	v_addc_co_u32_e32 v17, vcc, 0, v17, vcc
	v_mov_b32_e32 v21, s5
	v_cmp_gt_i32_e64 s[10:11], s22, v20
	v_cndmask_b32_e64 v19, v21, v17, s[10:11]
	v_mov_b32_e32 v17, 0
	v_cndmask_b32_e64 v18, v17, v18, s[10:11]
	flat_load_dwordx4 v[26:29], v[18:19]
	s_lshl_b32 s8, s82, 4
	v_add_u32_e32 v22, s8, v22
	v_ashrrev_i32_e32 v23, 31, v22
	v_lshlrev_b64 v[30:31], 2, v[22:23]
	v_mov_b32_e32 v32, s7
	v_add_co_u32_e32 v23, vcc, s6, v30
	v_addc_co_u32_e32 v30, vcc, v32, v31, vcc
	v_mul_u32_u24_e32 v18, 0x110, v20
	v_add_u32_e32 v19, 16, v20
	v_add_co_u32_e32 v23, vcc, v23, v16
	v_add3_u32 v18, 0, v18, v16
	v_addc_co_u32_e32 v30, vcc, 0, v30, vcc
	v_cmp_gt_i32_e64 s[12:13], s22, v19
	v_cndmask_b32_e64 v31, v21, v30, s[12:13]
	v_cndmask_b32_e64 v30, v17, v23, s[12:13]
	v_add_u32_e32 v22, s8, v22
	v_ashrrev_i32_e32 v23, 31, v22
	v_add_u32_e32 v19, 32, v20
	v_cmp_gt_i32_e64 s[4:5], s22, v19
	v_add_u32_e32 v19, 48, v20
	s_waitcnt vmcnt(0) lgkmcnt(0)
	ds_write_b128 v18, v[26:29]
	flat_load_dwordx4 v[26:29], v[30:31]
	v_lshlrev_b64 v[30:31], 2, v[22:23]
	v_add_co_u32_e32 v23, vcc, s6, v30
	v_addc_co_u32_e32 v30, vcc, v32, v31, vcc
	v_add_co_u32_e32 v23, vcc, v23, v16
	v_addc_co_u32_e32 v30, vcc, 0, v30, vcc
	v_cndmask_b32_e64 v31, v21, v30, s[4:5]
	v_cndmask_b32_e64 v30, v17, v23, s[4:5]
	v_add_u32_e32 v22, s8, v22
	v_ashrrev_i32_e32 v23, 31, v22
	v_lshlrev_b64 v[22:23], 2, v[22:23]
	v_add_co_u32_e32 v22, vcc, s6, v22
	s_waitcnt vmcnt(0) lgkmcnt(0)
	ds_write_b128 v18, v[26:29] offset:4352
	flat_load_dwordx4 v[26:29], v[30:31]
	v_mov_b32_e32 v30, s7
	v_addc_co_u32_e32 v23, vcc, v30, v23, vcc
	v_add_co_u32_e32 v22, vcc, v22, v16
	v_addc_co_u32_e32 v23, vcc, 0, v23, vcc
	v_cmp_gt_i32_e64 s[6:7], s22, v19
	v_cndmask_b32_e64 v23, v21, v23, s[6:7]
	v_cndmask_b32_e64 v22, v17, v22, s[6:7]
	v_and_b32_e32 v17, 16, v91
	v_add_u32_e32 v19, 0, v94
	v_mul_u32_u24_e32 v21, 0x110, v17
	v_add3_u32 v19, v19, v95, v21
	v_add_u32_e32 v21, 0x2000, v19
	s_and_b64 vcc, exec, s[16:17]
	s_waitcnt vmcnt(0) lgkmcnt(0)
	ds_write_b128 v18, v[26:29] offset:8704
	flat_load_dwordx4 v[26:29], v[22:23]
	s_waitcnt vmcnt(0) lgkmcnt(0)
	ds_write_b128 v18, v[26:29] offset:13056
	s_waitcnt lgkmcnt(0)
	s_barrier
	ds_read2_b64 v[26:29], v19 offset1:4
	ds_read2_b64 v[36:39], v21 offset0:64 offset1:68
	s_waitcnt lgkmcnt(1)
	v_mfma_f32_16x16x16f16 v[30:33], v[26:27], v[12:13], 0
	s_waitcnt lgkmcnt(0)
	v_mfma_f32_16x16x16f16 v[40:43], v[36:37], v[12:13], 0
	v_mfma_f32_16x16x16f16 v[26:29], v[28:29], v[14:15], v[30:33]
	v_mfma_f32_16x16x16f16 v[12:15], v[38:39], v[14:15], v[40:43]
	s_nop 6
	ds_read2_b64 v[30:33], v19 offset0:8 offset1:12
	ds_read2_b64 v[36:39], v21 offset0:72 offset1:76
	s_waitcnt lgkmcnt(1)
	v_mfma_f32_16x16x16f16 v[26:29], v[30:31], v[8:9], v[26:29]
	s_waitcnt lgkmcnt(0)
	v_mfma_f32_16x16x16f16 v[12:15], v[36:37], v[8:9], v[12:15]
	v_mfma_f32_16x16x16f16 v[26:29], v[32:33], v[10:11], v[26:29]
	ds_read2_b64 v[30:33], v21 offset0:80 offset1:84
	v_mfma_f32_16x16x16f16 v[8:11], v[38:39], v[10:11], v[12:15]
	s_nop 7
	ds_read2_b64 v[12:15], v19 offset0:16 offset1:20
	s_waitcnt lgkmcnt(0)
	v_mfma_f32_16x16x16f16 v[26:29], v[12:13], v[4:5], v[26:29]
	v_mfma_f32_16x16x16f16 v[8:11], v[30:31], v[4:5], v[8:11]
	;; [unrolled: 1-line block ×4, first 2 shown]
	s_nop 7
	ds_read2_b64 v[26:29], v21 offset0:88 offset1:92
	ds_read2_b64 v[8:11], v19 offset0:24 offset1:28
	s_waitcnt lgkmcnt(0)
	v_mfma_f32_16x16x16f16 v[12:15], v[8:9], v[0:1], v[12:15]
	s_barrier
	v_mfma_f32_16x16x16f16 v[4:7], v[26:27], v[0:1], v[4:7]
	v_and_b32_e32 v26, 0xfc, v70
	v_add_u32_e32 v23, v17, v26
	v_add_u32_e32 v27, 32, v23
	v_mfma_f32_16x16x16f16 v[8:11], v[10:11], v[2:3], v[12:15]
	v_mfma_f32_16x16x16f16 v[12:15], v[28:29], v[2:3], v[4:7]
	v_add_u32_e32 v28, 34, v23
	s_cbranch_vccz .LBB24_388
; %bb.387:
	s_movk_i32 s8, 0x90
	v_mad_u32_u24 v2, v89, s8, 0
	v_lshlrev_b32_e32 v0, 1, v23
	s_movk_i32 s8, 0x4400
	v_add_u32_e32 v22, 32, v23
	v_add_u32_e32 v21, 34, v23
	v_add3_u32 v0, v2, v0, s8
	v_lshl_add_u32 v3, v22, 1, v2
	v_lshl_add_u32 v2, v21, 1, v2
	ds_read2_b32 v[0:1], v0 offset1:1
	ds_read_b32 v3, v3 offset:17408
	ds_read_b32 v2, v2 offset:17408
	s_mov_b64 s[8:9], 0
	s_waitcnt lgkmcnt(2)
	v_cvt_f32_f16_e32 v4, v0
	v_cvt_f32_f16_sdwa v5, v0 dst_sel:DWORD dst_unused:UNUSED_PAD src0_sel:WORD_1
	v_cvt_f32_f16_e32 v0, v1
	v_cvt_f32_f16_sdwa v1, v1 dst_sel:DWORD dst_unused:UNUSED_PAD src0_sel:WORD_1
	s_waitcnt lgkmcnt(1)
	v_cvt_f32_f16_e32 v30, v3
	s_waitcnt lgkmcnt(0)
	v_cvt_f32_f16_e32 v6, v2
	v_cvt_f32_f16_sdwa v7, v2 dst_sel:DWORD dst_unused:UNUSED_PAD src0_sel:WORD_1
	v_cvt_f32_f16_sdwa v31, v3 dst_sel:DWORD dst_unused:UNUSED_PAD src0_sel:WORD_1
	v_pk_fma_f32 v[2:3], v[24:25], v[0:1], v[10:11] op_sel_hi:[0,1,1]
	v_pk_fma_f32 v[0:1], v[24:25], v[4:5], v[8:9] op_sel_hi:[0,1,1]
	;; [unrolled: 1-line block ×4, first 2 shown]
	s_branch .LBB24_389
.LBB24_388:
	s_mov_b64 s[8:9], -1
                                        ; implicit-def: $vgpr0_vgpr1_vgpr2_vgpr3
                                        ; implicit-def: $vgpr4_vgpr5_vgpr6_vgpr7
                                        ; implicit-def: $vgpr22
                                        ; implicit-def: $vgpr21
.LBB24_389:
	v_add_u32_e32 v24, 0x1100, v18
	v_add_u32_e32 v19, 0x2200, v18
	s_andn2_b64 vcc, exec, s[8:9]
	v_add_u32_e32 v17, 0x3300, v18
	s_cbranch_vccnz .LBB24_391
; %bb.390:
	s_nop 2
	v_pk_mov_b32 v[4:5], v[12:13], v[12:13] op_sel:[0,1]
	v_pk_mov_b32 v[0:1], v[8:9], v[8:9] op_sel:[0,1]
	v_mov_b32_e32 v21, v28
	v_mov_b32_e32 v22, v27
	v_pk_mov_b32 v[6:7], v[14:15], v[14:15] op_sel:[0,1]
	v_pk_mov_b32 v[2:3], v[10:11], v[10:11] op_sel:[0,1]
.LBB24_391:
	s_mul_hi_i32 s9, s14, s62
	s_mul_i32 s8, s14, s62
	s_lshl_b64 s[8:9], s[8:9], 2
	v_mul_lo_u32 v14, s62, v20
	s_add_u32 s14, s33, s8
	v_ashrrev_i32_e32 v15, 31, v14
	s_addc_u32 s15, s44, s9
	v_lshlrev_b64 v[8:9], 2, v[14:15]
	v_mov_b32_e32 v10, s15
	v_add_co_u32_e32 v8, vcc, s14, v8
	v_addc_co_u32_e32 v9, vcc, v10, v9, vcc
	s_mov_b64 s[8:9], src_private_base
	v_add_co_u32_e32 v8, vcc, v8, v16
	v_addc_co_u32_e32 v9, vcc, 0, v9, vcc
	v_mov_b32_e32 v36, s9
	v_mov_b32_e32 v42, 0
	;; [unrolled: 1-line block ×3, first 2 shown]
	v_cndmask_b32_e64 v9, v36, v9, s[10:11]
	v_cndmask_b32_e64 v8, v42, v8, s[10:11]
	buffer_store_dword v10, off, s[0:3], 0
	buffer_store_dword v10, off, s[0:3], 0 offset:4
	buffer_store_dword v10, off, s[0:3], 0 offset:8
	;; [unrolled: 1-line block ×3, first 2 shown]
	flat_load_dwordx4 v[8:11], v[8:9]
	s_lshl_b32 s11, s62, 4
	v_add_u32_e32 v30, s11, v14
	v_ashrrev_i32_e32 v31, 31, v30
	v_lshlrev_b64 v[32:33], 2, v[30:31]
	v_mov_b32_e32 v14, s15
	v_add_co_u32_e32 v31, vcc, s14, v32
	v_addc_co_u32_e32 v14, vcc, v14, v33, vcc
	v_add_co_u32_e32 v31, vcc, v31, v16
	v_addc_co_u32_e32 v14, vcc, 0, v14, vcc
	v_cndmask_b32_e64 v33, v36, v14, s[12:13]
	v_cndmask_b32_e64 v32, v42, v31, s[12:13]
	v_mbcnt_hi_u32_b32 v54, -1, v71
	v_and_b32_e32 v57, 64, v54
	v_add_f32_e32 v12, 0x40051340, v0
	v_max_f32_e32 v13, v25, v25
	v_or_b32_e32 v43, 1, v23
	v_or_b32_e32 v44, 2, v23
	;; [unrolled: 1-line block ×3, first 2 shown]
	v_add_u32_e32 v49, 33, v23
	v_add_u32_e32 v52, 35, v23
	v_xor_b32_e32 v58, 32, v54
	v_cmp_gt_u32_e64 s[18:19], s22, v23
	v_add_u32_e32 v23, 64, v57
	v_max_f32_e32 v56, v13, v12
	v_xor_b32_e32 v59, 16, v54
	v_cmp_lt_i32_e32 vcc, v58, v23
	v_cmp_gt_u32_e64 s[16:17], s22, v43
	v_add_f32_e32 v37, 0x40051340, v1
	v_add_f32_e32 v45, 0x40051340, v2
	;; [unrolled: 1-line block ×3, first 2 shown]
	v_cndmask_b32_e64 v43, v3, v3, s[16:17]
	v_cmp_gt_u32_e64 s[12:13], s22, v44
	v_add_f32_e32 v48, 0x40051340, v4
	s_mov_b32 s10, 0
	v_mov_b32_e32 v13, s10
	v_mov_b32_e32 v12, s10
	v_mov_b32_e32 v15, s10
	v_mov_b32_e32 v20, s10
	v_mov_b32_e32 v29, s10
	v_add_f32_e32 v50, 0x40051340, v5
	v_cmp_gt_u32_e64 s[20:21], s22, v49
	v_add_f32_e32 v51, 0x40051340, v6
	v_add_f32_e32 v53, 0x40051340, v7
	s_mov_b32 s27, 0x3fb8aa3b
	v_or_b32_e32 v28, 3, v70
	s_mov_b32 s26, 0xc2ce8ed0
	s_mov_b32 s25, 0x42b17218
	v_mov_b32_e32 v55, 0x7f800000
	s_mov_b32 s24, 0xc1a00000
	v_mul_u32_u24_e32 v27, 0x88, v26
	s_movk_i32 s9, 0x220
	v_mul_u32_u24_e32 v26, 0x110, v26
	s_mov_b32 s8, 0x5040100
	s_waitcnt vmcnt(0) lgkmcnt(0)
	ds_write_b128 v18, v[8:11]
	flat_load_dwordx4 v[38:41], v[32:33]
	v_cndmask_b32_e64 v18, v25, v56, s[18:19]
	v_cndmask_b32_e32 v32, v54, v58, vcc
	v_cmp_lt_i32_e32 vcc, v59, v23
	v_max_f32_e32 v31, v18, v18
	v_cndmask_b32_e32 v23, v54, v59, vcc
	v_cndmask_b32_e64 v54, v2, v2, s[16:17]
	v_add_u32_e32 v2, s11, v30
	v_max_f32_e32 v31, v31, v37
	v_ashrrev_i32_e32 v3, 31, v2
	v_cndmask_b32_e64 v18, v18, v31, s[16:17]
	v_add_u32_e32 v30, s11, v2
	v_lshlrev_b64 v[2:3], 2, v[2:3]
	v_lshlrev_b32_e32 v37, 2, v23
	v_mov_b32_e32 v23, s15
	v_max_f32_e32 v31, v18, v18
	v_add_co_u32_e32 v44, vcc, s14, v2
	v_max_f32_e32 v45, v31, v45
	v_ashrrev_i32_e32 v31, 31, v30
	v_addc_co_u32_e32 v23, vcc, v23, v3, vcc
	v_lshlrev_b64 v[2:3], 2, v[30:31]
	v_add_co_u32_e32 v31, vcc, v44, v16
	v_addc_co_u32_e32 v23, vcc, 0, v23, vcc
	v_mov_b32_e32 v33, s15
	v_add_co_u32_e32 v44, vcc, s14, v2
	v_addc_co_u32_e32 v33, vcc, v33, v3, vcc
	v_cndmask_b32_e64 v3, v36, v23, s[4:5]
	v_cndmask_b32_e64 v2, v42, v31, s[4:5]
	;; [unrolled: 1-line block ×3, first 2 shown]
	v_max_f32_e32 v30, v18, v18
	v_max_f32_e32 v30, v30, v47
	v_cmp_gt_u32_e64 s[14:15], s22, v46
	v_cndmask_b32_e64 v18, v18, v30, s[14:15]
	v_max_f32_e32 v23, v18, v18
	v_mov_b32_e32 v10, s10
	v_mov_b32_e32 v11, s10
	v_max_f32_e32 v23, v23, v48
	v_cmp_gt_u32_e64 s[10:11], s22, v22
	v_cndmask_b32_e64 v18, v18, v23, s[10:11]
	v_max_f32_e32 v22, v18, v18
	v_max_f32_e32 v22, v22, v50
	v_cndmask_b32_e64 v18, v18, v22, s[20:21]
	v_max_f32_e32 v22, v18, v18
	v_max_f32_e32 v22, v22, v51
	v_cmp_gt_u32_e64 s[4:5], s22, v21
	v_cndmask_b32_e64 v18, v18, v22, s[4:5]
	v_max_f32_e32 v21, v18, v18
	v_max_f32_e32 v21, v21, v53
	v_cmp_gt_u32_e32 vcc, s22, v52
	v_lshlrev_b32_e32 v32, 2, v32
	v_cndmask_b32_e32 v18, v18, v21, vcc
	ds_bpermute_b32 v21, v32, v18
	v_max_f32_e32 v18, v18, v18
	v_add_co_u32_e64 v16, s[22:23], v44, v16
	v_addc_co_u32_e64 v22, s[22:23], 0, v33, s[22:23]
	s_waitcnt lgkmcnt(0)
	v_max_f32_e32 v21, v21, v21
	v_max_f32_e32 v18, v18, v21
	v_cndmask_b32_e64 v23, v36, v22, s[6:7]
	v_cndmask_b32_e64 v22, v42, v16, s[6:7]
	;; [unrolled: 1-line block ×4, first 2 shown]
	v_or_b32_e32 v8, v27, v66
	v_mad_u32_u24 v9, v69, s9, 0
	v_mul_u32_u24_e32 v27, 0x110, v28
	v_lshlrev_b32_e32 v28, 1, v8
	v_add3_u32 v8, v9, v26, v68
	v_add3_u32 v14, v9, v27, v68
	v_add_u32_e32 v9, v9, v28
	s_waitcnt vmcnt(0)
	ds_write_b128 v24, v[38:41]
	flat_load_dwordx4 v[38:41], v[2:3]
	ds_bpermute_b32 v2, v37, v18
	v_cndmask_b32_e64 v3, v7, v7, s[10:11]
	s_waitcnt lgkmcnt(0)
	v_max_f32_e32 v2, v2, v2
	v_max_f32_e32 v36, v18, v2
	v_sub_f32_e32 v0, v0, v36
	v_sub_f32_e32 v1, v1, v36
	;; [unrolled: 1-line block ×5, first 2 shown]
	v_mul_f32_e32 v18, 0x3fb8aa3b, v0
	v_mul_f32_e32 v21, 0x3fb8aa3b, v1
	;; [unrolled: 1-line block ×4, first 2 shown]
	v_fma_f32 v44, v0, s27, -v18
	v_rndne_f32_e32 v45, v18
	v_fma_f32 v46, v1, s27, -v21
	v_rndne_f32_e32 v47, v21
	;; [unrolled: 2-line block ×4, first 2 shown]
	v_fmac_f32_e32 v44, 0x32a5705f, v0
	v_sub_f32_e32 v18, v18, v45
	v_fmac_f32_e32 v46, 0x32a5705f, v1
	v_sub_f32_e32 v21, v21, v47
	;; [unrolled: 2-line block ×4, first 2 shown]
	v_add_f32_e32 v18, v18, v44
	v_add_f32_e32 v21, v21, v46
	;; [unrolled: 1-line block ×4, first 2 shown]
	v_sub_f32_e32 v2, v54, v36
	v_mul_f32_e32 v24, 0x3fb8aa3b, v2
	v_sub_f32_e32 v4, v4, v36
	v_mul_f32_e32 v25, 0x3fb8aa3b, v7
	v_fma_f32 v48, v2, s27, -v24
	v_rndne_f32_e32 v49, v24
	v_sub_f32_e32 v5, v5, v36
	v_mul_f32_e32 v30, 0x3fb8aa3b, v4
	v_fma_f32 v50, v7, s27, -v25
	v_rndne_f32_e32 v51, v25
	v_cvt_i32_f32_e32 v45, v45
	v_fmac_f32_e32 v48, 0x32a5705f, v2
	v_sub_f32_e32 v24, v24, v49
	v_exp_f32_e32 v18, v18
	v_sub_f32_e32 v6, v6, v36
	v_mul_f32_e32 v31, 0x3fb8aa3b, v5
	v_fma_f32 v52, v4, s27, -v30
	v_rndne_f32_e32 v53, v30
	v_cvt_i32_f32_e32 v47, v47
	v_fmac_f32_e32 v50, 0x32a5705f, v7
	v_sub_f32_e32 v25, v25, v51
	v_add_f32_e32 v24, v24, v48
	v_mul_f32_e32 v33, 0x3fb8aa3b, v6
	v_fma_f32 v54, v5, s27, -v31
	v_rndne_f32_e32 v56, v31
	v_cvt_i32_f32_e32 v49, v49
	v_fmac_f32_e32 v52, 0x32a5705f, v4
	v_sub_f32_e32 v30, v30, v53
	v_add_f32_e32 v25, v25, v50
	v_fma_f32 v57, v6, s27, -v33
	v_rndne_f32_e32 v58, v33
	v_cvt_i32_f32_e32 v51, v51
	v_fmac_f32_e32 v54, 0x32a5705f, v5
	v_sub_f32_e32 v31, v31, v56
	v_add_f32_e32 v30, v30, v52
	v_cvt_i32_f32_e32 v53, v53
	v_fmac_f32_e32 v57, 0x32a5705f, v6
	v_sub_f32_e32 v33, v33, v58
	v_add_f32_e32 v31, v31, v54
	v_ldexp_f32 v18, v18, v45
	v_cmp_ngt_f32_e64 s[6:7], s26, v0
	v_cvt_i32_f32_e32 v56, v56
	v_add_f32_e32 v33, v33, v57
	s_waitcnt vmcnt(0)
	ds_write_b128 v19, v[38:41]
	flat_load_dwordx4 v[40:43], v[22:23]
	v_exp_f32_e32 v19, v21
	v_exp_f32_e32 v21, v24
	v_exp_f32_e32 v22, v25
	v_exp_f32_e32 v23, v30
	v_exp_f32_e32 v24, v31
	v_ldexp_f32 v19, v19, v47
	v_cndmask_b32_e64 v18, 0, v18, s[6:7]
	v_cmp_ngt_f32_e64 s[6:7], s26, v1
	v_cvt_i32_f32_e32 v58, v58
	v_exp_f32_e32 v25, v33
	v_ldexp_f32 v21, v21, v49
	v_cndmask_b32_e64 v19, 0, v19, s[6:7]
	v_cmp_ngt_f32_e64 s[6:7], s26, v2
	v_cvt_i32_f32_e32 v60, v60
	v_exp_f32_e32 v30, v44
	;; [unrolled: 5-line block ×3, first 2 shown]
	v_ldexp_f32 v23, v23, v53
	v_cndmask_b32_e64 v22, 0, v22, s[6:7]
	v_cmp_ngt_f32_e64 s[6:7], s26, v4
	v_ldexp_f32 v24, v24, v56
	v_cndmask_b32_e64 v23, 0, v23, s[6:7]
	v_cmp_ngt_f32_e64 s[6:7], s26, v5
	;; [unrolled: 3-line block ×5, first 2 shown]
	v_cndmask_b32_e64 v31, 0, v31, s[6:7]
	v_cmp_nlt_f32_e64 s[6:7], s25, v0
	v_cndmask_b32_e64 v0, v55, v18, s[6:7]
	v_cmp_nlt_f32_e64 s[6:7], s25, v1
	;; [unrolled: 2-line block ×9, first 2 shown]
	v_cndmask_b32_e64 v2, v55, v31, s[6:7]
	v_cmp_le_f32_e64 s[6:7], s24, v16
	v_cndmask_b32_e64 v33, 0, v2, s[6:7]
	v_cndmask_b32_e64 v0, 0, v0, s[18:19]
	;; [unrolled: 1-line block ×6, first 2 shown]
	v_cvt_f16_f32_e32 v29, v33
	v_cvt_f16_f32_e32 v2, v0
	;; [unrolled: 1-line block ×5, first 2 shown]
	v_cndmask_b32_e64 v6, v20, v23, s[10:11]
	v_cvt_f16_f32_e32 v12, v6
	v_pk_mul_f16 v6, v29, v83 op_sel_hi:[0,1]
	v_pack_b32_f16 v30, v2, v3
	v_pack_b32_f16 v31, v4, v5
	v_cvt_f32_f16_e32 v2, v6
	v_cvt_f32_f16_sdwa v3, v6 dst_sel:DWORD dst_unused:UNUSED_PAD src0_sel:WORD_1
	v_cvt_f16_f32_e32 v13, v7
	v_pk_mul_f16 v15, v29, v82 op_sel_hi:[0,1]
	v_cvt_f32_f16_e32 v4, v15
	v_cndmask_b32_e64 v10, v10, v39, s[4:5]
	v_cndmask_b32_e32 v11, v11, v1, vcc
	v_pk_mul_f16 v16, v29, v86 op_sel_hi:[0,1]
	s_waitcnt vmcnt(0) lgkmcnt(0)
	ds_write_b128 v17, v[40:43]
	s_waitcnt lgkmcnt(0)
	s_barrier
	ds_read_u16 v17, v8 offset:8976
	ds_read_u16 v18, v14 offset:32
	;; [unrolled: 1-line block ×5, first 2 shown]
	ds_read_u16 v5, v14
	ds_read_u16 v21, v8 offset:9248
	ds_read_u16 v6, v8 offset:544
	;; [unrolled: 1-line block ×9, first 2 shown]
	s_waitcnt lgkmcnt(7)
	v_perm_b32 v7, v5, v6, s8
	ds_read_u16 v50, v8 offset:304
	ds_read_u16 v51, v8 offset:336
	;; [unrolled: 1-line block ×8, first 2 shown]
	ds_read_u16 v6, v9
	ds_read_u16 v56, v9 offset:32
	ds_read_u16 v57, v9 offset:64
	;; [unrolled: 1-line block ×7, first 2 shown]
	s_waitcnt lgkmcnt(7)
	v_perm_b32 v6, v5, v6, s8
	v_cvt_f32_f16_sdwa v5, v15 dst_sel:DWORD dst_unused:UNUSED_PAD src0_sel:WORD_1
	v_mul_u32_u24_e32 v15, 0x220, v69
	v_cvt_f16_f32_e32 v9, v10
	v_mfma_f32_16x16x16f16 v[2:5], v[6:7], v[30:31], v[2:5]
	v_add3_u32 v6, 0, 32, v15
	v_cvt_f16_f32_e32 v10, v11
	v_add_u32_e32 v7, v6, v28
	v_add3_u32 v11, v6, v26, v68
	v_add3_u32 v6, v6, v27, v68
	ds_read_u16 v45, v14 offset:8704
	ds_read_u16 v71, v7 offset:8704
	;; [unrolled: 1-line block ×6, first 2 shown]
	s_waitcnt lgkmcnt(5)
	v_perm_b32 v7, v45, v21, s8
	v_cvt_f16_f32_e32 v2, v2
	v_cvt_f16_f32_e32 v3, v3
	;; [unrolled: 1-line block ×4, first 2 shown]
	v_perm_b32 v6, v17, v44, s8
	v_cvt_f32_f16_e32 v2, v2
	v_cvt_f32_f16_e32 v3, v3
	;; [unrolled: 1-line block ×4, first 2 shown]
	v_pk_mul_f16 v17, v29, v75 op_sel_hi:[0,1]
	v_pack_b32_f16 v44, v12, v13
	v_pack_b32_f16 v45, v9, v10
	v_perm_b32 v11, v18, v25, s8
	v_perm_b32 v10, v50, v56, s8
	ds_read_u16 v86, v8 offset:768
	v_mfma_f32_16x16x16f16 v[2:5], v[6:7], v[44:45], v[2:5]
	v_cvt_f32_f16_e32 v6, v16
	v_cvt_f32_f16_sdwa v7, v16 dst_sel:DWORD dst_unused:UNUSED_PAD src0_sel:WORD_1
	v_cvt_f32_f16_e32 v8, v17
	v_cvt_f32_f16_sdwa v9, v17 dst_sel:DWORD dst_unused:UNUSED_PAD src0_sel:WORD_1
	v_pk_mul_f16 v12, v29, v80 op_sel_hi:[0,1]
	v_pk_mul_f16 v13, v29, v79 op_sel_hi:[0,1]
	v_perm_b32 v17, v19, v40, s8
	v_mfma_f32_16x16x16f16 v[6:9], v[10:11], v[30:31], v[6:9]
	s_waitcnt lgkmcnt(2)
	v_perm_b32 v11, v84, v83, s8
	v_perm_b32 v10, v82, v71, s8
	;; [unrolled: 1-line block ×3, first 2 shown]
	s_add_i32 s6, 0, 0x60
	v_add3_u32 v15, 0, 64, v15
	v_mov_b32_e32 v18, s6
	v_mad_u32_u24 v18, v69, s9, v18
	s_nop 2
	v_cvt_f16_f32_e32 v6, v6
	v_cvt_f16_f32_e32 v7, v7
	;; [unrolled: 1-line block ×4, first 2 shown]
	v_cvt_f32_f16_e32 v6, v6
	v_cvt_f32_f16_e32 v7, v7
	;; [unrolled: 1-line block ×4, first 2 shown]
	v_add_u32_e32 v19, v18, v28
	v_add3_u32 v21, v18, v26, v68
	v_mfma_f32_16x16x16f16 v[6:9], v[10:11], v[44:45], v[6:9]
	v_cvt_f32_f16_e32 v10, v12
	v_cvt_f32_f16_sdwa v11, v12 dst_sel:DWORD dst_unused:UNUSED_PAD src0_sel:WORD_1
	v_cvt_f32_f16_e32 v12, v13
	v_cvt_f32_f16_sdwa v13, v13 dst_sel:DWORD dst_unused:UNUSED_PAD src0_sel:WORD_1
	v_add3_u32 v18, v18, v27, v68
	s_add_i32 s6, 0, 0x80
	v_mfma_f32_16x16x16f16 v[10:13], v[16:17], v[30:31], v[10:13]
	v_add_u32_e32 v16, v15, v28
	v_add3_u32 v17, v15, v26, v68
	v_add3_u32 v15, v15, v27, v68
	ds_read_u16 v16, v16 offset:8704
	ds_read_u16 v25, v17 offset:8976
	;; [unrolled: 1-line block ×8, first 2 shown]
	s_waitcnt lgkmcnt(4)
	v_perm_b32 v17, v15, v17, s8
	v_perm_b32 v16, v25, v16, s8
	v_pk_mul_f16 v15, v29, v73 op_sel_hi:[0,1]
	v_cvt_f16_f32_e32 v10, v10
	v_cvt_f16_f32_e32 v11, v11
	;; [unrolled: 1-line block ×4, first 2 shown]
	v_cvt_f32_f16_e32 v10, v10
	v_cvt_f32_f16_e32 v11, v11
	;; [unrolled: 1-line block ×4, first 2 shown]
	v_pk_mul_f16 v19, v29, v72 op_sel_hi:[0,1]
	v_perm_b32 v21, v20, v41, s8
	v_perm_b32 v20, v52, v58, s8
	v_mfma_f32_16x16x16f16 v[10:13], v[16:17], v[44:45], v[10:13]
	v_cvt_f32_f16_e32 v16, v15
	v_cvt_f32_f16_sdwa v17, v15 dst_sel:DWORD dst_unused:UNUSED_PAD src0_sel:WORD_1
	v_cvt_f32_f16_e32 v18, v19
	v_cvt_f32_f16_sdwa v19, v19 dst_sel:DWORD dst_unused:UNUSED_PAD src0_sel:WORD_1
	ds_read_u16 v52, v14 offset:160
	ds_read_u16 v57, v14 offset:192
	v_perm_b32 v25, v24, v42, s8
	v_perm_b32 v24, v53, v59, s8
	v_mfma_f32_16x16x16f16 v[14:17], v[20:21], v[30:31], v[16:19]
	s_waitcnt lgkmcnt(2)
	v_perm_b32 v21, v56, v51, s8
	v_perm_b32 v20, v50, v40, s8
	v_pk_mul_f16 v40, v29, v74 op_sel_hi:[0,1]
	s_nop 2
	v_pk_mul_f16 v19, v29, v76 op_sel_hi:[0,1]
	s_nop 2
	v_cvt_f16_f32_e32 v14, v14
	v_cvt_f16_f32_e32 v15, v15
	;; [unrolled: 1-line block ×4, first 2 shown]
	v_cvt_f32_f16_e32 v14, v14
	v_cvt_f32_f16_e32 v15, v15
	;; [unrolled: 1-line block ×5, first 2 shown]
	v_cvt_f32_f16_sdwa v19, v19 dst_sel:DWORD dst_unused:UNUSED_PAD src0_sel:WORD_1
	v_mfma_f32_16x16x16f16 v[14:17], v[20:21], v[44:45], v[14:17]
	v_cvt_f32_f16_e32 v20, v40
	v_cvt_f32_f16_sdwa v21, v40 dst_sel:DWORD dst_unused:UNUSED_PAD src0_sel:WORD_1
	v_add_f32_e32 v40, v46, v0
	v_cndmask_b32_e64 v0, v0, v40, s[16:17]
	v_add_f32_e32 v40, v0, v47
	v_cndmask_b32_e64 v0, v0, v40, s[12:13]
	v_add_f32_e32 v22, v0, v22
	v_mfma_f32_16x16x16f16 v[18:21], v[24:25], v[30:31], v[18:21]
	v_mov_b32_e32 v24, s6
	s_add_i32 s6, 0, 0xa0
	v_mov_b32_e32 v42, s6
	v_mad_u32_u24 v24, v69, s9, v24
	v_mad_u32_u24 v42, v69, s9, v42
	v_add_u32_e32 v25, v24, v28
	v_add3_u32 v41, v24, v26, v68
	s_nop 3
	v_cvt_f16_f32_e32 v18, v18
	v_cvt_f16_f32_e32 v19, v19
	;; [unrolled: 1-line block ×4, first 2 shown]
	v_add3_u32 v24, v24, v27, v68
	v_add_u32_e32 v46, v42, v28
	v_add3_u32 v47, v42, v26, v68
	v_add3_u32 v42, v42, v27, v68
	ds_read_u16 v50, v25 offset:8704
	ds_read_u16 v51, v41 offset:8976
	ds_read_u16 v25, v41 offset:9248
	ds_read_u16 v24, v24 offset:8704
	ds_read_u16 v46, v46 offset:8704
	ds_read_u16 v53, v47 offset:8976
	ds_read_u16 v47, v47 offset:9248
	ds_read_u16 v56, v42 offset:8704
	s_waitcnt lgkmcnt(4)
	v_perm_b32 v25, v24, v25, s8
	v_perm_b32 v24, v51, v50, s8
	v_cvt_f32_f16_e32 v18, v18
	v_cvt_f32_f16_e32 v19, v19
	;; [unrolled: 1-line block ×4, first 2 shown]
	v_pk_mul_f16 v41, v29, v78 op_sel_hi:[0,1]
	v_pk_mul_f16 v50, v29, v77 op_sel_hi:[0,1]
	v_mfma_f32_16x16x16f16 v[18:21], v[24:25], v[44:45], v[18:21]
	v_perm_b32 v25, v52, v43, s8
	v_perm_b32 v24, v54, v60, s8
	v_cvt_f32_f16_e32 v40, v41
	v_cvt_f32_f16_sdwa v41, v41 dst_sel:DWORD dst_unused:UNUSED_PAD src0_sel:WORD_1
	v_cvt_f32_f16_e32 v42, v50
	v_cvt_f32_f16_sdwa v43, v50 dst_sel:DWORD dst_unused:UNUSED_PAD src0_sel:WORD_1
	v_cndmask_b32_e64 v0, v0, v22, s[14:15]
	v_add_f32_e32 v50, v23, v0
	v_mfma_f32_16x16x16f16 v[22:25], v[24:25], v[30:31], v[40:43]
	v_cndmask_b32_e64 v0, v0, v50, s[10:11]
	v_add_f32_e32 v38, v38, v0
	v_cndmask_b32_e64 v0, v0, v38, s[20:21]
	s_add_i32 s6, 0, 0xc0
	s_waitcnt lgkmcnt(0)
	s_nop 1
	v_perm_b32 v41, v56, v47, s8
	v_perm_b32 v40, v53, v46, s8
	v_pk_mul_f16 v42, v29, v65 op_sel_hi:[0,1]
	s_nop 0
	v_cvt_f16_f32_e32 v22, v22
	v_cvt_f16_f32_e32 v23, v23
	;; [unrolled: 1-line block ×4, first 2 shown]
	v_cvt_f32_f16_e32 v22, v22
	v_cvt_f32_f16_e32 v23, v23
	;; [unrolled: 1-line block ×4, first 2 shown]
	v_pk_mul_f16 v43, v29, v64 op_sel_hi:[0,1]
	v_perm_b32 v47, v57, v48, s8
	v_perm_b32 v46, v55, v61, s8
	v_mfma_f32_16x16x16f16 v[22:25], v[40:41], v[44:45], v[22:25]
	v_cvt_f32_f16_e32 v40, v42
	v_cvt_f32_f16_sdwa v41, v42 dst_sel:DWORD dst_unused:UNUSED_PAD src0_sel:WORD_1
	v_cvt_f32_f16_e32 v42, v43
	v_cvt_f32_f16_sdwa v43, v43 dst_sel:DWORD dst_unused:UNUSED_PAD src0_sel:WORD_1
	v_add_f32_e32 v48, v39, v0
	v_cndmask_b32_e64 v0, v0, v48, s[4:5]
	v_add_f32_e32 v1, v1, v0
	v_mfma_f32_16x16x16f16 v[38:41], v[46:47], v[30:31], v[40:43]
	v_cndmask_b32_e32 v1, v0, v1, vcc
	v_fmac_f32_e32 v1, v81, v33
	v_cmp_gt_u32_e64 s[4:5], 16, v34
	s_nop 3
	v_mov_b32_e32 v42, s6
	s_add_i32 s6, 0, 0xe0
	s_nop 1
	v_cvt_f16_f32_e32 v38, v38
	v_cvt_f16_f32_e32 v39, v39
	;; [unrolled: 1-line block ×4, first 2 shown]
	v_mad_u32_u24 v42, v69, s9, v42
	v_mov_b32_e32 v47, s6
	v_add_u32_e32 v43, v42, v28
	v_add3_u32 v46, v42, v26, v68
	v_add3_u32 v42, v42, v27, v68
	v_mad_u32_u24 v47, v69, s9, v47
	v_add_u32_e32 v28, v47, v28
	v_add3_u32 v26, v47, v26, v68
	v_add3_u32 v27, v47, v27, v68
	ds_read_u16 v43, v43 offset:8704
	ds_read_u16 v47, v46 offset:8976
	;; [unrolled: 1-line block ×8, first 2 shown]
	s_waitcnt lgkmcnt(4)
	v_perm_b32 v27, v42, v46, s8
	v_perm_b32 v26, v47, v43, s8
	v_cvt_f32_f16_e32 v38, v38
	v_cvt_f32_f16_e32 v39, v39
	;; [unrolled: 1-line block ×4, first 2 shown]
	v_pk_mul_f16 v42, v29, v63 op_sel_hi:[0,1]
	v_pk_mul_f16 v46, v29, v62 op_sel_hi:[0,1]
	v_mfma_f32_16x16x16f16 v[26:29], v[26:27], v[44:45], v[38:41]
	v_perm_b32 v43, v85, v86, s8
	s_waitcnt lgkmcnt(0)
	s_barrier
	s_nop 3
	v_cvt_f32_f16_e32 v38, v42
	v_cvt_f32_f16_sdwa v39, v42 dst_sel:DWORD dst_unused:UNUSED_PAD src0_sel:WORD_1
	v_perm_b32 v42, v49, v70, s8
	v_cvt_f32_f16_e32 v40, v46
	v_cvt_f32_f16_sdwa v41, v46 dst_sel:DWORD dst_unused:UNUSED_PAD src0_sel:WORD_1
	s_nop 1
	v_mfma_f32_16x16x16f16 v[38:41], v[42:43], v[30:31], v[38:41]
	ds_bpermute_b32 v42, v32, v1
	s_nop 7
	s_nop 1
	v_cvt_f16_f32_e32 v30, v39
	v_cvt_f16_f32_e32 v31, v40
	;; [unrolled: 1-line block ×4, first 2 shown]
	v_cvt_f32_f16_e32 v39, v30
	v_cvt_f32_f16_e32 v40, v31
	v_perm_b32 v31, v53, v52, s8
	v_perm_b32 v30, v51, v50, s8
	v_cvt_f32_f16_e32 v38, v0
	v_cvt_f32_f16_e32 v41, v33
	s_waitcnt lgkmcnt(0)
	v_add_f32_e32 v0, v1, v42
	ds_bpermute_b32 v1, v37, v0
	v_mfma_f32_16x16x16f16 v[30:33], v[30:31], v[44:45], v[38:41]
	s_movk_i32 s8, 0x110
	s_and_saveexec_b64 s[6:7], s[4:5]
	s_cbranch_execz .LBB24_393
; %bb.392:
	s_waitcnt lgkmcnt(0)
	v_add_f32_e32 v0, v0, v1
	v_or_b32_e32 v1, v91, v34
	v_mad_u32_u24 v1, v1, s8, 0
	ds_write2_b32 v1, v36, v0 offset0:64 offset1:65
.LBB24_393:
	s_or_b64 exec, exec, s[6:7]
	v_cmp_eq_u32_e32 vcc, 0, v93
	v_cmp_eq_u32_e64 s[6:7], 1, v93
	s_waitcnt lgkmcnt(0)
	s_barrier
	s_and_saveexec_b64 s[8:9], s[6:7]
	s_xor_b64 s[6:7], exec, s[8:9]
	s_cbranch_execz .LBB24_395
; %bb.394:
	s_barrier
	s_waitcnt lgkmcnt(0)
                                        ; implicit-def: $vgpr92
                                        ; implicit-def: $vgpr37
.LBB24_395:
	s_andn2_saveexec_b64 s[8:9], s[6:7]
	s_cbranch_execz .LBB24_401
; %bb.396:
	v_and_or_b32 v1, v34, 31, v91
	s_movk_i32 s6, 0x110
	v_mad_u32_u24 v0, v1, s6, 0
	ds_read_b64 v[38:39], v0 offset:256
	s_mov_b32 s6, 0x3fb8aa3b
	s_mov_b32 s10, 0x42b17218
	s_waitcnt lgkmcnt(0)
	s_barrier
	ds_bpermute_b32 v0, v37, v38
	v_max_f32_e32 v36, v38, v38
	s_waitcnt lgkmcnt(0)
	v_max_f32_e32 v0, v0, v0
	v_max_f32_e32 v0, v36, v0
	v_sub_f32_e32 v36, v38, v0
	v_mul_f32_e32 v38, 0x3fb8aa3b, v36
	v_fma_f32 v40, v36, s6, -v38
	v_rndne_f32_e32 v41, v38
	v_fmac_f32_e32 v40, 0x32a5705f, v36
	v_sub_f32_e32 v38, v38, v41
	v_add_f32_e32 v38, v38, v40
	v_cvt_i32_f32_e32 v41, v41
	v_exp_f32_e32 v38, v38
	s_mov_b32 s6, 0xc2ce8ed0
	v_cmp_ngt_f32_e64 s[6:7], s6, v36
	v_mov_b32_e32 v40, 0x7f800000
	v_ldexp_f32 v38, v38, v41
	v_cndmask_b32_e64 v38, 0, v38, s[6:7]
	v_cmp_nlt_f32_e64 s[6:7], s10, v36
	v_cndmask_b32_e64 v36, v40, v38, s[6:7]
	v_mul_f32_e32 v38, v39, v36
	ds_bpermute_b32 v37, v37, v38
	v_cmp_gt_u32_e64 s[6:7], 32, v34
	s_waitcnt lgkmcnt(0)
	v_fmac_f32_e32 v37, v39, v36
	s_and_saveexec_b64 s[10:11], s[6:7]
	s_cbranch_execz .LBB24_398
; %bb.397:
	v_mul_u32_u24_e32 v1, 0x110, v1
	v_add_u32_e32 v1, 0, v1
	ds_write_b64 v1, v[36:37] offset:256
.LBB24_398:
	s_or_b64 exec, exec, s[10:11]
	s_and_saveexec_b64 s[6:7], s[4:5]
	s_cbranch_execz .LBB24_400
; %bb.399:
	s_add_i32 s4, s58, s60
	s_lshl_b32 s4, s4, 5
	s_mov_b32 s5, 0
	s_lshl_b64 s[4:5], s[4:5], 3
	s_add_u32 s4, s78, s4
	v_or_b32_e32 v1, v92, v34
	s_addc_u32 s5, s79, s5
	v_lshlrev_b32_e32 v36, 3, v1
	v_mov_b32_e32 v1, v37
	global_store_dwordx2 v36, v[0:1], s[4:5]
.LBB24_400:
	s_or_b64 exec, exec, s[6:7]
.LBB24_401:
	s_or_b64 exec, exec, s[8:9]
	v_cvt_f16_f32_e32 v0, v2
	v_cvt_f16_f32_e32 v1, v3
	v_cvt_f16_f32_e32 v2, v4
	v_cvt_f16_f32_e32 v3, v5
	v_cvt_f16_f32_e32 v4, v6
	v_cvt_f16_f32_e32 v5, v8
	v_cvt_f16_f32_e32 v6, v9
	v_cvt_f16_f32_e32 v7, v7
	v_pack_b32_f16 v2, v2, v3
	v_pack_b32_f16 v0, v0, v1
	v_pack_b32_f16 v1, v5, v6
	v_pack_b32_f16 v3, v4, v7
	v_cvt_f16_f32_e32 v4, v10
	v_cvt_f16_f32_e32 v5, v11
	v_cvt_f16_f32_e32 v6, v12
	v_cvt_f16_f32_e32 v7, v13
	v_cvt_f16_f32_e32 v8, v14
	v_cvt_f16_f32_e32 v9, v16
	v_cvt_f16_f32_e32 v10, v17
	v_cvt_f16_f32_e32 v11, v15
	v_pack_b32_f16 v6, v6, v7
	v_pack_b32_f16 v4, v4, v5
	v_pack_b32_f16 v5, v9, v10
	v_pack_b32_f16 v7, v8, v11
	;; [unrolled: 12-line block ×3, first 2 shown]
	v_cvt_f16_f32_e32 v14, v28
	v_cvt_f16_f32_e32 v15, v29
	v_cvt_f16_f32_e32 v16, v30
	v_cvt_f16_f32_e32 v19, v31
	v_cvt_f16_f32_e32 v12, v26
	v_cvt_f16_f32_e32 v13, v27
	v_cvt_f16_f32_e32 v17, v32
	v_cvt_f16_f32_e32 v18, v33
	v_pack_b32_f16 v14, v14, v15
	v_pack_b32_f16 v15, v16, v19
	v_or_b32_e32 v16, v91, v66
	s_movk_i32 s4, 0x44
	v_mad_u32_u24 v16, v16, s4, v67
	s_mov_b32 s7, 0
	v_lshl_add_u32 v16, v16, 2, 0
	v_pack_b32_f16 v12, v12, v13
	v_pack_b32_f16 v13, v17, v18
	ds_write2_b32 v16, v0, v2 offset1:1
	ds_write2_b32 v16, v3, v1 offset0:8 offset1:9
	ds_write2_b32 v16, v4, v6 offset0:16 offset1:17
	;; [unrolled: 1-line block ×7, first 2 shown]
	s_waitcnt lgkmcnt(0)
	s_barrier
	s_and_saveexec_b64 s[4:5], vcc
	s_cbranch_execz .LBB24_403
; %bb.402:
	s_lshl_b32 s6, s58, 6
	s_lshl_b64 s[8:9], s[6:7], 3
	s_add_u32 s8, s78, s8
	s_addc_u32 s9, s79, s9
	s_lshl_b32 s6, s60, 11
	s_lshl_b64 s[6:7], s[6:7], 3
	s_add_u32 s6, s8, s6
	v_bfe_u32 v8, v90, 1, 4
	s_movk_i32 s8, 0x3e0
	v_and_or_b32 v0, v90, s8, v8
	s_movk_i32 s8, 0x110
	v_mad_u32_u24 v2, v0, s8, 0
	v_add_u32_e32 v0, v2, v35
	ds_read2st64_b32 v[0:1], v0 offset1:17
	ds_read2st64_b32 v[2:3], v2 offset0:1 offset1:18
	v_lshrrev_b32_e32 v9, 1, v90
	s_addc_u32 s7, s9, s7
	s_movk_i32 s9, 0x7e0
	s_waitcnt lgkmcnt(1)
	v_cvt_f32_f16_e32 v4, v0
	v_cvt_f32_f16_sdwa v5, v0 dst_sel:DWORD dst_unused:UNUSED_PAD src0_sel:WORD_1
	v_cvt_f32_f16_e32 v0, v1
	v_cvt_f32_f16_sdwa v1, v1 dst_sel:DWORD dst_unused:UNUSED_PAD src0_sel:WORD_1
	v_lshlrev_b32_e32 v6, 5, v90
	s_waitcnt lgkmcnt(0)
	v_pk_fma_f32 v[4:5], v[2:3], v[4:5], 0 op_sel_hi:[0,1,0]
	v_mov_b32_e32 v2, v3
	v_pk_fma_f32 v[0:1], v[2:3], v[0:1], v[4:5] op_sel_hi:[0,1,1]
	v_add_u32_e32 v4, 2, v9
	v_lshlrev_b32_e32 v2, 1, v4
	v_and_b32_e32 v3, 15, v4
	v_and_or_b32 v2, v2, s9, v3
	v_mad_u32_u24 v5, v2, s8, 0
	v_add_u32_e32 v2, v5, v35
	ds_read2st64_b32 v[2:3], v2 offset1:17
	v_add_lshl_u32 v6, v6, v34, 3
	v_add_u32_e32 v11, 4, v9
	global_store_dwordx2 v6, v[0:1], s[6:7]
	v_lshlrev_b32_e32 v6, 1, v11
	v_and_b32_e32 v7, 15, v11
	v_and_or_b32 v6, v6, s9, v7
	v_lshlrev_b32_e32 v4, 6, v4
	ds_read2st64_b32 v[0:1], v5 offset0:1 offset1:18
	v_mad_u32_u24 v12, v6, s8, 0
	v_add_lshl_u32 v10, v4, v34, 3
	s_waitcnt lgkmcnt(1)
	v_cvt_f32_f16_e32 v4, v2
	v_cvt_f32_f16_sdwa v5, v2 dst_sel:DWORD dst_unused:UNUSED_PAD src0_sel:WORD_1
	v_add_u32_e32 v6, v12, v35
	v_cvt_f32_f16_e32 v2, v3
	v_cvt_f32_f16_sdwa v3, v3 dst_sel:DWORD dst_unused:UNUSED_PAD src0_sel:WORD_1
	ds_read2st64_b32 v[6:7], v6 offset1:17
	s_waitcnt lgkmcnt(1)
	v_pk_fma_f32 v[4:5], v[0:1], v[4:5], 0 op_sel_hi:[0,1,0]
	v_mov_b32_e32 v0, v1
	v_pk_fma_f32 v[0:1], v[0:1], v[2:3], v[4:5] op_sel_hi:[0,1,1]
	ds_read2st64_b32 v[2:3], v12 offset0:1 offset1:18
	s_waitcnt lgkmcnt(1)
	v_cvt_f32_f16_e32 v4, v6
	v_cvt_f32_f16_sdwa v5, v6 dst_sel:DWORD dst_unused:UNUSED_PAD src0_sel:WORD_1
	global_store_dwordx2 v10, v[0:1], s[6:7]
	v_lshlrev_b32_e32 v0, 6, v11
	v_add_lshl_u32 v10, v0, v34, 3
	s_waitcnt lgkmcnt(0)
	v_pk_fma_f32 v[0:1], v[2:3], v[4:5], 0 op_sel_hi:[0,1,0]
	v_mov_b32_e32 v2, v3
	v_add_u32_e32 v3, 6, v9
	v_cvt_f32_f16_e32 v4, v7
	v_cvt_f32_f16_sdwa v5, v7 dst_sel:DWORD dst_unused:UNUSED_PAD src0_sel:WORD_1
	v_lshlrev_b32_e32 v6, 1, v3
	v_and_b32_e32 v7, 15, v3
	v_and_or_b32 v6, v6, s9, v7
	v_mad_u32_u24 v11, v6, s8, 0
	v_add_u32_e32 v6, v11, v35
	ds_read2st64_b32 v[6:7], v6 offset1:17
	v_pk_fma_f32 v[0:1], v[2:3], v[4:5], v[0:1] op_sel_hi:[0,1,1]
	global_store_dwordx2 v10, v[0:1], s[6:7]
	ds_read2st64_b32 v[0:1], v11 offset0:1 offset1:18
	v_lshlrev_b32_e32 v10, 6, v3
	s_waitcnt lgkmcnt(1)
	v_cvt_f32_f16_e32 v2, v6
	v_cvt_f32_f16_sdwa v3, v6 dst_sel:DWORD dst_unused:UNUSED_PAD src0_sel:WORD_1
	v_cvt_f32_f16_e32 v4, v7
	v_cvt_f32_f16_sdwa v5, v7 dst_sel:DWORD dst_unused:UNUSED_PAD src0_sel:WORD_1
	v_add_lshl_u32 v6, v10, v34, 3
	s_waitcnt lgkmcnt(0)
	v_pk_fma_f32 v[2:3], v[0:1], v[2:3], 0 op_sel_hi:[0,1,0]
	v_mov_b32_e32 v0, v1
	v_pk_fma_f32 v[0:1], v[0:1], v[4:5], v[2:3] op_sel_hi:[0,1,1]
	v_add_u32_e32 v4, 8, v9
	v_lshlrev_b32_e32 v2, 1, v4
	v_and_b32_e32 v3, 15, v4
	v_and_or_b32 v2, v2, s9, v3
	v_mad_u32_u24 v5, v2, s8, 0
	v_add_u32_e32 v2, v5, v35
	ds_read2st64_b32 v[2:3], v2 offset1:17
	v_add_u32_e32 v11, 10, v9
	global_store_dwordx2 v6, v[0:1], s[6:7]
	v_lshlrev_b32_e32 v6, 1, v11
	v_and_b32_e32 v7, 15, v11
	v_and_or_b32 v6, v6, s9, v7
	v_lshlrev_b32_e32 v4, 6, v4
	ds_read2st64_b32 v[0:1], v5 offset0:1 offset1:18
	v_mad_u32_u24 v12, v6, s8, 0
	v_add_lshl_u32 v10, v4, v34, 3
	s_waitcnt lgkmcnt(1)
	v_cvt_f32_f16_e32 v4, v2
	v_cvt_f32_f16_sdwa v5, v2 dst_sel:DWORD dst_unused:UNUSED_PAD src0_sel:WORD_1
	v_add_u32_e32 v6, v12, v35
	v_cvt_f32_f16_e32 v2, v3
	v_cvt_f32_f16_sdwa v3, v3 dst_sel:DWORD dst_unused:UNUSED_PAD src0_sel:WORD_1
	ds_read2st64_b32 v[6:7], v6 offset1:17
	s_waitcnt lgkmcnt(1)
	v_pk_fma_f32 v[4:5], v[0:1], v[4:5], 0 op_sel_hi:[0,1,0]
	v_mov_b32_e32 v0, v1
	v_pk_fma_f32 v[0:1], v[0:1], v[2:3], v[4:5] op_sel_hi:[0,1,1]
	ds_read2st64_b32 v[2:3], v12 offset0:1 offset1:18
	s_waitcnt lgkmcnt(1)
	v_cvt_f32_f16_e32 v4, v6
	v_cvt_f32_f16_sdwa v5, v6 dst_sel:DWORD dst_unused:UNUSED_PAD src0_sel:WORD_1
	global_store_dwordx2 v10, v[0:1], s[6:7]
	v_lshlrev_b32_e32 v0, 6, v11
	v_add_lshl_u32 v10, v0, v34, 3
	s_waitcnt lgkmcnt(0)
	v_pk_fma_f32 v[0:1], v[2:3], v[4:5], 0 op_sel_hi:[0,1,0]
	v_mov_b32_e32 v2, v3
	v_add_u32_e32 v3, 12, v9
	v_cvt_f32_f16_e32 v4, v7
	v_cvt_f32_f16_sdwa v5, v7 dst_sel:DWORD dst_unused:UNUSED_PAD src0_sel:WORD_1
	v_lshlrev_b32_e32 v6, 1, v3
	v_and_b32_e32 v7, 15, v3
	v_and_or_b32 v6, v6, s9, v7
	v_mad_u32_u24 v11, v6, s8, 0
	v_add_u32_e32 v6, v11, v35
	ds_read2st64_b32 v[6:7], v6 offset1:17
	v_pk_fma_f32 v[0:1], v[2:3], v[4:5], v[0:1] op_sel_hi:[0,1,1]
	global_store_dwordx2 v10, v[0:1], s[6:7]
	ds_read2st64_b32 v[0:1], v11 offset0:1 offset1:18
	v_lshlrev_b32_e32 v10, 6, v3
	s_waitcnt lgkmcnt(1)
	v_cvt_f32_f16_e32 v2, v6
	v_cvt_f32_f16_sdwa v3, v6 dst_sel:DWORD dst_unused:UNUSED_PAD src0_sel:WORD_1
	v_cvt_f32_f16_e32 v4, v7
	v_cvt_f32_f16_sdwa v5, v7 dst_sel:DWORD dst_unused:UNUSED_PAD src0_sel:WORD_1
	v_add_lshl_u32 v6, v10, v34, 3
	s_waitcnt lgkmcnt(0)
	v_pk_fma_f32 v[2:3], v[0:1], v[2:3], 0 op_sel_hi:[0,1,0]
	v_mov_b32_e32 v0, v1
	v_pk_fma_f32 v[0:1], v[0:1], v[4:5], v[2:3] op_sel_hi:[0,1,1]
	v_add_u32_e32 v4, 14, v9
	v_lshlrev_b32_e32 v2, 1, v4
	v_and_b32_e32 v3, 15, v4
	v_and_or_b32 v2, v2, s9, v3
	v_mad_u32_u24 v5, v2, s8, 0
	v_add_u32_e32 v2, v5, v35
	ds_read2st64_b32 v[2:3], v2 offset1:17
	v_add_u32_e32 v11, 16, v9
	global_store_dwordx2 v6, v[0:1], s[6:7]
	v_lshlrev_b32_e32 v6, 1, v11
	v_and_or_b32 v6, v6, s9, v8
	v_lshlrev_b32_e32 v4, 6, v4
	ds_read2st64_b32 v[0:1], v5 offset0:1 offset1:18
	v_mad_u32_u24 v8, v6, s8, 0
	v_add_lshl_u32 v10, v4, v34, 3
	s_waitcnt lgkmcnt(1)
	v_cvt_f32_f16_e32 v4, v2
	v_cvt_f32_f16_sdwa v5, v2 dst_sel:DWORD dst_unused:UNUSED_PAD src0_sel:WORD_1
	v_add_u32_e32 v6, v8, v35
	v_cvt_f32_f16_e32 v2, v3
	v_cvt_f32_f16_sdwa v3, v3 dst_sel:DWORD dst_unused:UNUSED_PAD src0_sel:WORD_1
	ds_read2st64_b32 v[6:7], v6 offset1:17
	s_waitcnt lgkmcnt(1)
	v_pk_fma_f32 v[4:5], v[0:1], v[4:5], 0 op_sel_hi:[0,1,0]
	v_mov_b32_e32 v0, v1
	v_pk_fma_f32 v[0:1], v[0:1], v[2:3], v[4:5] op_sel_hi:[0,1,1]
	ds_read2st64_b32 v[2:3], v8 offset0:1 offset1:18
	s_waitcnt lgkmcnt(1)
	v_cvt_f32_f16_e32 v4, v6
	v_cvt_f32_f16_sdwa v5, v6 dst_sel:DWORD dst_unused:UNUSED_PAD src0_sel:WORD_1
	global_store_dwordx2 v10, v[0:1], s[6:7]
	v_lshlrev_b32_e32 v0, 6, v11
	v_add_lshl_u32 v8, v0, v34, 3
	s_waitcnt lgkmcnt(0)
	v_pk_fma_f32 v[0:1], v[2:3], v[4:5], 0 op_sel_hi:[0,1,0]
	v_mov_b32_e32 v2, v3
	v_add_u32_e32 v3, 18, v9
	v_cvt_f32_f16_e32 v4, v7
	v_cvt_f32_f16_sdwa v5, v7 dst_sel:DWORD dst_unused:UNUSED_PAD src0_sel:WORD_1
	v_lshlrev_b32_e32 v6, 1, v3
	v_and_b32_e32 v7, 15, v3
	v_and_or_b32 v6, v6, s9, v7
	v_mad_u32_u24 v10, v6, s8, 0
	v_add_u32_e32 v6, v10, v35
	ds_read2st64_b32 v[6:7], v6 offset1:17
	v_pk_fma_f32 v[0:1], v[2:3], v[4:5], v[0:1] op_sel_hi:[0,1,1]
	global_store_dwordx2 v8, v[0:1], s[6:7]
	ds_read2st64_b32 v[0:1], v10 offset0:1 offset1:18
	v_lshlrev_b32_e32 v8, 6, v3
	s_waitcnt lgkmcnt(1)
	v_cvt_f32_f16_e32 v2, v6
	v_cvt_f32_f16_sdwa v3, v6 dst_sel:DWORD dst_unused:UNUSED_PAD src0_sel:WORD_1
	v_cvt_f32_f16_e32 v4, v7
	v_cvt_f32_f16_sdwa v5, v7 dst_sel:DWORD dst_unused:UNUSED_PAD src0_sel:WORD_1
	v_add_lshl_u32 v6, v8, v34, 3
	s_waitcnt lgkmcnt(0)
	v_pk_fma_f32 v[2:3], v[0:1], v[2:3], 0 op_sel_hi:[0,1,0]
	v_mov_b32_e32 v0, v1
	v_pk_fma_f32 v[0:1], v[0:1], v[4:5], v[2:3] op_sel_hi:[0,1,1]
	v_add_u32_e32 v4, 20, v9
	v_lshlrev_b32_e32 v2, 1, v4
	v_and_b32_e32 v3, 15, v4
	v_and_or_b32 v2, v2, s9, v3
	v_mad_u32_u24 v5, v2, s8, 0
	v_add_u32_e32 v2, v5, v35
	ds_read2st64_b32 v[2:3], v2 offset1:17
	v_add_u32_e32 v10, 22, v9
	global_store_dwordx2 v6, v[0:1], s[6:7]
	v_lshlrev_b32_e32 v6, 1, v10
	v_and_b32_e32 v7, 15, v10
	v_and_or_b32 v6, v6, s9, v7
	v_lshlrev_b32_e32 v4, 6, v4
	ds_read2st64_b32 v[0:1], v5 offset0:1 offset1:18
	v_mad_u32_u24 v11, v6, s8, 0
	v_add_lshl_u32 v8, v4, v34, 3
	s_waitcnt lgkmcnt(1)
	v_cvt_f32_f16_e32 v4, v2
	v_cvt_f32_f16_sdwa v5, v2 dst_sel:DWORD dst_unused:UNUSED_PAD src0_sel:WORD_1
	v_add_u32_e32 v6, v11, v35
	v_cvt_f32_f16_e32 v2, v3
	v_cvt_f32_f16_sdwa v3, v3 dst_sel:DWORD dst_unused:UNUSED_PAD src0_sel:WORD_1
	ds_read2st64_b32 v[6:7], v6 offset1:17
	s_waitcnt lgkmcnt(1)
	v_pk_fma_f32 v[4:5], v[0:1], v[4:5], 0 op_sel_hi:[0,1,0]
	v_mov_b32_e32 v0, v1
	v_pk_fma_f32 v[0:1], v[0:1], v[2:3], v[4:5] op_sel_hi:[0,1,1]
	ds_read2st64_b32 v[2:3], v11 offset0:1 offset1:18
	s_waitcnt lgkmcnt(1)
	v_cvt_f32_f16_e32 v4, v6
	v_cvt_f32_f16_sdwa v5, v6 dst_sel:DWORD dst_unused:UNUSED_PAD src0_sel:WORD_1
	global_store_dwordx2 v8, v[0:1], s[6:7]
	v_lshlrev_b32_e32 v0, 6, v10
	v_add_lshl_u32 v8, v0, v34, 3
	s_waitcnt lgkmcnt(0)
	v_pk_fma_f32 v[0:1], v[2:3], v[4:5], 0 op_sel_hi:[0,1,0]
	v_mov_b32_e32 v2, v3
	v_add_u32_e32 v3, 24, v9
	v_cvt_f32_f16_e32 v4, v7
	v_cvt_f32_f16_sdwa v5, v7 dst_sel:DWORD dst_unused:UNUSED_PAD src0_sel:WORD_1
	v_lshlrev_b32_e32 v6, 1, v3
	v_and_b32_e32 v7, 15, v3
	v_and_or_b32 v6, v6, s9, v7
	v_mad_u32_u24 v10, v6, s8, 0
	v_add_u32_e32 v6, v10, v35
	ds_read2st64_b32 v[6:7], v6 offset1:17
	v_pk_fma_f32 v[0:1], v[2:3], v[4:5], v[0:1] op_sel_hi:[0,1,1]
	global_store_dwordx2 v8, v[0:1], s[6:7]
	ds_read2st64_b32 v[0:1], v10 offset0:1 offset1:18
	v_lshlrev_b32_e32 v8, 6, v3
	s_waitcnt lgkmcnt(1)
	v_cvt_f32_f16_e32 v2, v6
	v_cvt_f32_f16_sdwa v3, v6 dst_sel:DWORD dst_unused:UNUSED_PAD src0_sel:WORD_1
	v_cvt_f32_f16_e32 v4, v7
	v_cvt_f32_f16_sdwa v5, v7 dst_sel:DWORD dst_unused:UNUSED_PAD src0_sel:WORD_1
	v_add_lshl_u32 v6, v8, v34, 3
	s_waitcnt lgkmcnt(0)
	v_pk_fma_f32 v[2:3], v[0:1], v[2:3], 0 op_sel_hi:[0,1,0]
	v_mov_b32_e32 v0, v1
	v_pk_fma_f32 v[0:1], v[0:1], v[4:5], v[2:3] op_sel_hi:[0,1,1]
	v_add_u32_e32 v4, 26, v9
	v_lshlrev_b32_e32 v2, 1, v4
	v_and_b32_e32 v3, 15, v4
	v_and_or_b32 v2, v2, s9, v3
	v_mad_u32_u24 v5, v2, s8, 0
	v_add_u32_e32 v2, v5, v35
	ds_read2st64_b32 v[2:3], v2 offset1:17
	v_add_u32_e32 v10, 28, v9
	global_store_dwordx2 v6, v[0:1], s[6:7]
	v_lshlrev_b32_e32 v6, 1, v10
	v_and_b32_e32 v7, 15, v10
	v_and_or_b32 v6, v6, s9, v7
	v_lshlrev_b32_e32 v4, 6, v4
	ds_read2st64_b32 v[0:1], v5 offset0:1 offset1:18
	v_mad_u32_u24 v11, v6, s8, 0
	v_add_lshl_u32 v8, v4, v34, 3
	s_waitcnt lgkmcnt(1)
	v_cvt_f32_f16_e32 v4, v2
	v_cvt_f32_f16_sdwa v5, v2 dst_sel:DWORD dst_unused:UNUSED_PAD src0_sel:WORD_1
	v_add_u32_e32 v6, v11, v35
	v_cvt_f32_f16_e32 v2, v3
	v_cvt_f32_f16_sdwa v3, v3 dst_sel:DWORD dst_unused:UNUSED_PAD src0_sel:WORD_1
	ds_read2st64_b32 v[6:7], v6 offset1:17
	s_waitcnt lgkmcnt(1)
	v_pk_fma_f32 v[4:5], v[0:1], v[4:5], 0 op_sel_hi:[0,1,0]
	v_mov_b32_e32 v0, v1
	v_pk_fma_f32 v[0:1], v[0:1], v[2:3], v[4:5] op_sel_hi:[0,1,1]
	ds_read2st64_b32 v[2:3], v11 offset0:1 offset1:18
	s_waitcnt lgkmcnt(1)
	v_cvt_f32_f16_e32 v4, v6
	v_cvt_f32_f16_sdwa v5, v6 dst_sel:DWORD dst_unused:UNUSED_PAD src0_sel:WORD_1
	global_store_dwordx2 v8, v[0:1], s[6:7]
	v_lshlrev_b32_e32 v0, 6, v10
	v_add_lshl_u32 v8, v0, v34, 3
	s_waitcnt lgkmcnt(0)
	v_pk_fma_f32 v[0:1], v[2:3], v[4:5], 0 op_sel_hi:[0,1,0]
	v_mov_b32_e32 v2, v3
	v_add_u32_e32 v3, 30, v9
	v_cvt_f32_f16_e32 v4, v7
	v_cvt_f32_f16_sdwa v5, v7 dst_sel:DWORD dst_unused:UNUSED_PAD src0_sel:WORD_1
	v_lshlrev_b32_e32 v6, 1, v3
	v_and_b32_e32 v7, 15, v3
	v_and_or_b32 v6, v6, s9, v7
	v_mad_u32_u24 v9, v6, s8, 0
	v_add_u32_e32 v6, v9, v35
	ds_read2st64_b32 v[6:7], v6 offset1:17
	v_pk_fma_f32 v[0:1], v[2:3], v[4:5], v[0:1] op_sel_hi:[0,1,1]
	global_store_dwordx2 v8, v[0:1], s[6:7]
	ds_read2st64_b32 v[0:1], v9 offset0:1 offset1:18
	v_lshlrev_b32_e32 v8, 6, v3
	s_waitcnt lgkmcnt(1)
	v_cvt_f32_f16_e32 v2, v6
	v_cvt_f32_f16_sdwa v3, v6 dst_sel:DWORD dst_unused:UNUSED_PAD src0_sel:WORD_1
	v_cvt_f32_f16_e32 v4, v7
	v_cvt_f32_f16_sdwa v5, v7 dst_sel:DWORD dst_unused:UNUSED_PAD src0_sel:WORD_1
	v_add_lshl_u32 v6, v8, v34, 3
	s_waitcnt lgkmcnt(0)
	v_pk_fma_f32 v[2:3], v[0:1], v[2:3], 0 op_sel_hi:[0,1,0]
	v_mov_b32_e32 v0, v1
	v_pk_fma_f32 v[0:1], v[0:1], v[4:5], v[2:3] op_sel_hi:[0,1,1]
	global_store_dwordx2 v6, v[0:1], s[6:7]
.LBB24_403:
	s_or_b64 exec, exec, s[4:5]
	s_barrier
	s_endpgm
	.section	.rodata,"a",@progbits
	.p2align	6, 0x0
	.amdhsa_kernel _ZL18flash_attn_ext_f16ILi128ELi128ELi32ELi1ELb0ELb0EEvPKcS1_S1_S1_S1_PKiPfP15HIP_vector_typeIfLj2EEffffjfiS5_IjLj3EEiiiiiiiiiiiliiliiiiil
		.amdhsa_group_segment_fixed_size 0
		.amdhsa_private_segment_fixed_size 112
		.amdhsa_kernarg_size 464
		.amdhsa_user_sgpr_count 8
		.amdhsa_user_sgpr_private_segment_buffer 1
		.amdhsa_user_sgpr_dispatch_ptr 0
		.amdhsa_user_sgpr_queue_ptr 0
		.amdhsa_user_sgpr_kernarg_segment_ptr 1
		.amdhsa_user_sgpr_dispatch_id 0
		.amdhsa_user_sgpr_flat_scratch_init 1
		.amdhsa_user_sgpr_kernarg_preload_length 0
		.amdhsa_user_sgpr_kernarg_preload_offset 0
		.amdhsa_user_sgpr_private_segment_size 0
		.amdhsa_uses_dynamic_stack 0
		.amdhsa_system_sgpr_private_segment_wavefront_offset 1
		.amdhsa_system_sgpr_workgroup_id_x 1
		.amdhsa_system_sgpr_workgroup_id_y 0
		.amdhsa_system_sgpr_workgroup_id_z 0
		.amdhsa_system_sgpr_workgroup_info 0
		.amdhsa_system_vgpr_workitem_id 1
		.amdhsa_next_free_vgpr 256
		.amdhsa_next_free_sgpr 100
		.amdhsa_accum_offset 256
		.amdhsa_reserve_vcc 1
		.amdhsa_reserve_flat_scratch 1
		.amdhsa_float_round_mode_32 0
		.amdhsa_float_round_mode_16_64 0
		.amdhsa_float_denorm_mode_32 3
		.amdhsa_float_denorm_mode_16_64 3
		.amdhsa_dx10_clamp 1
		.amdhsa_ieee_mode 1
		.amdhsa_fp16_overflow 0
		.amdhsa_tg_split 0
		.amdhsa_exception_fp_ieee_invalid_op 0
		.amdhsa_exception_fp_denorm_src 0
		.amdhsa_exception_fp_ieee_div_zero 0
		.amdhsa_exception_fp_ieee_overflow 0
		.amdhsa_exception_fp_ieee_underflow 0
		.amdhsa_exception_fp_ieee_inexact 0
		.amdhsa_exception_int_div_zero 0
	.end_amdhsa_kernel
	.section	.text._ZL18flash_attn_ext_f16ILi128ELi128ELi32ELi1ELb0ELb0EEvPKcS1_S1_S1_S1_PKiPfP15HIP_vector_typeIfLj2EEffffjfiS5_IjLj3EEiiiiiiiiiiiliiliiiiil,"axG",@progbits,_ZL18flash_attn_ext_f16ILi128ELi128ELi32ELi1ELb0ELb0EEvPKcS1_S1_S1_S1_PKiPfP15HIP_vector_typeIfLj2EEffffjfiS5_IjLj3EEiiiiiiiiiiiliiliiiiil,comdat
.Lfunc_end24:
	.size	_ZL18flash_attn_ext_f16ILi128ELi128ELi32ELi1ELb0ELb0EEvPKcS1_S1_S1_S1_PKiPfP15HIP_vector_typeIfLj2EEffffjfiS5_IjLj3EEiiiiiiiiiiiliiliiiiil, .Lfunc_end24-_ZL18flash_attn_ext_f16ILi128ELi128ELi32ELi1ELb0ELb0EEvPKcS1_S1_S1_S1_PKiPfP15HIP_vector_typeIfLj2EEffffjfiS5_IjLj3EEiiiiiiiiiiiliiliiiiil
                                        ; -- End function
	.section	.AMDGPU.csdata,"",@progbits
; Kernel info:
; codeLenInByte = 58780
; NumSgprs: 106
; NumVgprs: 256
; NumAgprs: 0
; TotalNumVgprs: 256
; ScratchSize: 112
; MemoryBound: 0
; FloatMode: 240
; IeeeMode: 1
; LDSByteSize: 0 bytes/workgroup (compile time only)
; SGPRBlocks: 13
; VGPRBlocks: 31
; NumSGPRsForWavesPerEU: 106
; NumVGPRsForWavesPerEU: 256
; AccumOffset: 256
; Occupancy: 2
; WaveLimiterHint : 0
; COMPUTE_PGM_RSRC2:SCRATCH_EN: 1
; COMPUTE_PGM_RSRC2:USER_SGPR: 8
; COMPUTE_PGM_RSRC2:TRAP_HANDLER: 0
; COMPUTE_PGM_RSRC2:TGID_X_EN: 1
; COMPUTE_PGM_RSRC2:TGID_Y_EN: 0
; COMPUTE_PGM_RSRC2:TGID_Z_EN: 0
; COMPUTE_PGM_RSRC2:TIDIG_COMP_CNT: 1
; COMPUTE_PGM_RSRC3_GFX90A:ACCUM_OFFSET: 63
; COMPUTE_PGM_RSRC3_GFX90A:TG_SPLIT: 0
	.section	.text._ZL18flash_attn_ext_f16ILi128ELi128ELi32ELi1ELb1ELb0EEvPKcS1_S1_S1_S1_PKiPfP15HIP_vector_typeIfLj2EEffffjfiS5_IjLj3EEiiiiiiiiiiiliiliiiiil,"axG",@progbits,_ZL18flash_attn_ext_f16ILi128ELi128ELi32ELi1ELb1ELb0EEvPKcS1_S1_S1_S1_PKiPfP15HIP_vector_typeIfLj2EEffffjfiS5_IjLj3EEiiiiiiiiiiiliiliiiiil,comdat
	.globl	_ZL18flash_attn_ext_f16ILi128ELi128ELi32ELi1ELb1ELb0EEvPKcS1_S1_S1_S1_PKiPfP15HIP_vector_typeIfLj2EEffffjfiS5_IjLj3EEiiiiiiiiiiiliiliiiiil ; -- Begin function _ZL18flash_attn_ext_f16ILi128ELi128ELi32ELi1ELb1ELb0EEvPKcS1_S1_S1_S1_PKiPfP15HIP_vector_typeIfLj2EEffffjfiS5_IjLj3EEiiiiiiiiiiiliiliiiiil
	.p2align	8
	.type	_ZL18flash_attn_ext_f16ILi128ELi128ELi32ELi1ELb1ELb0EEvPKcS1_S1_S1_S1_PKiPfP15HIP_vector_typeIfLj2EEffffjfiS5_IjLj3EEiiiiiiiiiiiliiliiiiil,@function
_ZL18flash_attn_ext_f16ILi128ELi128ELi32ELi1ELb1ELb0EEvPKcS1_S1_S1_S1_PKiPfP15HIP_vector_typeIfLj2EEffffjfiS5_IjLj3EEiiiiiiiiiiiliiliiiiil: ; @_ZL18flash_attn_ext_f16ILi128ELi128ELi32ELi1ELb1ELb0EEvPKcS1_S1_S1_S1_PKiPfP15HIP_vector_typeIfLj2EEffffjfiS5_IjLj3EEiiiiiiiiiiiliiliiiiil
; %bb.0:
	s_load_dwordx2 s[14:15], s[4:5], 0x80
	s_load_dwordx4 s[84:87], s[4:5], 0x64
	s_add_u32 flat_scratch_lo, s6, s9
	s_addc_u32 flat_scratch_hi, s7, 0
	s_add_u32 s0, s0, s9
	s_addc_u32 s1, s1, 0
	s_waitcnt lgkmcnt(0)
	s_abs_i32 s6, s15
	v_cvt_f32_u32_e32 v1, s6
	s_sub_i32 s10, 0, s6
	s_abs_i32 s9, s85
	s_xor_b32 s7, s85, s15
	v_rcp_iflag_f32_e32 v1, v1
	s_ashr_i32 s7, s7, 31
                                        ; implicit-def: $vgpr254 : SGPR spill to VGPR lane
	s_load_dword s69, s[4:5], 0xd0
	s_mov_b32 s68, s8
	v_mul_f32_e32 v1, 0x4f7ffffe, v1
	v_cvt_u32_f32_e32 v1, v1
	s_mov_b32 s8, 0
	s_waitcnt lgkmcnt(0)
	v_cvt_f32_u32_e32 v2, s69
	v_cvt_f32_ubyte0_e32 v3, 0
	v_readfirstlane_b32 s11, v1
	s_mul_i32 s10, s10, s11
	s_mul_hi_u32 s10, s11, s10
	s_add_i32 s11, s11, s10
	s_mul_hi_u32 s10, s9, s11
	s_mul_i32 s11, s10, s6
	s_sub_i32 s9, s9, s11
	s_add_i32 s12, s10, 1
	s_sub_i32 s11, s9, s6
	s_cmp_ge_u32 s9, s6
	s_cselect_b32 s10, s12, s10
	s_cselect_b32 s9, s11, s9
	s_add_i32 s11, s10, 1
	s_cmp_ge_u32 s9, s6
	s_cselect_b32 s6, s11, s10
	s_add_i32 s9, s14, 63
	s_xor_b32 s6, s6, s7
	s_ashr_i32 s10, s9, 31
	s_sub_i32 s7, s6, s7
	s_lshr_b32 s6, s10, 26
	s_add_i32 s9, s9, s6
	s_add_i32 s6, s84, 31
	s_lshr_b32 s6, s6, 5
	s_ashr_i32 s9, s9, 6
	v_writelane_b32 v254, s6, 0
	v_writelane_b32 v254, s9, 1
	s_mul_i32 s6, s6, s9
	v_writelane_b32 v254, s7, 2
	v_writelane_b32 v254, s6, 3
	s_mul_i32 s7, s6, s7
	s_mov_b32 s6, s14
	v_writelane_b32 v254, s6, 4
	v_writelane_b32 v254, s7, 5
	s_mul_i32 s6, s7, s15
	s_mul_i32 s10, s6, s86
	v_writelane_b32 v254, s7, 6
	s_ashr_i32 s11, s10, 31
	v_writelane_b32 v254, s6, 7
	s_mul_i32 s6, s11, s68
	s_mul_hi_u32 s7, s10, s68
	s_add_i32 s9, s7, s6
	s_mul_i32 s12, s10, s68
	s_cmp_lg_u64 s[8:9], 0
	s_cbranch_scc0 .LBB25_2
; %bb.1:
	v_madmk_f32 v1, v3, 0x4f800000, v2
	v_rcp_f32_e32 v1, v1
	s_sub_u32 s8, 0, s69
	s_subb_u32 s13, 0, 0
	s_mov_b64 s[6:7], 0
	v_mul_f32_e32 v1, 0x5f7ffffc, v1
	v_mul_f32_e32 v4, 0x2f800000, v1
	v_trunc_f32_e32 v4, v4
	v_madmk_f32 v1, v4, 0xcf800000, v1
	v_cvt_u32_f32_e32 v4, v4
	v_cvt_u32_f32_e32 v1, v1
	v_readfirstlane_b32 s14, v4
	v_readfirstlane_b32 s15, v1
	s_mul_hi_u32 s17, s8, s15
	s_mul_i32 s18, s8, s14
	s_mul_i32 s16, s13, s15
	s_add_i32 s17, s17, s18
	s_add_i32 s17, s17, s16
	s_mul_i32 s19, s8, s15
	s_mul_hi_u32 s16, s15, s17
	s_mul_i32 s18, s15, s17
	s_mul_hi_u32 s15, s15, s19
	s_add_u32 s15, s15, s18
	s_addc_u32 s16, 0, s16
	s_mul_hi_u32 s20, s14, s19
	s_mul_i32 s19, s14, s19
	s_add_u32 s15, s15, s19
	s_mul_hi_u32 s18, s14, s17
	s_addc_u32 s15, s16, s20
	s_addc_u32 s16, s18, 0
	s_mul_i32 s17, s14, s17
	s_add_u32 s15, s15, s17
	s_addc_u32 s16, 0, s16
	v_add_co_u32_e32 v1, vcc, s15, v1
	s_cmp_lg_u64 vcc, 0
	s_addc_u32 s14, s14, s16
	v_readfirstlane_b32 s16, v1
	s_mul_i32 s15, s8, s14
	s_mul_hi_u32 s17, s8, s16
	s_add_i32 s15, s17, s15
	s_mul_i32 s13, s13, s16
	s_add_i32 s15, s15, s13
	s_mul_i32 s8, s8, s16
	s_mul_hi_u32 s17, s14, s8
	s_mul_i32 s18, s14, s8
	s_mul_i32 s20, s16, s15
	s_mul_hi_u32 s8, s16, s8
	s_mul_hi_u32 s19, s16, s15
	s_add_u32 s8, s8, s20
	s_addc_u32 s16, 0, s19
	s_add_u32 s8, s8, s18
	s_mul_hi_u32 s13, s14, s15
	s_addc_u32 s8, s16, s17
	s_addc_u32 s13, s13, 0
	s_mul_i32 s15, s14, s15
	s_add_u32 s8, s8, s15
	s_addc_u32 s13, 0, s13
	v_add_co_u32_e32 v1, vcc, s8, v1
	s_cmp_lg_u64 vcc, 0
	s_addc_u32 s13, s14, s13
	s_ashr_i32 s14, s9, 31
	s_add_u32 s8, s12, s14
	s_mov_b32 s15, s14
	s_addc_u32 s9, s9, s14
	s_xor_b64 s[8:9], s[8:9], s[14:15]
	v_readfirstlane_b32 s18, v1
	s_mul_i32 s17, s8, s13
	s_mul_hi_u32 s19, s8, s18
	s_mul_hi_u32 s16, s8, s13
	s_add_u32 s17, s19, s17
	s_addc_u32 s16, 0, s16
	s_mul_hi_u32 s20, s9, s18
	s_mul_i32 s18, s9, s18
	s_add_u32 s17, s17, s18
	s_mul_hi_u32 s19, s9, s13
	s_addc_u32 s16, s16, s20
	s_addc_u32 s17, s19, 0
	s_mul_i32 s13, s9, s13
	s_add_u32 s13, s16, s13
	s_addc_u32 s16, 0, s17
	s_add_u32 s17, s13, 1
	s_addc_u32 s18, s16, 0
	s_add_u32 s19, s13, 2
	s_mul_i32 s21, s69, s16
	s_mul_hi_u32 s22, s69, s13
	s_addc_u32 s20, s16, 0
	s_add_i32 s22, s22, s21
	s_mul_i32 s21, s69, s13
	v_mov_b32_e32 v1, s21
	v_sub_co_u32_e32 v1, vcc, s8, v1
	s_cmp_lg_u64 vcc, 0
	s_subb_u32 s8, s9, s22
	v_subrev_co_u32_e32 v4, vcc, s69, v1
	s_cmp_lg_u64 vcc, 0
	s_subb_u32 s9, s8, 0
	v_readfirstlane_b32 s21, v4
	s_cmp_ge_u32 s21, s69
	s_cselect_b32 s21, -1, 0
	s_cmp_eq_u32 s9, 0
	s_cselect_b32 s9, s21, -1
	s_cmp_lg_u32 s9, 0
	s_cselect_b32 s9, s20, s18
	v_readfirstlane_b32 s18, v1
	s_cselect_b32 s17, s19, s17
	s_cmp_ge_u32 s18, s69
	s_cselect_b32 s18, -1, 0
	s_cmp_eq_u32 s8, 0
	s_cselect_b32 s8, s18, -1
	s_cmp_lg_u32 s8, 0
	s_cselect_b32 s9, s9, s16
	s_cselect_b32 s8, s17, s13
	s_xor_b64 s[8:9], s[8:9], s[14:15]
	s_sub_u32 s98, s8, s14
	s_branch .LBB25_3
.LBB25_2:
	s_mov_b64 s[6:7], -1
                                        ; implicit-def: $sgpr98_sgpr99
.LBB25_3:
	s_load_dwordx2 s[8:9], s[4:5], 0x74
	v_cvt_f32_u32_e32 v1, s69
	s_andn2_b64 vcc, exec, s[6:7]
	s_waitcnt lgkmcnt(0)
	v_writelane_b32 v254, s8, 8
	v_writelane_b32 v254, s9, 9
	s_cbranch_vccnz .LBB25_5
; %bb.4:
	v_rcp_iflag_f32_e32 v4, v1
	s_sub_i32 s6, 0, s69
	v_mul_f32_e32 v4, 0x4f7ffffe, v4
	v_cvt_u32_f32_e32 v4, v4
	v_readfirstlane_b32 s7, v4
	s_mul_i32 s6, s6, s7
	s_mul_hi_u32 s6, s7, s6
	s_add_i32 s7, s7, s6
	s_mul_hi_u32 s6, s12, s7
	s_mul_i32 s8, s6, s69
	s_sub_i32 s8, s12, s8
	s_add_i32 s7, s6, 1
	s_sub_i32 s9, s8, s69
	s_cmp_ge_u32 s8, s69
	s_cselect_b32 s6, s7, s6
	s_cselect_b32 s8, s9, s8
	s_add_i32 s7, s6, 1
	s_cmp_ge_u32 s8, s69
	s_cselect_b32 s98, s7, s6
.LBB25_5:
	s_add_i32 s6, s68, 1
	s_mul_i32 s7, s11, s6
	s_mul_hi_u32 s8, s10, s6
	s_add_i32 s9, s8, s7
	s_mov_b32 s8, 0
	s_cmp_lg_u64 s[8:9], 0
	s_mul_i32 s8, s10, s6
	s_cbranch_scc0 .LBB25_7
; %bb.6:
	v_madmk_f32 v2, v3, 0x4f800000, v2
	v_rcp_f32_e32 v2, v2
	s_sub_u32 s10, 0, s69
	s_subb_u32 s11, 0, 0
	s_mov_b64 s[6:7], 0
	v_mul_f32_e32 v2, 0x5f7ffffc, v2
	v_mul_f32_e32 v3, 0x2f800000, v2
	v_trunc_f32_e32 v3, v3
	v_madmk_f32 v2, v3, 0xcf800000, v2
	v_cvt_u32_f32_e32 v3, v3
	v_cvt_u32_f32_e32 v2, v2
	v_readfirstlane_b32 s12, v3
	v_readfirstlane_b32 s13, v2
	s_mul_hi_u32 s15, s10, s13
	s_mul_i32 s16, s10, s12
	s_mul_i32 s14, s11, s13
	s_add_i32 s15, s15, s16
	s_add_i32 s15, s15, s14
	s_mul_i32 s17, s10, s13
	s_mul_hi_u32 s14, s13, s15
	s_mul_i32 s16, s13, s15
	s_mul_hi_u32 s13, s13, s17
	s_add_u32 s13, s13, s16
	s_addc_u32 s14, 0, s14
	s_mul_hi_u32 s18, s12, s17
	s_mul_i32 s17, s12, s17
	s_add_u32 s13, s13, s17
	s_mul_hi_u32 s16, s12, s15
	s_addc_u32 s13, s14, s18
	s_addc_u32 s14, s16, 0
	s_mul_i32 s15, s12, s15
	s_add_u32 s13, s13, s15
	s_addc_u32 s14, 0, s14
	v_add_co_u32_e32 v2, vcc, s13, v2
	s_cmp_lg_u64 vcc, 0
	s_addc_u32 s12, s12, s14
	v_readfirstlane_b32 s14, v2
	s_mul_i32 s13, s10, s12
	s_mul_hi_u32 s15, s10, s14
	s_add_i32 s13, s15, s13
	s_mul_i32 s11, s11, s14
	s_add_i32 s13, s13, s11
	s_mul_i32 s10, s10, s14
	s_mul_hi_u32 s15, s12, s10
	s_mul_i32 s16, s12, s10
	s_mul_i32 s18, s14, s13
	s_mul_hi_u32 s10, s14, s10
	s_mul_hi_u32 s17, s14, s13
	s_add_u32 s10, s10, s18
	s_addc_u32 s14, 0, s17
	s_add_u32 s10, s10, s16
	s_mul_hi_u32 s11, s12, s13
	s_addc_u32 s10, s14, s15
	s_addc_u32 s11, s11, 0
	s_mul_i32 s13, s12, s13
	s_add_u32 s10, s10, s13
	s_addc_u32 s11, 0, s11
	v_add_co_u32_e32 v2, vcc, s10, v2
	s_cmp_lg_u64 vcc, 0
	s_addc_u32 s14, s12, s11
	s_ashr_i32 s10, s9, 31
	s_add_u32 s12, s8, s10
	s_mov_b32 s11, s10
	s_addc_u32 s13, s9, s10
	s_xor_b64 s[12:13], s[12:13], s[10:11]
	v_readfirstlane_b32 s16, v2
	s_mul_i32 s15, s12, s14
	s_mul_hi_u32 s17, s12, s16
	s_mul_hi_u32 s9, s12, s14
	s_add_u32 s15, s17, s15
	s_addc_u32 s9, 0, s9
	s_mul_hi_u32 s18, s13, s16
	s_mul_i32 s16, s13, s16
	s_add_u32 s15, s15, s16
	s_mul_hi_u32 s17, s13, s14
	s_addc_u32 s9, s9, s18
	s_addc_u32 s15, s17, 0
	s_mul_i32 s14, s13, s14
	s_add_u32 s9, s9, s14
	s_addc_u32 s14, 0, s15
	s_add_u32 s15, s9, 1
	s_addc_u32 s16, s14, 0
	s_add_u32 s17, s9, 2
	s_mul_i32 s19, s69, s14
	s_mul_hi_u32 s20, s69, s9
	s_addc_u32 s18, s14, 0
	s_add_i32 s20, s20, s19
	s_mul_i32 s19, s69, s9
	v_mov_b32_e32 v2, s19
	v_sub_co_u32_e32 v2, vcc, s12, v2
	s_cmp_lg_u64 vcc, 0
	s_subb_u32 s12, s13, s20
	v_subrev_co_u32_e32 v3, vcc, s69, v2
	s_cmp_lg_u64 vcc, 0
	s_subb_u32 s13, s12, 0
	v_readfirstlane_b32 s19, v3
	s_cmp_ge_u32 s19, s69
	s_cselect_b32 s19, -1, 0
	s_cmp_eq_u32 s13, 0
	s_cselect_b32 s13, s19, -1
	s_cmp_lg_u32 s13, 0
	s_cselect_b32 s13, s18, s16
	v_readfirstlane_b32 s16, v2
	s_cselect_b32 s15, s17, s15
	s_cmp_ge_u32 s16, s69
	s_cselect_b32 s16, -1, 0
	s_cmp_eq_u32 s12, 0
	s_cselect_b32 s12, s16, -1
	s_cmp_lg_u32 s12, 0
	s_cselect_b32 s13, s13, s14
	s_cselect_b32 s12, s15, s9
	s_xor_b64 s[12:13], s[12:13], s[10:11]
	s_sub_u32 s10, s12, s10
	v_writelane_b32 v254, s10, 12
	v_writelane_b32 v254, s11, 13
	s_branch .LBB25_8
.LBB25_7:
	s_mov_b64 s[6:7], -1
                                        ; implicit-def: $sgpr10_sgpr11
                                        ; kill: killed $sgpr10_sgpr11
.LBB25_8:
	s_load_dwordx2 s[10:11], s[4:5], 0x5c
	s_andn2_b64 vcc, exec, s[6:7]
	s_waitcnt lgkmcnt(0)
	v_writelane_b32 v254, s10, 10
	v_writelane_b32 v254, s11, 11
	s_cbranch_vccnz .LBB25_10
; %bb.9:
	v_rcp_iflag_f32_e32 v1, v1
	s_sub_i32 s6, 0, s69
	v_mul_f32_e32 v1, 0x4f7ffffe, v1
	v_cvt_u32_f32_e32 v1, v1
	v_readfirstlane_b32 s7, v1
	s_mul_i32 s6, s6, s7
	s_mul_hi_u32 s6, s7, s6
	s_add_i32 s7, s7, s6
	s_mul_hi_u32 s6, s8, s7
	s_mul_i32 s9, s6, s69
	s_sub_i32 s8, s8, s9
	s_add_i32 s7, s6, 1
	s_sub_i32 s9, s8, s69
	s_cmp_ge_u32 s8, s69
	s_cselect_b32 s6, s7, s6
	s_cselect_b32 s8, s9, s8
	s_add_i32 s7, s6, 1
	s_cmp_ge_u32 s8, s69
	s_cselect_b32 s6, s7, s6
	v_writelane_b32 v254, s6, 12
	v_writelane_b32 v254, s7, 13
.LBB25_10:
	s_load_dwordx16 s[52:67], s[4:5], 0x0
	s_load_dwordx4 s[36:39], s[4:5], 0x40
	s_load_dwordx2 s[96:97], s[4:5], 0x50
	s_load_dwordx2 s[6:7], s[4:5], 0x8c
	s_load_dwordx4 s[8:11], s[4:5], 0x98
	s_load_dwordx2 s[12:13], s[4:5], 0xa8
	s_load_dwordx2 s[40:41], s[4:5], 0xb8
	s_nop 0
	s_load_dwordx2 s[4:5], s[4:5], 0xc8
	v_bfe_u32 v96, v0, 10, 10
	s_waitcnt lgkmcnt(0)
	s_ashr_i32 s86, s6, 2
	s_ashr_i32 s80, s10, 2
	v_writelane_b32 v254, s12, 14
	v_writelane_b32 v254, s13, 15
	;; [unrolled: 1-line block ×4, first 2 shown]
	v_readlane_b32 s12, v254, 1
	s_abs_i32 s33, s12
	v_cvt_f32_u32_e32 v1, s33
	s_ashr_i32 s4, s87, 3
	v_writelane_b32 v254, s4, 18
	s_mov_b32 s5, s7
	v_rcp_iflag_f32_e32 v1, v1
	v_writelane_b32 v254, s4, 19
	v_writelane_b32 v254, s5, 20
	s_mov_b64 s[4:5], s[8:9]
	v_mul_f32_e32 v1, 0x4f7ffffe, v1
	s_mov_b32 s7, s11
	v_cvt_u32_f32_e32 v1, v1
	v_writelane_b32 v254, s4, 21
	v_writelane_b32 v254, s5, 22
	;; [unrolled: 1-line block ×4, first 2 shown]
	s_sub_i32 s6, 0, s33
	v_readfirstlane_b32 s7, v1
	s_mul_i32 s6, s6, s7
	s_ashr_i32 s5, s12, 31
	s_mul_hi_u32 s6, s7, s6
	v_writelane_b32 v254, s5, 25
	s_abs_i32 s5, s98
	s_add_i32 s47, s7, s6
	s_mul_hi_u32 s6, s5, s47
	s_mul_i32 s6, s6, s33
	s_sub_i32 s5, s5, s6
	s_ashr_i32 s90, s41, 1
	s_ashr_i32 s4, s98, 31
	s_sub_i32 s6, s5, s33
	s_cmp_ge_u32 s5, s33
	s_cselect_b32 s5, s6, s5
	s_sub_i32 s6, s5, s33
	s_cmp_ge_u32 s5, s33
	s_cselect_b32 s5, s6, s5
	s_xor_b32 s5, s5, s4
	s_sub_i32 s48, s5, s4
	v_readlane_b32 s4, v254, 12
	s_mov_b32 s8, s4
	s_sub_i32 s4, s4, s98
	s_add_i32 s6, s4, s48
	s_min_i32 s79, s12, s6
	s_cmp_gt_i32 s8, s98
	v_readlane_b32 s5, v254, 13
	s_cselect_b64 s[30:31], -1, 0
	s_cmp_le_i32 s8, s98
	s_cselect_b64 s[4:5], -1, 0
	s_cmp_gt_i32 s12, s6
	s_cselect_b64 s[6:7], -1, 0
	s_or_b64 s[4:5], s[6:7], s[4:5]
	s_and_b64 vcc, exec, s[4:5]
	s_mov_b64 s[4:5], s[52:53]
	s_mov_b64 s[6:7], s[54:55]
	;; [unrolled: 1-line block ×8, first 2 shown]
	v_writelane_b32 v254, s52, 26
	v_writelane_b32 v254, s53, 27
	;; [unrolled: 1-line block ×11, first 2 shown]
	v_cvt_f16_f32_e32 v1, s36
	v_writelane_b32 v254, s63, 37
	v_writelane_b32 v254, s64, 38
	;; [unrolled: 1-line block ×4, first 2 shown]
	s_mov_b32 s95, 0
	v_pack_b32_f16 v100, v1, v1
	v_lshlrev_b32_e32 v98, 3, v96
	v_add_u32_e32 v107, 4, v96
	v_add_u32_e32 v106, 8, v96
	;; [unrolled: 1-line block ×7, first 2 shown]
	v_lshlrev_b32_e32 v97, 4, v96
	v_and_b32_e32 v99, 1, v96
	v_writelane_b32 v254, s67, 41
	s_cbranch_vccz .LBB25_13
; %bb.11:
	s_andn2_b64 vcc, exec, s[30:31]
	s_cbranch_vccz .LBB25_453
.LBB25_12:
	s_endpgm
.LBB25_13:
	s_mov_b64 s[66:67], s[18:19]
	s_mov_b64 s[58:59], s[10:11]
	s_cmp_lg_u64 s[58:59], 0
	v_writelane_b32 v254, s69, 42
	s_mov_b64 s[64:65], s[16:17]
	s_mov_b64 s[62:63], s[14:15]
	;; [unrolled: 1-line block ×6, first 2 shown]
	s_cselect_b64 s[4:5], -1, 0
	v_writelane_b32 v254, s4, 43
	v_writelane_b32 v254, s5, 44
	s_mul_i32 s4, s84, s85
	s_cmp_eq_u64 s[60:61], 0
	v_writelane_b32 v254, s4, 45
	s_cselect_b64 s[4:5], -1, 0
	v_writelane_b32 v254, s4, 46
	v_and_b32_e32 v34, 0x3ff, v0
	v_writelane_b32 v254, s5, 47
	s_mov_b64 s[6:7], s[38:39]
	s_mov_b32 s5, s37
	v_lshrrev_b32_e32 v3, 3, v34
	v_writelane_b32 v254, s4, 48
	v_and_b32_e32 v1, 15, v34
	v_and_b32_e32 v18, 30, v3
	v_writelane_b32 v254, s5, 49
	v_mul_u32_u24_e32 v2, 0x110, v1
	v_lshlrev_b32_e32 v3, 2, v18
	v_writelane_b32 v254, s6, 50
	v_add3_u32 v109, 0, v2, v3
	v_mul_u32_u24_e32 v2, 0x90, v96
	v_lshlrev_b32_e32 v36, 1, v34
	v_writelane_b32 v254, s7, 51
	v_cmp_nle_f32_e64 s[4:5], s37, 0
	v_add3_u32 v111, 0, v2, v36
	v_lshrrev_b32_e32 v2, 4, v34
	v_writelane_b32 v254, s4, 52
	s_cmp_lg_u64 s[62:63], 0
	v_lshl_add_u32 v119, v96, 2, v2
	v_writelane_b32 v254, s5, 53
	s_cselect_b64 s[4:5], -1, 0
	v_lshlrev_b32_e32 v3, 2, v34
	v_mul_lo_u32 v6, s86, v119
	s_lshl_b32 s9, s86, 4
	v_and_b32_e32 v38, 60, v3
	v_add_u32_e32 v8, s9, v6
	v_writelane_b32 v254, s4, 54
	v_mul_u32_u24_e32 v2, 0x110, v119
	v_lshlrev_b32_e32 v3, 2, v38
	v_add_u32_e32 v4, s9, v8
	v_writelane_b32 v254, s5, 55
	v_and_b32_e32 v10, 0x7f0, v98
	s_movk_i32 s4, 0x110
	v_add3_u32 v120, 0, v2, v3
	v_add_u32_e32 v2, s9, v4
	s_add_i32 s9, 0, 0x60
	v_mad_u32_u24 v110, v10, s4, v109
	s_movk_i32 s8, 0x90
	v_lshrrev_b32_e32 v19, 2, v34
	v_or_b32_e32 v10, v10, v1
	v_mov_b32_e32 v28, s9
	s_add_i32 s9, 0, 0x80
	v_and_b32_e32 v11, 16, v97
	v_and_b32_e32 v20, 60, v19
	v_mad_u32_u24 v10, v10, s8, 0
	v_mul_lo_u32 v14, s80, v119
	s_lshl_b32 s8, s80, 4
	v_mov_b32_e32 v30, s9
	s_add_i32 s9, 0, 0xa0
	v_mul_u32_u24_e32 v127, 0x110, v11
	v_add_u32_e32 v128, v11, v20
	v_add_u16_e32 v11, v11, v20
	v_add_u32_e32 v16, s8, v14
	v_mov_b32_e32 v32, s9
	s_add_i32 s9, 0, 0xc0
	v_lshrrev_b16_e32 v11, 1, v11
	v_add_u32_e32 v130, 32, v128
	v_add_u32_e32 v132, 34, v128
	;; [unrolled: 1-line block ×3, first 2 shown]
	v_mov_b32_e32 v35, s9
	s_add_i32 s9, 0, 0xe0
	v_lshl_add_u32 v129, v11, 2, v10
	v_lshl_add_u32 v131, v130, 1, v10
	;; [unrolled: 1-line block ×3, first 2 shown]
	v_add_u32_e32 v10, s8, v12
	v_and_b32_e32 v21, 8, v98
	s_movk_i32 s8, 0x220
	v_mov_b32_e32 v39, s9
	v_mul_u32_u24_e32 v22, 0x220, v21
	v_mad_u32_u24 v23, v21, s8, 0
	v_mad_u32_u24 v28, v21, s8, v28
	;; [unrolled: 1-line block ×6, first 2 shown]
	v_cmp_eq_u32_e64 s[8:9], 0, v99
	v_add3_u32 v25, 0, 32, v22
	v_add3_u32 v22, 0, 64, v22
	v_writelane_b32 v254, s8, 56
	v_lshlrev_b32_e32 v24, 1, v1
	v_add_u32_e32 v26, 0x2200, v25
	v_add_u32_e32 v27, 0x2200, v22
	;; [unrolled: 1-line block ×7, first 2 shown]
	v_writelane_b32 v254, s9, 57
	v_cmp_eq_u32_e64 s[8:9], 1, v99
	v_add_u32_e32 v134, v23, v24
	v_add_u32_e32 v137, v26, v24
	;; [unrolled: 1-line block ×8, first 2 shown]
	v_mul_u32_u24_e32 v24, 0x88, v20
	v_writelane_b32 v254, s8, 58
	v_or_b32_e32 v40, v24, v1
	v_or_b32_e32 v19, 3, v19
	v_writelane_b32 v254, s9, 59
	v_cmp_gt_u32_e64 s[8:9], 16, v34
	v_mul_u32_u24_e32 v151, 0x110, v19
	v_lshlrev_b32_e32 v19, 1, v40
	v_writelane_b32 v254, s8, 60
	v_add_u32_e32 v152, v23, v19
	v_add_u32_e32 v156, v25, v19
	;; [unrolled: 1-line block ×15, first 2 shown]
	v_writelane_b32 v254, s9, 61
	v_add_u32_e32 v19, v97, v34
	v_cmp_gt_u32_e64 s[8:9], 32, v34
	v_mul_u32_u24_e32 v176, 0x110, v19
	v_and_b32_e32 v19, 31, v34
	v_writelane_b32 v254, s8, 62
	s_lshl_b32 s94, s68, 5
	s_ashr_i32 s91, s90, 31
	s_ashr_i32 s87, s86, 31
	;; [unrolled: 1-line block ×3, first 2 shown]
	v_add_u32_e32 v19, v97, v19
	v_writelane_b32 v254, s9, 63
	s_lshl_b64 s[8:9], s[94:95], 3
	v_mul_u32_u24_e32 v177, 0x110, v19
	s_add_u32 s8, s66, s8
	v_or_b32_e32 v19, v98, v34
	s_addc_u32 s9, s67, s9
	v_lshlrev_b32_e32 v19, 3, v19
	v_add_co_u32_e32 v40, vcc, s8, v19
	v_mov_b32_e32 v19, s9
	v_addc_co_u32_e32 v41, vcc, 0, v19, vcc
	v_or_b32_e32 v19, v97, v1
	s_movk_i32 s8, 0x44
	v_mad_u32_u24 v18, v19, s8, v18
	v_lshl_add_u32 v178, v18, 2, 0
	v_mad_u32_u24 v18, v96, s8, v34
	s_movk_i32 s30, 0xe0
	v_lshl_add_u32 v180, v18, 2, 0
	v_bfe_u32 v18, v96, 1, 4
                                        ; implicit-def: $vgpr255 : SGPR spill to VGPR lane
	v_lshrrev_b32_e32 v179, 1, v96
	v_and_or_b32 v19, v96, s30, v18
	v_add_u32_e32 v135, 0x2200, v134
	v_add_u32_e32 v136, 32, v134
	;; [unrolled: 1-line block ×8, first 2 shown]
	v_mul_u32_u24_e32 v150, 0x110, v20
	v_lshlrev_b32_e32 v20, 1, v24
	v_writelane_b32 v255, s68, 0
	s_lshl_b32 s9, s85, 6
	v_mul_u32_u24_e32 v186, 0x110, v19
	v_mad_u32_u24 v19, v19, s8, v34
	v_add_u32_e32 v188, 2, v179
	v_add_u32_e32 v153, v134, v20
	;; [unrolled: 1-line block ×10, first 2 shown]
	v_writelane_b32 v255, s9, 1
	v_lshl_add_u32 v187, v19, 2, 0
	v_lshlrev_b32_e32 v19, 1, v188
	v_and_b32_e32 v20, 15, v188
	s_movk_i32 s9, 0x1e0
	v_and_or_b32 v19, v19, s9, v20
	v_mul_u32_u24_e32 v189, 0x110, v19
	v_mad_u32_u24 v19, v19, s8, v34
	v_add_u32_e32 v192, 4, v179
	v_lshl_add_u32 v221, v19, 2, 0
	v_lshlrev_b32_e32 v19, 1, v192
	v_and_b32_e32 v20, 15, v192
	v_and_or_b32 v19, v19, s9, v20
	v_mul_u32_u24_e32 v193, 0x110, v19
	v_mad_u32_u24 v19, v19, s8, v34
	v_add_u32_e32 v194, 6, v179
	v_lshl_add_u32 v227, v19, 2, 0
	v_lshlrev_b32_e32 v19, 1, v194
	v_and_b32_e32 v20, 15, v194
	v_and_or_b32 v19, v19, s9, v20
	v_mul_u32_u24_e32 v20, 0x110, v19
	v_mad_u32_u24 v19, v19, s8, v34
	v_lshl_add_u32 v19, v19, 2, 0
	v_add_u32_e32 v230, 8, v179
	buffer_store_dword v20, off, s[0:3], 0 offset:16 ; 4-byte Folded Spill
	buffer_store_dword v19, off, s[0:3], 0 offset:20 ; 4-byte Folded Spill
	v_lshlrev_b32_e32 v19, 1, v230
	v_and_b32_e32 v20, 15, v230
	v_and_or_b32 v19, v19, s9, v20
	v_mul_u32_u24_e32 v20, 0x110, v19
	v_mad_u32_u24 v19, v19, s8, v34
	v_lshl_add_u32 v19, v19, 2, 0
	v_add_u32_e32 v200, 10, v179
	buffer_store_dword v20, off, s[0:3], 0 offset:24 ; 4-byte Folded Spill
	buffer_store_dword v19, off, s[0:3], 0 offset:28 ; 4-byte Folded Spill
	;; [unrolled: 9-line block ×4, first 2 shown]
	v_lshlrev_b32_e32 v19, 1, v224
	v_and_b32_e32 v20, 15, v224
	v_and_or_b32 v19, v19, s9, v20
	v_mul_u32_u24_e32 v20, 0x110, v19
	v_mad_u32_u24 v19, v19, s8, v34
	v_lshl_add_u32 v19, v19, 2, 0
	buffer_store_dword v19, off, s[0:3], 0 offset:52 ; 4-byte Folded Spill
	v_add_u32_e32 v19, 16, v179
	v_lshlrev_b32_e32 v19, 1, v19
	v_and_or_b32 v18, v19, s9, v18
	v_mul_u32_u24_e32 v19, 0x110, v18
	v_mad_u32_u24 v18, v18, s8, v34
	v_lshl_add_u32 v18, v18, 2, 0
	v_add_u32_e32 v212, 18, v179
	buffer_store_dword v19, off, s[0:3], 0 offset:56 ; 4-byte Folded Spill
	buffer_store_dword v18, off, s[0:3], 0 offset:60 ; 4-byte Folded Spill
	v_lshlrev_b32_e32 v18, 1, v212
	v_and_b32_e32 v19, 15, v212
	v_and_or_b32 v18, v18, s9, v19
	v_mul_u32_u24_e32 v19, 0x110, v18
	v_mad_u32_u24 v18, v18, s8, v34
	v_lshl_add_u32 v18, v18, 2, 0
	v_add_u32_e32 v215, 20, v179
	buffer_store_dword v19, off, s[0:3], 0 offset:64 ; 4-byte Folded Spill
	buffer_store_dword v18, off, s[0:3], 0 offset:68 ; 4-byte Folded Spill
	v_lshlrev_b32_e32 v18, 1, v215
	v_and_b32_e32 v19, 15, v215
	v_and_or_b32 v18, v18, s9, v19
	v_mul_u32_u24_e32 v19, 0x110, v18
	v_mad_u32_u24 v18, v18, s8, v34
	buffer_store_dword v19, off, s[0:3], 0 offset:72 ; 4-byte Folded Spill
	v_lshl_add_u32 v18, v18, 2, 0
	v_add_u32_e32 v19, 22, v179
	buffer_store_dword v18, off, s[0:3], 0 offset:76 ; 4-byte Folded Spill
	v_lshlrev_b32_e32 v18, 1, v19
	v_and_b32_e32 v19, 15, v19
	v_and_or_b32 v18, v18, s9, v19
	v_mul_u32_u24_e32 v19, 0x110, v18
	v_mad_u32_u24 v18, v18, s8, v34
	buffer_store_dword v19, off, s[0:3], 0 offset:80 ; 4-byte Folded Spill
	v_lshl_add_u32 v18, v18, 2, 0
	v_add_u32_e32 v19, 24, v179
	;; [unrolled: 9-line block ×5, first 2 shown]
	buffer_store_dword v18, off, s[0:3], 0 offset:108 ; 4-byte Folded Spill
	v_lshlrev_b32_e32 v18, 1, v19
	v_and_b32_e32 v19, 15, v19
	v_and_or_b32 v18, v18, s9, v19
	v_mul_u32_u24_e32 v19, 0x110, v18
	v_mad_u32_u24 v18, v18, s8, v34
	v_readlane_b32 s8, v254, 7
	v_lshl_add_u32 v18, v18, 2, 0
	s_ashr_i32 s9, s8, 31
	s_abs_i32 s8, s8
	buffer_store_dword v18, off, s[0:3], 0 offset:116 ; 4-byte Folded Spill
	v_cvt_f32_u32_e32 v18, s8
	v_writelane_b32 v255, s9, 2
	v_writelane_b32 v255, s8, 3
	s_sub_i32 s8, 0, s8
	v_rcp_iflag_f32_e32 v18, v18
	v_ashrrev_i32_e32 v15, 31, v14
	v_lshlrev_b64 v[44:45], 2, v[14:15]
	v_ashrrev_i32_e32 v17, 31, v16
	v_mul_f32_e32 v18, 0x4f7ffffe, v18
	v_cvt_u32_f32_e32 v18, v18
	v_lshlrev_b32_e32 v42, 4, v1
	v_add_co_u32_e32 v233, vcc, s56, v44
	v_readfirstlane_b32 s9, v18
	s_mul_i32 s8, s8, s9
	s_mul_hi_u32 s8, s9, s8
	s_add_i32 s8, s9, s8
	v_writelane_b32 v255, s8, 4
	v_readlane_b32 s8, v254, 6
	s_ashr_i32 s9, s8, 31
	s_abs_i32 s8, s8
	v_cvt_f32_u32_e32 v18, s8
	v_writelane_b32 v255, s9, 5
	v_writelane_b32 v255, s8, 6
	s_sub_i32 s8, 0, s8
	v_rcp_iflag_f32_e32 v18, v18
	v_mov_b32_e32 v1, s57
	v_addc_co_u32_e32 v234, vcc, v1, v45, vcc
	v_mul_f32_e32 v18, 0x4f7ffffe, v18
	v_cvt_u32_f32_e32 v18, v18
	v_lshlrev_b64 v[46:47], 2, v[16:17]
	v_ashrrev_i32_e32 v13, 31, v12
	v_add_co_u32_e32 v235, vcc, s56, v46
	v_readfirstlane_b32 s9, v18
	s_mul_i32 s8, s8, s9
	s_mul_hi_u32 s8, s9, s8
	s_add_i32 s8, s9, s8
	v_writelane_b32 v255, s8, 7
	v_readlane_b32 s8, v254, 3
	s_ashr_i32 s9, s8, 31
	s_abs_i32 s8, s8
	v_cvt_f32_u32_e32 v18, s8
	v_writelane_b32 v255, s9, 8
	v_writelane_b32 v255, s8, 9
	s_sub_i32 s8, 0, s8
	v_rcp_iflag_f32_e32 v18, v18
	v_addc_co_u32_e32 v236, vcc, v1, v47, vcc
	v_lshlrev_b64 v[48:49], 2, v[12:13]
	v_mul_f32_e32 v18, 0x4f7ffffe, v18
	v_cvt_u32_f32_e32 v18, v18
	v_ashrrev_i32_e32 v11, 31, v10
	v_add_co_u32_e32 v237, vcc, s56, v48
	v_readfirstlane_b32 s9, v18
	s_mul_i32 s8, s8, s9
	s_mul_hi_u32 s8, s9, s8
	s_add_i32 s8, s9, s8
	v_writelane_b32 v255, s8, 10
	s_mov_b32 s8, s40
	v_writelane_b32 v255, s8, 11
	v_writelane_b32 v255, s9, 12
	s_abs_i32 s8, s40
	v_cvt_f32_u32_e32 v18, s8
	v_addc_co_u32_e32 v238, vcc, v1, v49, vcc
	v_lshlrev_b64 v[50:51], 2, v[10:11]
	v_rcp_iflag_f32_e32 v18, v18
	v_ashrrev_i32_e32 v7, 31, v6
	v_add_co_u32_e32 v239, vcc, s56, v50
	v_mul_f32_e32 v18, 0x4f7ffffe, v18
	v_cvt_u32_f32_e32 v18, v18
	v_addc_co_u32_e32 v240, vcc, v1, v51, vcc
	v_lshlrev_b64 v[52:53], 2, v[6:7]
	v_ashrrev_i32_e32 v9, 31, v8
	v_add_co_u32_e32 v241, vcc, s54, v52
	v_mov_b32_e32 v1, s55
	v_writelane_b32 v255, s8, 13
	s_sub_i32 s8, 0, s8
	v_readfirstlane_b32 s9, v18
	v_addc_co_u32_e32 v242, vcc, v1, v53, vcc
	v_lshlrev_b64 v[54:55], 2, v[8:9]
	v_ashrrev_i32_e32 v5, 31, v4
	s_mul_i32 s8, s8, s9
	v_add_co_u32_e32 v243, vcc, s54, v54
	s_mul_hi_u32 s8, s9, s8
	v_addc_co_u32_e32 v244, vcc, v1, v55, vcc
	v_lshlrev_b64 v[56:57], 2, v[4:5]
	v_ashrrev_i32_e32 v3, 31, v2
	s_add_i32 s8, s9, s8
	v_add_co_u32_e32 v245, vcc, s54, v56
	v_writelane_b32 v255, s8, 14
	v_addc_co_u32_e32 v246, vcc, v1, v57, vcc
	v_lshlrev_b64 v[58:59], 2, v[2:3]
	s_lshl_b64 s[8:9], s[90:91], 1
	v_add_co_u32_e32 v247, vcc, s54, v58
	v_writelane_b32 v255, s8, 15
	s_mov_b64 s[36:37], src_private_base
	v_addc_co_u32_e32 v248, vcc, v1, v59, vcc
	v_writelane_b32 v255, s9, 16
	v_mbcnt_lo_u32_b32 v1, -1, 0
	v_mov_b32_e32 v108, 0
	v_cmp_lt_u32_e64 s[4:5], 63, v34
	v_add_u32_e32 v112, 0x240, v111
	v_add_u32_e32 v113, 0x480, v111
	;; [unrolled: 1-line block ×7, first 2 shown]
	s_mov_b32 s36, 0
	v_cmp_gt_u32_e64 s[6:7], 64, v119
	v_add_u32_e32 v121, 16, v119
	v_add_u32_e32 v122, 0x1100, v120
	v_cmp_gt_u32_e64 s[38:39], 48, v119
	v_add_u32_e32 v123, 32, v119
	v_add_u32_e32 v124, 0x2200, v120
	;; [unrolled: 3-line block ×3, first 2 shown]
	v_cmp_gt_u32_e64 s[12:13], 16, v119
	s_movk_i32 s99, 0x80
	v_cmp_gt_u32_e64 s[14:15], 64, v128
	v_cmp_gt_u32_e64 s[16:17], 63, v128
	;; [unrolled: 1-line block ×8, first 2 shown]
	v_or_b32_e32 v181, 1, v128
	v_or_b32_e32 v182, 2, v128
	;; [unrolled: 1-line block ×3, first 2 shown]
	v_add_u32_e32 v184, 33, v128
	v_add_u32_e32 v185, 35, v128
	s_lshl_b64 s[92:93], s[80:81], 8
	s_lshl_b64 s[34:35], s[86:87], 8
	v_mov_b32_e32 v249, 0x3ecccdef
	s_mov_b32 s9, 0x42b17218
	s_mov_b32 s85, 0x3fb8aa3b
	;; [unrolled: 1-line block ×3, first 2 shown]
	s_brev_b32 s68, -2
	s_mov_b32 s69, 0x3f200000
	v_mov_b32_e32 v250, 0xbd5c1c4e
	v_mov_b32_e32 v251, 0x3e088382
	;; [unrolled: 1-line block ×3, first 2 shown]
	s_mov_b32 s70, 0xc1a00000
	s_mov_b32 s71, 0x5040100
	v_mov_b32_e32 v253, 0x37000000
	v_mov_b32_e32 v228, 0x7f800000
	;; [unrolled: 1-line block ×3, first 2 shown]
	v_mbcnt_hi_u32_b32 v231, -1, v1
	v_writelane_b32 v255, s47, 17
	buffer_store_dword v20, off, s[0:3], 0 offset:48 ; 4-byte Folded Spill
	buffer_store_dword v19, off, s[0:3], 0 offset:112 ; 4-byte Folded Spill
	s_branch .LBB25_16
.LBB25_14:                              ;   in Loop: Header=BB25_16 Depth=1
	s_or_b64 exec, exec, s[30:31]
	s_barrier
.LBB25_15:                              ;   in Loop: Header=BB25_16 Depth=1
	v_readlane_b32 s42, v254, 1
	s_add_i32 s30, s98, s42
	s_abs_i32 s40, s30
	v_readlane_b32 s47, v255, 17
	s_mul_hi_u32 s41, s40, s47
	s_mul_i32 s41, s41, s33
	s_sub_i32 s40, s40, s41
	s_ashr_i32 s31, s30, 31
	s_sub_i32 s41, s40, s33
	s_cmp_ge_u32 s40, s33
	s_cselect_b32 s40, s41, s40
	s_sub_i32 s41, s40, s33
	s_cmp_ge_u32 s40, s33
	s_cselect_b32 s40, s41, s40
	s_xor_b32 s40, s40, s31
	s_sub_i32 s31, s31, s40
	s_add_i32 s98, s30, s31
	v_readlane_b32 s30, v254, 12
	s_sub_i32 s40, s30, s98
	s_min_i32 s79, s42, s40
	v_readlane_b32 s31, v254, 13
	s_cmp_gt_i32 s30, s98
	s_cselect_b64 s[30:31], -1, 0
	s_cmp_le_i32 s42, s40
	s_cselect_b64 s[40:41], -1, 0
	s_and_b64 s[40:41], s[40:41], s[30:31]
	s_mov_b32 s48, 0
	s_and_b64 vcc, exec, s[40:41]
	s_cbranch_vccz .LBB25_452
.LBB25_16:                              ; =>This Loop Header: Depth=1
                                        ;     Child Loop BB25_278 Depth 2
                                        ;     Child Loop BB25_63 Depth 2
	s_ashr_i32 s30, s98, 31
	v_readlane_b32 s31, v255, 2
	s_xor_b32 s30, s30, s31
	s_abs_i32 s31, s98
	v_readlane_b32 s40, v255, 4
	s_mul_hi_u32 s40, s31, s40
	v_readlane_b32 s43, v255, 3
	s_mul_i32 s41, s40, s43
	s_sub_i32 s31, s31, s41
	s_add_i32 s41, s40, 1
	s_sub_i32 s42, s31, s43
	s_cmp_ge_u32 s31, s43
	s_cselect_b32 s40, s41, s40
	s_cselect_b32 s31, s42, s31
	s_add_i32 s41, s40, 1
	s_cmp_ge_u32 s31, s43
	s_cselect_b32 s31, s41, s40
	s_xor_b32 s31, s31, s30
	s_sub_i32 s49, s31, s30
	v_readlane_b32 s30, v254, 43
	v_readlane_b32 s31, v254, 44
	s_ashr_i32 s50, s49, 31
	s_andn2_b64 vcc, exec, s[30:31]
	s_mov_b64 s[88:89], 0
	s_cbranch_vccnz .LBB25_18
; %bb.17:                               ;   in Loop: Header=BB25_16 Depth=1
	s_abs_i32 s30, s49
	v_readlane_b32 s31, v255, 14
	s_mul_hi_u32 s31, s30, s31
	v_readlane_b32 s40, v255, 13
	s_mul_i32 s31, s31, s40
	s_sub_i32 s30, s30, s31
	s_sub_i32 s31, s30, s40
	s_cmp_ge_u32 s30, s40
	s_cselect_b32 s30, s31, s30
	s_sub_i32 s31, s30, s40
	s_cmp_ge_u32 s30, s40
	s_cselect_b32 s30, s31, s30
	s_xor_b32 s30, s30, s50
	v_readlane_b32 s42, v254, 16
	s_sub_i32 s30, s30, s50
	v_readlane_b32 s43, v254, 17
	s_ashr_i32 s31, s30, 31
	s_mul_i32 s40, s30, s43
	s_mul_hi_u32 s41, s30, s42
	s_add_i32 s40, s41, s40
	s_mul_i32 s31, s31, s42
	v_readlane_b32 s52, v254, 26
	s_add_i32 s40, s40, s31
	s_mul_i32 s30, s30, s42
	v_readlane_b32 s58, v254, 32
	v_readlane_b32 s59, v254, 33
	s_add_u32 s88, s58, s30
	s_addc_u32 s89, s59, s40
	v_readlane_b32 s53, v254, 27
	v_readlane_b32 s54, v254, 28
	;; [unrolled: 1-line block ×13, first 2 shown]
.LBB25_18:                              ;   in Loop: Header=BB25_16 Depth=1
	v_readlane_b32 s30, v254, 7
	s_mul_i32 s30, s49, s30
	s_sub_i32 s30, s98, s30
	s_ashr_i32 s31, s30, 31
	v_readlane_b32 s40, v255, 5
	s_xor_b32 s31, s31, s40
	s_abs_i32 s40, s30
	v_readlane_b32 s41, v255, 7
	s_mul_hi_u32 s41, s40, s41
	v_readlane_b32 s44, v255, 6
	s_mul_i32 s42, s41, s44
	s_sub_i32 s40, s40, s42
	s_add_i32 s42, s41, 1
	s_sub_i32 s43, s40, s44
	s_cmp_ge_u32 s40, s44
	s_cselect_b32 s41, s42, s41
	s_cselect_b32 s40, s43, s40
	s_add_i32 s42, s41, 1
	s_cmp_ge_u32 s40, s44
	s_cselect_b32 s40, s42, s41
	s_xor_b32 s40, s40, s31
	s_sub_i32 s51, s40, s31
	v_readlane_b32 s31, v254, 6
	s_mul_i32 s31, s51, s31
	s_sub_i32 s30, s30, s31
	s_ashr_i32 s31, s30, 31
	v_readlane_b32 s40, v255, 8
	s_xor_b32 s31, s31, s40
	s_abs_i32 s40, s30
	v_readlane_b32 s41, v255, 10
	s_mul_hi_u32 s41, s40, s41
	v_readlane_b32 s44, v255, 9
	s_mul_i32 s42, s41, s44
	s_sub_i32 s40, s40, s42
	s_add_i32 s42, s41, 1
	s_sub_i32 s43, s40, s44
	s_cmp_ge_u32 s40, s44
	s_cselect_b32 s41, s42, s41
	s_cselect_b32 s40, s43, s40
	s_add_i32 s42, s41, 1
	s_cmp_ge_u32 s40, s44
	s_cselect_b32 s40, s42, s41
	s_xor_b32 s40, s40, s31
	s_sub_i32 s31, s40, s31
	v_readlane_b32 s40, v254, 2
	s_mul_i32 s40, s51, s40
	s_add_i32 s46, s40, s31
	v_readlane_b32 s40, v254, 52
	v_readlane_b32 s41, v254, 53
	s_andn2_b64 vcc, exec, s[40:41]
	v_mov_b32_e32 v60, 1.0
	s_cbranch_vccnz .LBB25_20
; %bb.19:                               ;   in Loop: Header=BB25_16 Depth=1
	s_sub_i32 s40, s46, s96
	s_lshl_b32 s40, s40, 1
	s_add_i32 s42, s46, 1
	s_or_b32 s43, s40, 1
	s_cmp_lt_u32 s46, s96
	v_readlane_b32 s52, v254, 48
	s_cselect_b64 vcc, -1, 0
	v_readlane_b32 s54, v254, 50
	v_readlane_b32 s55, v254, 51
	s_and_b64 s[40:41], vcc, exec
	v_mov_b32_e32 v1, s55
	v_mov_b32_e32 v2, s54
	s_cselect_b32 s40, s42, s43
	v_cndmask_b32_e32 v18, v1, v2, vcc
	v_cvt_f32_i32_e32 v1, s40
	v_cmp_neq_f32_e32 vcc, 1.0, v18
	s_mov_b32 s40, 0x3f2aaaab
	s_movk_i32 s42, 0x204
	v_cndmask_b32_e32 v19, 1.0, v1, vcc
	v_cmp_eq_f32_e32 vcc, 0, v19
	v_cndmask_b32_e64 v20, |v18|, 1.0, vcc
	v_frexp_mant_f32_e32 v1, v20
	v_cmp_gt_f32_e64 s[40:41], s40, v1
	v_cndmask_b32_e64 v2, 1.0, 2.0, s[40:41]
	v_mul_f32_e32 v1, v1, v2
	v_add_f32_e32 v2, 1.0, v1
	v_rcp_f32_e32 v10, v2
	v_add_f32_e32 v3, -1.0, v2
	v_sub_f32_e32 v5, v1, v3
	v_add_f32_e32 v3, -1.0, v1
	v_mul_f32_e32 v1, v3, v10
	v_mul_f32_e32 v4, v2, v1
	v_fma_f32 v6, v1, v2, -v4
	v_fmac_f32_e32 v6, v1, v5
	v_add_f32_e32 v2, v4, v6
	v_sub_f32_e32 v5, v3, v2
	v_pk_add_f32 v[8:9], v[2:3], v[4:5] neg_lo:[0,1] neg_hi:[0,1]
	v_mov_b32_e32 v7, v2
	v_pk_add_f32 v[2:3], v[8:9], v[6:7] neg_lo:[0,1] neg_hi:[0,1]
	v_add_f32_e32 v2, v2, v3
	v_add_f32_e32 v2, v5, v2
	v_mul_f32_e32 v3, v10, v2
	v_add_f32_e32 v2, v1, v3
	v_sub_f32_e32 v1, v2, v1
	v_sub_f32_e32 v1, v3, v1
	v_mul_f32_e32 v3, v2, v2
	v_fma_f32 v5, v2, v2, -v3
	v_add_f32_e32 v4, v1, v1
	v_fmac_f32_e32 v5, v2, v4
	v_add_f32_e32 v4, v3, v5
	v_mov_b32_e32 v6, 0x3e91f4c4
	v_fmac_f32_e32 v6, 0x3e76c4e1, v4
	v_fma_f32 v6, v4, v6, v249
	v_sub_f32_e32 v3, v4, v3
	v_sub_f32_e32 v12, v5, v3
	v_mul_f32_e32 v3, v4, v6
	v_fma_f32 v5, v4, v6, -v3
	v_fmac_f32_e32 v5, v12, v6
	v_add_f32_e32 v6, v3, v5
	v_add_f32_e32 v7, 0x3f2aaaaa, v6
	v_sub_f32_e32 v3, v6, v3
	v_sub_f32_e32 v3, v5, v3
	v_add_f32_e32 v5, 0xbf2aaaaa, v7
	v_add_f32_e32 v3, 0x31739010, v3
	v_sub_f32_e32 v5, v6, v5
	v_pk_mul_f32 v[8:9], v[2:3], v[4:5]
	v_fma_f32 v6, v4, v2, -v8
	v_pk_add_f32 v[10:11], v[2:3], v[4:5]
	v_fmac_f32_e32 v6, v4, v1
	v_mov_b32_e32 v9, v11
	v_fmac_f32_e32 v6, v12, v2
	v_pk_add_f32 v[4:5], v[8:9], v[6:7]
	v_sub_f32_e32 v3, v4, v8
	v_sub_f32_e32 v3, v6, v3
	;; [unrolled: 1-line block ×3, first 2 shown]
	v_add_f32_e32 v10, v11, v6
	v_mov_b32_e32 v6, v5
	v_pk_mul_f32 v[6:7], v[4:5], v[6:7]
	v_cvt_f64_f32_e32 v[8:9], v20
	v_frexp_exp_i32_f64_e32 v7, v[8:9]
	v_subbrev_co_u32_e64 v7, s[40:41], 0, v7, s[40:41]
	v_cvt_f32_i32_e32 v7, v7
	v_fma_f32 v8, v4, v5, -v6
	v_fmac_f32_e32 v8, v4, v10
	s_mov_b32 s40, 0x3f317218
	v_mul_f32_e32 v4, 0x3f317218, v7
	v_fmac_f32_e32 v8, v3, v5
	v_fma_f32 v10, v7, s40, -v4
	v_fmac_f32_e32 v10, 0xb102e308, v7
	v_ldexp_f32 v11, v2, 1
	v_add_f32_e32 v5, v6, v8
	v_pk_add_f32 v[2:3], v[4:5], v[10:11]
	v_mov_b32_e32 v12, v5
	v_mov_b32_e32 v13, v3
	;; [unrolled: 1-line block ×3, first 2 shown]
	v_pk_add_f32 v[6:7], v[12:13], v[6:7] neg_lo:[0,1] neg_hi:[0,1]
	v_mov_b32_e32 v9, v5
	v_ldexp_f32 v1, v1, 1
	v_pk_add_f32 v[6:7], v[8:9], v[6:7] neg_lo:[0,1] neg_hi:[0,1]
	v_add_f32_e32 v1, v1, v6
	v_add_f32_e32 v5, v1, v7
	v_pk_add_f32 v[6:7], v[2:3], v[4:5] neg_lo:[0,1] neg_hi:[0,1]
	v_pk_add_f32 v[8:9], v[2:3], v[4:5]
	v_mov_b32_e32 v12, v6
	v_mov_b32_e32 v13, v9
	;; [unrolled: 1-line block ×3, first 2 shown]
	v_pk_add_f32 v[12:13], v[10:11], v[12:13]
	v_mov_b32_e32 v4, v13
	v_pk_add_f32 v[14:15], v[4:5], v[2:3] neg_lo:[0,1] neg_hi:[0,1]
	v_mov_b32_e32 v1, v14
	v_mov_b32_e32 v12, v9
	;; [unrolled: 1-line block ×4, first 2 shown]
	v_pk_add_f32 v[6:7], v[10:11], v[6:7] neg_lo:[0,1] neg_hi:[0,1]
	v_pk_add_f32 v[16:17], v[8:9], v[0:1] neg_lo:[0,1] neg_hi:[0,1]
	;; [unrolled: 1-line block ×3, first 2 shown]
	v_mov_b32_e32 v10, v5
	v_pk_add_f32 v[2:3], v[10:11], v[2:3] neg_lo:[0,1] neg_hi:[0,1]
	v_mov_b32_e32 v16, v6
	v_pk_add_f32 v[8:9], v[16:17], v[2:3]
	v_mov_b32_e32 v10, v9
	v_pk_add_f32 v[10:11], v[8:9], v[10:11]
	v_pk_add_f32 v[4:5], v[4:5], v[10:11]
	v_mov_b32_e32 v7, v13
	v_mov_b32_e32 v9, v4
	v_pk_add_f32 v[12:13], v[8:9], v[6:7] neg_lo:[0,1] neg_hi:[0,1]
	v_mov_b32_e32 v3, v10
	v_sub_f32_e32 v1, v8, v12
	v_pk_add_f32 v[2:3], v[2:3], v[12:13] neg_lo:[0,1] neg_hi:[0,1]
	v_sub_f32_e32 v1, v6, v1
	v_add_f32_e32 v1, v2, v1
	v_add_f32_e32 v1, v1, v3
	;; [unrolled: 1-line block ×3, first 2 shown]
	v_sub_f32_e32 v3, v2, v4
	v_sub_f32_e32 v1, v1, v3
	v_mul_f32_e32 v3, v19, v2
	v_fma_f32 v2, v19, v2, -v3
	v_fmac_f32_e32 v2, v19, v1
	v_add_f32_e32 v1, v3, v2
	v_cmp_class_f32_e64 s[40:41], v3, s42
	v_sub_f32_e32 v4, v1, v3
	v_cndmask_b32_e64 v1, v1, v3, s[40:41]
	v_cmp_eq_f32_e64 s[40:41], s9, v1
	v_cndmask_b32_e64 v3, 0, v253, s[40:41]
	v_sub_f32_e32 v2, v2, v4
	v_sub_f32_e32 v4, v1, v3
	v_mul_f32_e32 v5, 0x3fb8aa3b, v4
	v_fma_f32 v6, v4, s85, -v5
	v_rndne_f32_e32 v7, v5
	v_fmac_f32_e32 v6, 0x32a5705f, v4
	v_sub_f32_e32 v5, v5, v7
	v_add_f32_e32 v5, v5, v6
	v_exp_f32_e32 v5, v5
	v_cvt_i32_f32_e32 v6, v7
	s_mov_b32 s43, 0x7f800000
	v_cmp_neq_f32_e64 s[40:41], |v1|, s43
	v_cndmask_b32_e64 v1, 0, v2, s[40:41]
	v_ldexp_f32 v2, v5, v6
	v_cmp_ngt_f32_e64 s[40:41], s8, v4
	v_cndmask_b32_e64 v2, 0, v2, s[40:41]
	v_cmp_nlt_f32_e64 s[40:41], s9, v4
	v_add_f32_e32 v1, v3, v1
	v_cndmask_b32_e64 v2, v228, v2, s[40:41]
	v_fma_f32 v1, v2, v1, v2
	v_cmp_class_f32_e64 s[40:41], v2, s42
	v_trunc_f32_e32 v3, v19
	v_cndmask_b32_e64 v1, v1, v2, s[40:41]
	v_cndmask_b32_e64 v2, v18, 1.0, vcc
	v_cmp_eq_f32_e32 vcc, v3, v19
	v_mul_f32_e32 v3, 0.5, v19
	v_trunc_f32_e32 v4, v3
	v_cmp_neq_f32_e64 s[40:41], v4, v3
	s_and_b64 s[40:41], vcc, s[40:41]
	v_cndmask_b32_e64 v3, 1.0, v2, s[40:41]
	v_bfi_b32 v1, s68, v1, v3
	v_cndmask_b32_e32 v3, v229, v1, vcc
	v_cmp_gt_f32_e32 vcc, 0, v2
	v_cndmask_b32_e32 v1, v1, v3, vcc
	v_cmp_eq_f32_e32 vcc, s43, v20
	v_cmp_eq_f32_e64 s[42:43], 0, v2
	v_cmp_gt_f32_e64 s[44:45], 0, v19
	s_xor_b64 s[44:45], s[44:45], s[42:43]
	v_cndmask_b32_e64 v3, v228, 0, s[44:45]
	v_cndmask_b32_e64 v4, 0, v2, s[40:41]
	v_bfi_b32 v3, s68, v3, v4
	s_or_b64 vcc, vcc, s[42:43]
	v_cndmask_b32_e32 v1, v1, v3, vcc
	v_cmp_o_f32_e32 vcc, v2, v2
	v_cndmask_b32_e32 v60, v229, v1, vcc
	v_readlane_b32 s53, v254, 49
.LBB25_20:                              ;   in Loop: Header=BB25_16 Depth=1
	v_readlane_b32 s40, v254, 3
	s_mul_i32 s31, s31, s40
	s_sub_i32 s30, s30, s31
	s_ashr_i32 s31, s30, 31
	v_readlane_b32 s40, v254, 25
	s_abs_i32 s30, s30
	s_xor_b32 s31, s31, s40
	s_mul_hi_u32 s40, s30, s47
	s_mul_i32 s41, s40, s33
	s_sub_i32 s30, s30, s41
	s_add_i32 s41, s40, 1
	s_sub_i32 s42, s30, s33
	s_cmp_ge_u32 s30, s33
	s_cselect_b32 s40, s41, s40
	s_cselect_b32 s30, s42, s30
	s_add_i32 s41, s40, 1
	s_cmp_ge_u32 s30, s33
	s_cselect_b32 s30, s41, s40
	v_readlane_b32 s40, v254, 54
	s_xor_b32 s30, s30, s31
	v_readlane_b32 s41, v254, 55
	s_andn2_b64 vcc, exec, s[40:41]
	s_sub_i32 s72, s30, s31
	s_cbranch_vccnz .LBB25_22
; %bb.21:                               ;   in Loop: Header=BB25_16 Depth=1
	v_readlane_b32 s30, v254, 0
	s_mul_i32 s30, s49, s30
	s_add_i32 s30, s72, s30
	s_ashr_i32 s31, s30, 31
	v_readlane_b32 s52, v254, 26
	s_lshl_b64 s[30:31], s[30:31], 2
	v_readlane_b32 s62, v254, 36
	v_readlane_b32 s63, v254, 37
	s_add_u32 s30, s62, s30
	s_addc_u32 s31, s63, s31
	global_load_dword v1, v108, s[30:31]
	v_readlane_b32 s53, v254, 27
	v_readlane_b32 s54, v254, 28
	;; [unrolled: 1-line block ×13, first 2 shown]
	s_waitcnt vmcnt(0)
	v_readfirstlane_b32 s30, v1
	s_ashr_i32 s31, s30, 31
	s_lshr_b32 s31, s31, 26
	s_add_i32 s30, s30, s31
	s_ashr_i32 s30, s30, 6
	s_min_i32 s79, s79, s30
	s_branch .LBB25_23
.LBB25_22:                              ;   in Loop: Header=BB25_16 Depth=1
	v_readlane_b32 s52, v254, 26
	v_readlane_b32 s53, v254, 27
	;; [unrolled: 1-line block ×16, first 2 shown]
.LBB25_23:                              ;   in Loop: Header=BB25_16 Depth=1
	v_readlane_b32 s30, v254, 45
	s_mul_i32 s30, s30, s49
	s_add_i32 s30, s46, s30
	s_lshl_b32 s94, s30, 6
	s_lshl_b64 s[30:31], s[94:95], 3
	v_readlane_b32 s40, v254, 14
	s_add_u32 s67, s64, s30
	v_readlane_b32 s41, v254, 15
	s_addc_u32 s91, s65, s31
	s_mul_i32 s30, s49, s41
	s_mul_hi_u32 s31, s49, s40
	s_add_i32 s30, s31, s30
	s_mul_i32 s31, s50, s40
	s_add_i32 s59, s30, s31
	s_mul_i32 s30, s49, s40
	v_readlane_b32 s40, v254, 21
	v_readlane_b32 s41, v254, 22
	;; [unrolled: 1-line block ×3, first 2 shown]
	v_writelane_b32 v255, s30, 18
	s_add_u32 s30, s56, s30
	s_mov_b64 s[44:45], s[40:41]
	s_mul_i32 s40, s51, s43
	s_addc_u32 s31, s57, s59
	s_ashr_i32 s94, s40, 31
	s_add_u32 s75, s30, s40
	s_addc_u32 s76, s31, s94
	s_ashr_i32 s47, s46, 31
	s_lshl_b64 s[30:31], s[46:47], 2
	v_writelane_b32 v255, s40, 19
	s_add_u32 s40, s60, s30
	v_readlane_b32 s42, v254, 23
	s_addc_u32 s41, s61, s31
	v_readlane_b32 s30, v254, 46
	v_readlane_b32 s31, v254, 47
	;; [unrolled: 1-line block ×3, first 2 shown]
	s_and_b64 s[30:31], s[30:31], exec
	v_readlane_b32 s43, v254, 9
	s_cselect_b32 s30, 0, s40
	s_mul_i32 s40, s49, s43
	s_cselect_b32 s31, 0, s41
	s_ashr_i32 s41, s40, 31
	s_add_u32 s40, s52, s40
	s_mul_i32 s42, s46, s42
	s_addc_u32 s41, s53, s41
	s_ashr_i32 s43, s42, 31
	s_add_u32 s73, s40, s42
	s_addc_u32 s83, s41, s43
	s_mul_i32 s40, s49, s45
	s_mul_hi_u32 s41, s49, s44
	s_add_i32 s40, s41, s40
	s_mul_i32 s50, s50, s44
	v_readlane_b32 s42, v254, 19
	s_add_i32 s66, s40, s50
	s_mul_i32 s40, s49, s44
	v_readlane_b32 s43, v254, 20
	v_writelane_b32 v255, s40, 20
	s_add_u32 s40, s54, s40
	s_mul_i32 s42, s51, s43
	s_addc_u32 s41, s55, s66
	s_ashr_i32 s82, s42, 31
	s_add_u32 s77, s40, s42
	s_addc_u32 s78, s41, s82
	v_writelane_b32 v255, s42, 21
	s_cmp_lg_u32 s48, 0
	s_cbranch_scc0 .LBB25_101
; %bb.24:                               ;   in Loop: Header=BB25_16 Depth=1
	s_lshl_b32 s74, s72, 5
	v_add_u32_e32 v37, s74, v96
	v_cmp_le_i32_e32 vcc, s84, v37
	s_and_saveexec_b64 s[40:41], vcc
	s_xor_b64 s[40:41], exec, s[40:41]
	s_cbranch_execz .LBB25_26
; %bb.25:                               ;   in Loop: Header=BB25_16 Depth=1
	ds_write_b32 v180, v108
.LBB25_26:                              ;   in Loop: Header=BB25_16 Depth=1
	s_andn2_saveexec_b64 s[40:41], s[40:41]
	s_cbranch_execz .LBB25_28
; %bb.27:                               ;   in Loop: Header=BB25_16 Depth=1
	v_readlane_b32 s42, v254, 18
	v_mad_u64_u32 v[2:3], s[42:43], v37, s42, v[34:35]
	v_ashrrev_i32_e32 v3, 31, v2
	v_lshlrev_b64 v[2:3], 3, v[2:3]
	v_mov_b32_e32 v1, s83
	v_add_co_u32_e32 v2, vcc, s73, v2
	v_addc_co_u32_e32 v3, vcc, v1, v3, vcc
	global_load_dwordx2 v[2:3], v[2:3], off
	s_waitcnt vmcnt(0)
	v_cvt_f16_f32_e32 v1, v2
	v_cvt_f16_f32_e32 v2, v3
	v_pack_b32_f16 v1, v1, v2
	v_pk_mul_f16 v1, v100, v1
	ds_write_b32 v180, v1
.LBB25_28:                              ;   in Loop: Header=BB25_16 Depth=1
	s_or_b64 exec, exec, s[40:41]
	v_add_u32_e32 v43, s74, v107
	v_cmp_le_i32_e32 vcc, s84, v43
	s_and_saveexec_b64 s[40:41], vcc
	s_xor_b64 s[40:41], exec, s[40:41]
	s_cbranch_execz .LBB25_30
; %bb.29:                               ;   in Loop: Header=BB25_16 Depth=1
	ds_write_b32 v180, v108 offset:1088
.LBB25_30:                              ;   in Loop: Header=BB25_16 Depth=1
	s_andn2_saveexec_b64 s[40:41], s[40:41]
	s_cbranch_execz .LBB25_32
; %bb.31:                               ;   in Loop: Header=BB25_16 Depth=1
	v_readlane_b32 s42, v254, 18
	v_mad_u64_u32 v[2:3], s[42:43], v43, s42, v[34:35]
	v_ashrrev_i32_e32 v3, 31, v2
	v_lshlrev_b64 v[2:3], 3, v[2:3]
	v_mov_b32_e32 v1, s83
	v_add_co_u32_e32 v2, vcc, s73, v2
	v_addc_co_u32_e32 v3, vcc, v1, v3, vcc
	global_load_dwordx2 v[2:3], v[2:3], off
	s_waitcnt vmcnt(0)
	v_cvt_f16_f32_e32 v1, v2
	v_cvt_f16_f32_e32 v2, v3
	v_pack_b32_f16 v1, v1, v2
	v_pk_mul_f16 v1, v100, v1
	ds_write_b32 v180, v1 offset:1088
.LBB25_32:                              ;   in Loop: Header=BB25_16 Depth=1
	s_or_b64 exec, exec, s[40:41]
	v_add_u32_e32 v82, s74, v106
	v_cmp_le_i32_e32 vcc, s84, v82
	s_and_saveexec_b64 s[40:41], vcc
	s_xor_b64 s[40:41], exec, s[40:41]
	s_cbranch_execz .LBB25_34
; %bb.33:                               ;   in Loop: Header=BB25_16 Depth=1
	ds_write_b32 v180, v108 offset:2176
.LBB25_34:                              ;   in Loop: Header=BB25_16 Depth=1
	s_andn2_saveexec_b64 s[40:41], s[40:41]
	s_cbranch_execz .LBB25_36
; %bb.35:                               ;   in Loop: Header=BB25_16 Depth=1
	v_readlane_b32 s42, v254, 18
	v_mad_u64_u32 v[2:3], s[42:43], v82, s42, v[34:35]
	v_ashrrev_i32_e32 v3, 31, v2
	v_lshlrev_b64 v[2:3], 3, v[2:3]
	v_mov_b32_e32 v1, s83
	v_add_co_u32_e32 v2, vcc, s73, v2
	v_addc_co_u32_e32 v3, vcc, v1, v3, vcc
	global_load_dwordx2 v[2:3], v[2:3], off
	s_waitcnt vmcnt(0)
	v_cvt_f16_f32_e32 v1, v2
	v_cvt_f16_f32_e32 v2, v3
	v_pack_b32_f16 v1, v1, v2
	v_pk_mul_f16 v1, v100, v1
	ds_write_b32 v180, v1 offset:2176
.LBB25_36:                              ;   in Loop: Header=BB25_16 Depth=1
	;; [unrolled: 27-line block ×7, first 2 shown]
	s_or_b64 exec, exec, s[40:41]
	s_waitcnt lgkmcnt(0)
	s_barrier
	ds_read2_b64 v[14:17], v110 offset1:4
	ds_read2_b64 v[10:13], v110 offset0:8 offset1:12
	ds_read2_b64 v[6:9], v110 offset0:16 offset1:20
	;; [unrolled: 1-line block ×3, first 2 shown]
	s_add_i32 s46, s79, -1
	s_cmp_le_i32 s46, s48
	v_mov_b32_e32 v83, 0
	s_waitcnt lgkmcnt(0)
	s_barrier
	s_cbranch_scc1 .LBB25_102
; %bb.57:                               ;   in Loop: Header=BB25_16 Depth=1
	v_lshlrev_b32_e32 v18, 1, v34
	v_mov_b32_e32 v19, s89
	v_add_co_u32_e32 v85, vcc, s88, v18
	v_readlane_b32 s44, v254, 10
	v_and_b32_e32 v61, 64, v231
	v_addc_co_u32_e32 v86, vcc, 0, v19, vcc
	v_mul_hi_u32 v18, s44, v37
	v_mul_hi_u32 v20, s44, v43
	;; [unrolled: 1-line block ×8, first 2 shown]
	v_add_u32_e32 v61, 64, v61
	v_xor_b32_e32 v62, 32, v231
	v_readlane_b32 s45, v254, 11
	v_add_u32_e32 v18, v37, v18
	v_add_u32_e32 v20, v43, v20
	;; [unrolled: 1-line block ×8, first 2 shown]
	v_cmp_lt_i32_e32 vcc, v62, v61
	v_lshrrev_b32_e32 v18, s45, v18
	v_lshrrev_b32_e32 v20, s45, v20
	v_lshrrev_b32_e32 v22, s45, v22
	v_lshrrev_b32_e32 v24, s45, v24
	v_lshrrev_b32_e32 v26, s45, v26
	v_lshrrev_b32_e32 v28, s45, v28
	v_lshrrev_b32_e32 v30, s45, v30
	v_lshrrev_b32_e32 v32, s45, v32
	v_cndmask_b32_e32 v62, v231, v62, vcc
	v_mul_lo_u32 v18, v18, s84
	v_mul_lo_u32 v20, v20, s84
	;; [unrolled: 1-line block ×8, first 2 shown]
	v_lshlrev_b32_e32 v87, 2, v62
	v_xor_b32_e32 v62, 16, v231
	v_sub_u32_e32 v18, v37, v18
	v_sub_u32_e32 v20, v43, v20
	;; [unrolled: 1-line block ×8, first 2 shown]
	v_cmp_lt_i32_e32 vcc, v62, v61
	s_cmp_lg_u64 s[88:89], 0
	v_mad_i64_i32 v[18:19], s[42:43], v18, s90, 0
	v_mad_i64_i32 v[20:21], s[42:43], v20, s90, 0
	;; [unrolled: 1-line block ×8, first 2 shown]
	v_cndmask_b32_e32 v61, v231, v62, vcc
	s_cselect_b64 s[40:41], -1, 0
	v_mov_b32_e32 v198, 0
	v_lshlrev_b32_e32 v88, 2, v61
	v_mov_b32_e32 v62, v60
	v_mov_b32_e32 v63, v60
	s_lshl_b32 s42, s48, 6
	v_mov_b32_e32 v210, 0
	v_mov_b32_e32 v211, 0xfeffffff
	v_lshlrev_b64 v[64:65], 1, v[18:19]
	v_lshlrev_b64 v[66:67], 1, v[20:21]
	;; [unrolled: 1-line block ×8, first 2 shown]
	v_mov_b32_e32 v199, 0
	v_mov_b32_e32 v202, 0
	;; [unrolled: 1-line block ×15, first 2 shown]
	s_andn2_b64 vcc, exec, s[40:41]
	s_ashr_i32 s43, s42, 31
	s_cbranch_vccnz .LBB25_63
.LBB25_58:                              ;   in Loop: Header=BB25_16 Depth=1
                                        ; implicit-def: $sgpr47
	s_and_saveexec_b64 s[44:45], s[4:5]
	s_xor_b64 s[44:45], exec, s[44:45]
	s_cbranch_execz .LBB25_60
; %bb.59:                               ;   in Loop: Header=BB25_16 Depth=1
	ds_write_b16 v111, v108 offset:17408
	ds_write_b16 v112, v108 offset:17408
	;; [unrolled: 1-line block ×4, first 2 shown]
	s_mov_b32 s47, 0
.LBB25_60:                              ;   in Loop: Header=BB25_16 Depth=1
	s_or_saveexec_b64 s[44:45], s[44:45]
	v_mov_b32_e32 v18, s47
	v_mov_b32_e32 v19, s47
	;; [unrolled: 1-line block ×4, first 2 shown]
	s_xor_b64 exec, exec, s[44:45]
	s_cbranch_execz .LBB25_62
; %bb.61:                               ;   in Loop: Header=BB25_16 Depth=1
	s_lshl_b64 s[50:51], s[42:43], 1
	v_add_co_u32_e32 v22, vcc, s50, v85
	v_mov_b32_e32 v18, s51
	v_addc_co_u32_e32 v23, vcc, v86, v18, vcc
	v_add_co_u32_e32 v18, vcc, v22, v64
	v_addc_co_u32_e32 v19, vcc, v23, v65, vcc
	flat_load_ushort v20, v[18:19]
	v_add_co_u32_e32 v18, vcc, v22, v66
	v_addc_co_u32_e32 v19, vcc, v23, v67, vcc
	flat_load_ushort v21, v[18:19]
	;; [unrolled: 3-line block ×4, first 2 shown]
	s_waitcnt vmcnt(0) lgkmcnt(0)
	ds_write_b16 v111, v20 offset:17408
	ds_write_b16 v112, v21 offset:17408
	;; [unrolled: 1-line block ×4, first 2 shown]
	v_add_co_u32_e32 v18, vcc, v22, v72
	v_addc_co_u32_e32 v19, vcc, v23, v73, vcc
	v_add_co_u32_e32 v20, vcc, v22, v74
	v_addc_co_u32_e32 v21, vcc, v23, v75, vcc
	flat_load_ushort v18, v[18:19]
	s_nop 0
	flat_load_ushort v19, v[20:21]
	v_add_co_u32_e32 v20, vcc, v22, v76
	v_addc_co_u32_e32 v21, vcc, v23, v77, vcc
	v_add_co_u32_e32 v22, vcc, v22, v78
	v_addc_co_u32_e32 v23, vcc, v23, v79, vcc
	flat_load_ushort v20, v[20:21]
	s_nop 0
	flat_load_ushort v21, v[22:23]
.LBB25_62:                              ;   in Loop: Header=BB25_16 Depth=1
	s_or_b64 exec, exec, s[44:45]
	s_waitcnt vmcnt(0) lgkmcnt(0)
	ds_write_b16 v115, v18 offset:17408
	ds_write_b16 v116, v19 offset:17408
	;; [unrolled: 1-line block ×4, first 2 shown]
.LBB25_63:                              ;   Parent Loop BB25_16 Depth=1
                                        ; =>  This Inner Loop Header: Depth=2
	s_mul_hi_i32 s45, s42, s86
	s_mul_i32 s44, s42, s86
	s_lshl_b64 s[44:45], s[44:45], 2
	s_add_u32 s43, s77, s44
	s_addc_u32 s44, s78, s45
	v_add_co_u32_e32 v18, vcc, s43, v52
	v_mov_b32_e32 v19, s44
	v_addc_co_u32_e32 v19, vcc, v19, v53, vcc
	v_lshlrev_b32_e32 v208, 2, v38
	v_add_co_u32_e32 v18, vcc, v18, v208
	v_addc_co_u32_e32 v19, vcc, 0, v19, vcc
	v_mov_b32_e32 v22, s37
	v_mov_b32_e32 v23, s36
	buffer_store_dword v108, off, s[0:3], 0
	buffer_store_dword v108, off, s[0:3], 0 offset:4
	buffer_store_dword v108, off, s[0:3], 0 offset:8
	;; [unrolled: 1-line block ×3, first 2 shown]
	v_cndmask_b32_e64 v19, v22, v19, s[6:7]
	v_cndmask_b32_e64 v18, v23, v18, s[6:7]
	flat_load_dwordx4 v[18:21], v[18:19]
	v_add_u32_e32 v26, v109, v127
	v_add_u32_e32 v30, 0x2000, v26
	s_waitcnt vmcnt(0) lgkmcnt(0)
	ds_write_b128 v120, v[18:21]
	v_add_co_u32_e32 v18, vcc, s43, v54
	v_mov_b32_e32 v19, s44
	v_addc_co_u32_e32 v19, vcc, v19, v55, vcc
	v_add_co_u32_e32 v18, vcc, v18, v208
	v_addc_co_u32_e32 v19, vcc, 0, v19, vcc
	v_cndmask_b32_e64 v19, v22, v19, s[38:39]
	v_cndmask_b32_e64 v18, v23, v18, s[38:39]
	flat_load_dwordx4 v[18:21], v[18:19]
	s_waitcnt vmcnt(0) lgkmcnt(0)
	ds_write_b128 v122, v[18:21]
	v_add_co_u32_e32 v18, vcc, s43, v56
	v_mov_b32_e32 v19, s44
	v_addc_co_u32_e32 v19, vcc, v19, v57, vcc
	v_add_co_u32_e32 v18, vcc, v18, v208
	v_addc_co_u32_e32 v19, vcc, 0, v19, vcc
	v_cndmask_b32_e64 v19, v22, v19, s[10:11]
	v_cndmask_b32_e64 v18, v23, v18, s[10:11]
	flat_load_dwordx4 v[18:21], v[18:19]
	;; [unrolled: 10-line block ×3, first 2 shown]
	s_waitcnt vmcnt(0) lgkmcnt(0)
	ds_write_b128 v126, v[18:21]
	s_waitcnt lgkmcnt(0)
	s_barrier
	ds_read2_b64 v[18:21], v26 offset1:4
	s_waitcnt lgkmcnt(0)
	v_mfma_f32_16x16x16f16 v[22:25], v[18:19], v[14:15], 0
	v_mfma_f32_16x16x16f16 v[18:21], v[20:21], v[16:17], v[22:25]
	s_nop 7
	s_nop 1
	ds_read2_b64 v[22:25], v26 offset0:8 offset1:12
	s_waitcnt lgkmcnt(0)
	v_mfma_f32_16x16x16f16 v[18:21], v[22:23], v[10:11], v[18:21]
	v_mfma_f32_16x16x16f16 v[18:21], v[24:25], v[12:13], v[18:21]
	ds_read2_b64 v[22:25], v26 offset0:16 offset1:20
	s_waitcnt lgkmcnt(0)
	v_mfma_f32_16x16x16f16 v[18:21], v[22:23], v[6:7], v[18:21]
	v_mfma_f32_16x16x16f16 v[18:21], v[24:25], v[8:9], v[18:21]
	;; [unrolled: 4-line block ×3, first 2 shown]
	ds_read2_b64 v[22:25], v30 offset0:64 offset1:68
	s_waitcnt lgkmcnt(0)
	v_mfma_f32_16x16x16f16 v[26:29], v[22:23], v[14:15], 0
	s_nop 7
	v_cmp_nlt_f32_e64 s[44:45], |v18|, s69
	v_mfma_f32_16x16x16f16 v[22:25], v[24:25], v[16:17], v[26:29]
	s_nop 6
	ds_read2_b64 v[26:29], v30 offset0:72 offset1:76
	s_waitcnt lgkmcnt(0)
	v_mfma_f32_16x16x16f16 v[22:25], v[26:27], v[10:11], v[22:25]
	v_mfma_f32_16x16x16f16 v[22:25], v[28:29], v[12:13], v[22:25]
	ds_read2_b64 v[26:29], v30 offset0:80 offset1:84
	s_waitcnt lgkmcnt(0)
	v_mfma_f32_16x16x16f16 v[22:25], v[26:27], v[6:7], v[22:25]
	v_mfma_f32_16x16x16f16 v[22:25], v[28:29], v[8:9], v[22:25]
	ds_read2_b64 v[26:29], v30 offset0:88 offset1:92
	s_waitcnt lgkmcnt(0)
	s_barrier
	v_mfma_f32_16x16x16f16 v[22:25], v[26:27], v[2:3], v[22:25]
                                        ; implicit-def: $vgpr26
	v_mfma_f32_16x16x16f16 v[22:25], v[28:29], v[4:5], v[22:25]
	s_and_saveexec_b64 s[50:51], s[44:45]
	s_xor_b64 s[44:45], exec, s[50:51]
	s_cbranch_execz .LBB25_65
; %bb.64:                               ;   in Loop: Header=BB25_63 Depth=2
	v_add_f32_e64 v26, |v18|, |v18|
	v_mul_f32_e32 v27, 0x3fb8aa3b, v26
	v_rndne_f32_e32 v28, v27
	v_sub_f32_e32 v29, v27, v28
	v_fma_f32 v27, v26, s85, -v27
	v_fmac_f32_e32 v27, 0x32a5705f, v26
	v_add_f32_e32 v27, v29, v27
	v_cvt_i32_f32_e32 v28, v28
	v_exp_f32_e32 v27, v27
	v_cmp_ngt_f32_e32 vcc, s8, v26
	v_ldexp_f32 v27, v27, v28
	v_cndmask_b32_e32 v27, 0, v27, vcc
	v_cmp_nlt_f32_e32 vcc, s9, v26
	v_cndmask_b32_e32 v26, v228, v27, vcc
	v_add_f32_e32 v26, 1.0, v26
	v_rcp_f32_e32 v26, v26
	v_fma_f32 v26, v26, -2.0, 1.0
.LBB25_65:                              ;   in Loop: Header=BB25_63 Depth=2
	s_andn2_saveexec_b64 s[44:45], s[44:45]
; %bb.66:                               ;   in Loop: Header=BB25_63 Depth=2
	v_mul_f32_e32 v26, v18, v18
	v_mov_b32_e32 v27, 0x3ca908c9
	v_fmac_f32_e32 v27, 0xbbbac73d, v26
	v_fma_f32 v27, v26, v27, v250
	v_fma_f32 v27, v26, v27, v251
	v_fma_f32 v27, v26, v27, v252
	v_mul_f32_e64 v27, |v18|, v27
	v_fma_f32 v26, v26, v27, |v18|
; %bb.67:                               ;   in Loop: Header=BB25_63 Depth=2
	s_or_b64 exec, exec, s[44:45]
	v_cmp_nlt_f32_e64 s[44:45], |v19|, s69
                                        ; implicit-def: $vgpr27
	s_and_saveexec_b64 s[50:51], s[44:45]
	s_xor_b64 s[44:45], exec, s[50:51]
	s_cbranch_execz .LBB25_69
; %bb.68:                               ;   in Loop: Header=BB25_63 Depth=2
	v_add_f32_e64 v27, |v19|, |v19|
	v_mul_f32_e32 v28, 0x3fb8aa3b, v27
	v_rndne_f32_e32 v29, v28
	v_sub_f32_e32 v30, v28, v29
	v_fma_f32 v28, v27, s85, -v28
	v_fmac_f32_e32 v28, 0x32a5705f, v27
	v_add_f32_e32 v28, v30, v28
	v_cvt_i32_f32_e32 v29, v29
	v_exp_f32_e32 v28, v28
	v_cmp_ngt_f32_e32 vcc, s8, v27
	v_ldexp_f32 v28, v28, v29
	v_cndmask_b32_e32 v28, 0, v28, vcc
	v_cmp_nlt_f32_e32 vcc, s9, v27
	v_cndmask_b32_e32 v27, v228, v28, vcc
	v_add_f32_e32 v27, 1.0, v27
	v_rcp_f32_e32 v27, v27
	v_fma_f32 v27, v27, -2.0, 1.0
.LBB25_69:                              ;   in Loop: Header=BB25_63 Depth=2
	s_andn2_saveexec_b64 s[44:45], s[44:45]
; %bb.70:                               ;   in Loop: Header=BB25_63 Depth=2
	v_mul_f32_e32 v27, v19, v19
	v_mov_b32_e32 v28, 0x3ca908c9
	v_fmac_f32_e32 v28, 0xbbbac73d, v27
	v_fma_f32 v28, v27, v28, v250
	v_fma_f32 v28, v27, v28, v251
	;; [unrolled: 1-line block ×3, first 2 shown]
	v_mul_f32_e64 v28, |v19|, v28
	v_fma_f32 v27, v27, v28, |v19|
; %bb.71:                               ;   in Loop: Header=BB25_63 Depth=2
	s_or_b64 exec, exec, s[44:45]
	v_cmp_nlt_f32_e64 s[44:45], |v20|, s69
                                        ; implicit-def: $vgpr28
	s_and_saveexec_b64 s[50:51], s[44:45]
	s_xor_b64 s[44:45], exec, s[50:51]
	s_cbranch_execz .LBB25_73
; %bb.72:                               ;   in Loop: Header=BB25_63 Depth=2
	v_add_f32_e64 v28, |v20|, |v20|
	v_mul_f32_e32 v29, 0x3fb8aa3b, v28
	v_rndne_f32_e32 v30, v29
	v_sub_f32_e32 v31, v29, v30
	v_fma_f32 v29, v28, s85, -v29
	v_fmac_f32_e32 v29, 0x32a5705f, v28
	v_add_f32_e32 v29, v31, v29
	v_cvt_i32_f32_e32 v30, v30
	v_exp_f32_e32 v29, v29
	v_cmp_ngt_f32_e32 vcc, s8, v28
	v_ldexp_f32 v29, v29, v30
	v_cndmask_b32_e32 v29, 0, v29, vcc
	v_cmp_nlt_f32_e32 vcc, s9, v28
	v_cndmask_b32_e32 v28, v228, v29, vcc
	v_add_f32_e32 v28, 1.0, v28
	v_rcp_f32_e32 v28, v28
	v_fma_f32 v28, v28, -2.0, 1.0
.LBB25_73:                              ;   in Loop: Header=BB25_63 Depth=2
	s_andn2_saveexec_b64 s[44:45], s[44:45]
; %bb.74:                               ;   in Loop: Header=BB25_63 Depth=2
	v_mul_f32_e32 v28, v20, v20
	v_mov_b32_e32 v29, 0x3ca908c9
	v_fmac_f32_e32 v29, 0xbbbac73d, v28
	v_fma_f32 v29, v28, v29, v250
	v_fma_f32 v29, v28, v29, v251
	;; [unrolled: 1-line block ×3, first 2 shown]
	v_mul_f32_e64 v29, |v20|, v29
	v_fma_f32 v28, v28, v29, |v20|
; %bb.75:                               ;   in Loop: Header=BB25_63 Depth=2
	s_or_b64 exec, exec, s[44:45]
	v_cmp_nlt_f32_e64 s[44:45], |v21|, s69
                                        ; implicit-def: $vgpr29
	s_and_saveexec_b64 s[50:51], s[44:45]
	s_xor_b64 s[44:45], exec, s[50:51]
	s_cbranch_execz .LBB25_77
; %bb.76:                               ;   in Loop: Header=BB25_63 Depth=2
	v_add_f32_e64 v29, |v21|, |v21|
	v_mul_f32_e32 v30, 0x3fb8aa3b, v29
	v_rndne_f32_e32 v31, v30
	v_sub_f32_e32 v32, v30, v31
	v_fma_f32 v30, v29, s85, -v30
	v_fmac_f32_e32 v30, 0x32a5705f, v29
	v_add_f32_e32 v30, v32, v30
	v_cvt_i32_f32_e32 v31, v31
	v_exp_f32_e32 v30, v30
	v_cmp_ngt_f32_e32 vcc, s8, v29
	v_ldexp_f32 v30, v30, v31
	v_cndmask_b32_e32 v30, 0, v30, vcc
	v_cmp_nlt_f32_e32 vcc, s9, v29
	v_cndmask_b32_e32 v29, v228, v30, vcc
	v_add_f32_e32 v29, 1.0, v29
	v_rcp_f32_e32 v29, v29
	v_fma_f32 v29, v29, -2.0, 1.0
.LBB25_77:                              ;   in Loop: Header=BB25_63 Depth=2
	s_andn2_saveexec_b64 s[44:45], s[44:45]
; %bb.78:                               ;   in Loop: Header=BB25_63 Depth=2
	v_mul_f32_e32 v29, v21, v21
	v_mov_b32_e32 v30, 0x3ca908c9
	v_fmac_f32_e32 v30, 0xbbbac73d, v29
	v_fma_f32 v30, v29, v30, v250
	v_fma_f32 v30, v29, v30, v251
	;; [unrolled: 1-line block ×3, first 2 shown]
	v_mul_f32_e64 v30, |v21|, v30
	v_fma_f32 v29, v29, v30, |v21|
; %bb.79:                               ;   in Loop: Header=BB25_63 Depth=2
	s_or_b64 exec, exec, s[44:45]
	v_cmp_nlt_f32_e64 s[44:45], |v22|, s69
                                        ; implicit-def: $vgpr30
	s_and_saveexec_b64 s[50:51], s[44:45]
	s_xor_b64 s[44:45], exec, s[50:51]
	s_cbranch_execz .LBB25_81
; %bb.80:                               ;   in Loop: Header=BB25_63 Depth=2
	v_add_f32_e64 v30, |v22|, |v22|
	v_mul_f32_e32 v31, 0x3fb8aa3b, v30
	v_rndne_f32_e32 v32, v31
	v_sub_f32_e32 v33, v31, v32
	v_fma_f32 v31, v30, s85, -v31
	v_fmac_f32_e32 v31, 0x32a5705f, v30
	v_add_f32_e32 v31, v33, v31
	v_cvt_i32_f32_e32 v32, v32
	v_exp_f32_e32 v31, v31
	v_cmp_ngt_f32_e32 vcc, s8, v30
	v_ldexp_f32 v31, v31, v32
	v_cndmask_b32_e32 v31, 0, v31, vcc
	v_cmp_nlt_f32_e32 vcc, s9, v30
	v_cndmask_b32_e32 v30, v228, v31, vcc
	v_add_f32_e32 v30, 1.0, v30
	v_rcp_f32_e32 v30, v30
	v_fma_f32 v30, v30, -2.0, 1.0
.LBB25_81:                              ;   in Loop: Header=BB25_63 Depth=2
	s_andn2_saveexec_b64 s[44:45], s[44:45]
; %bb.82:                               ;   in Loop: Header=BB25_63 Depth=2
	v_mul_f32_e32 v30, v22, v22
	v_mov_b32_e32 v31, 0x3ca908c9
	v_fmac_f32_e32 v31, 0xbbbac73d, v30
	v_fma_f32 v31, v30, v31, v250
	v_fma_f32 v31, v30, v31, v251
	;; [unrolled: 1-line block ×3, first 2 shown]
	v_mul_f32_e64 v31, |v22|, v31
	v_fma_f32 v30, v30, v31, |v22|
; %bb.83:                               ;   in Loop: Header=BB25_63 Depth=2
	s_or_b64 exec, exec, s[44:45]
	v_cmp_nlt_f32_e64 s[44:45], |v23|, s69
                                        ; implicit-def: $vgpr31
	s_and_saveexec_b64 s[50:51], s[44:45]
	s_xor_b64 s[44:45], exec, s[50:51]
	s_cbranch_execz .LBB25_85
; %bb.84:                               ;   in Loop: Header=BB25_63 Depth=2
	v_add_f32_e64 v31, |v23|, |v23|
	v_mul_f32_e32 v32, 0x3fb8aa3b, v31
	v_rndne_f32_e32 v33, v32
	v_sub_f32_e32 v61, v32, v33
	v_fma_f32 v32, v31, s85, -v32
	v_fmac_f32_e32 v32, 0x32a5705f, v31
	v_add_f32_e32 v32, v61, v32
	v_cvt_i32_f32_e32 v33, v33
	v_exp_f32_e32 v32, v32
	v_cmp_ngt_f32_e32 vcc, s8, v31
	v_ldexp_f32 v32, v32, v33
	v_cndmask_b32_e32 v32, 0, v32, vcc
	v_cmp_nlt_f32_e32 vcc, s9, v31
	v_cndmask_b32_e32 v31, v228, v32, vcc
	v_add_f32_e32 v31, 1.0, v31
	v_rcp_f32_e32 v31, v31
	v_fma_f32 v31, v31, -2.0, 1.0
.LBB25_85:                              ;   in Loop: Header=BB25_63 Depth=2
	s_andn2_saveexec_b64 s[44:45], s[44:45]
; %bb.86:                               ;   in Loop: Header=BB25_63 Depth=2
	v_mul_f32_e32 v31, v23, v23
	v_mov_b32_e32 v32, 0x3ca908c9
	v_fmac_f32_e32 v32, 0xbbbac73d, v31
	v_fma_f32 v32, v31, v32, v250
	v_fma_f32 v32, v31, v32, v251
	;; [unrolled: 1-line block ×3, first 2 shown]
	v_mul_f32_e64 v32, |v23|, v32
	v_fma_f32 v31, v31, v32, |v23|
; %bb.87:                               ;   in Loop: Header=BB25_63 Depth=2
	s_or_b64 exec, exec, s[44:45]
	v_cmp_nlt_f32_e64 s[44:45], |v24|, s69
                                        ; implicit-def: $vgpr32
	s_and_saveexec_b64 s[50:51], s[44:45]
	s_xor_b64 s[44:45], exec, s[50:51]
	s_cbranch_execz .LBB25_89
; %bb.88:                               ;   in Loop: Header=BB25_63 Depth=2
	v_add_f32_e64 v32, |v24|, |v24|
	v_mul_f32_e32 v33, 0x3fb8aa3b, v32
	v_rndne_f32_e32 v61, v33
	v_sub_f32_e32 v190, v33, v61
	v_fma_f32 v33, v32, s85, -v33
	v_fmac_f32_e32 v33, 0x32a5705f, v32
	v_add_f32_e32 v33, v190, v33
	v_cvt_i32_f32_e32 v61, v61
	v_exp_f32_e32 v33, v33
	v_cmp_ngt_f32_e32 vcc, s8, v32
	v_ldexp_f32 v33, v33, v61
	v_cndmask_b32_e32 v33, 0, v33, vcc
	v_cmp_nlt_f32_e32 vcc, s9, v32
	v_cndmask_b32_e32 v32, v228, v33, vcc
	v_add_f32_e32 v32, 1.0, v32
	v_rcp_f32_e32 v32, v32
	v_fma_f32 v32, v32, -2.0, 1.0
.LBB25_89:                              ;   in Loop: Header=BB25_63 Depth=2
	s_andn2_saveexec_b64 s[44:45], s[44:45]
; %bb.90:                               ;   in Loop: Header=BB25_63 Depth=2
	v_mul_f32_e32 v32, v24, v24
	v_mov_b32_e32 v33, 0x3ca908c9
	v_fmac_f32_e32 v33, 0xbbbac73d, v32
	v_fma_f32 v33, v32, v33, v250
	v_fma_f32 v33, v32, v33, v251
	;; [unrolled: 1-line block ×3, first 2 shown]
	v_mul_f32_e64 v33, |v24|, v33
	v_fma_f32 v32, v32, v33, |v24|
; %bb.91:                               ;   in Loop: Header=BB25_63 Depth=2
	s_or_b64 exec, exec, s[44:45]
	v_cmp_nlt_f32_e64 s[44:45], |v25|, s69
                                        ; implicit-def: $vgpr61
	s_and_saveexec_b64 s[50:51], s[44:45]
	s_xor_b64 s[44:45], exec, s[50:51]
	s_cbranch_execz .LBB25_93
; %bb.92:                               ;   in Loop: Header=BB25_63 Depth=2
	v_add_f32_e64 v33, |v25|, |v25|
	v_mul_f32_e32 v61, 0x3fb8aa3b, v33
	v_rndne_f32_e32 v190, v61
	v_sub_f32_e32 v191, v61, v190
	v_fma_f32 v61, v33, s85, -v61
	v_fmac_f32_e32 v61, 0x32a5705f, v33
	v_add_f32_e32 v61, v191, v61
	v_cvt_i32_f32_e32 v190, v190
	v_exp_f32_e32 v61, v61
	v_cmp_ngt_f32_e32 vcc, s8, v33
	v_ldexp_f32 v61, v61, v190
	v_cndmask_b32_e32 v61, 0, v61, vcc
	v_cmp_nlt_f32_e32 vcc, s9, v33
	v_cndmask_b32_e32 v33, v228, v61, vcc
	v_add_f32_e32 v33, 1.0, v33
	v_rcp_f32_e32 v33, v33
	v_fma_f32 v61, v33, -2.0, 1.0
.LBB25_93:                              ;   in Loop: Header=BB25_63 Depth=2
	s_andn2_saveexec_b64 s[44:45], s[44:45]
; %bb.94:                               ;   in Loop: Header=BB25_63 Depth=2
	v_mul_f32_e32 v33, v25, v25
	v_mov_b32_e32 v61, 0x3ca908c9
	v_fmac_f32_e32 v61, 0xbbbac73d, v33
	v_fma_f32 v61, v33, v61, v250
	v_fma_f32 v61, v33, v61, v251
	;; [unrolled: 1-line block ×3, first 2 shown]
	v_mul_f32_e64 v61, |v25|, v61
	v_fma_f32 v61, v33, v61, |v25|
; %bb.95:                               ;   in Loop: Header=BB25_63 Depth=2
	s_or_b64 exec, exec, s[44:45]
	v_bfi_b32 v18, s68, v26, v18
	v_bfi_b32 v22, s68, v30, v22
	v_mul_f32_e32 v30, s97, v18
	v_bfi_b32 v18, s68, v27, v19
	v_bfi_b32 v23, s68, v31, v23
	v_mul_f32_e32 v31, s97, v18
	;; [unrolled: 3-line block ×3, first 2 shown]
	v_bfi_b32 v18, s68, v29, v21
	v_mul_f32_e32 v33, s97, v18
	v_bfi_b32 v18, s68, v61, v25
	v_mul_f32_e32 v22, s97, v22
	v_mul_f32_e32 v23, s97, v23
	;; [unrolled: 1-line block ×4, first 2 shown]
	s_and_b64 vcc, exec, s[40:41]
	s_cbranch_vccz .LBB25_100
; %bb.96:                               ;   in Loop: Header=BB25_63 Depth=2
	v_add_u32_e32 v18, 0x4400, v129
	ds_read2_b32 v[18:19], v18 offset1:1
	ds_read_b32 v26, v131 offset:17408
	ds_read_b32 v27, v133 offset:17408
	v_mov_b32_e32 v61, v60
	s_waitcnt lgkmcnt(2)
	v_cvt_f32_f16_e32 v20, v18
	v_cvt_f32_f16_sdwa v21, v18 dst_sel:DWORD dst_unused:UNUSED_PAD src0_sel:WORD_1
	v_cvt_f32_f16_e32 v18, v19
	v_cvt_f32_f16_sdwa v19, v19 dst_sel:DWORD dst_unused:UNUSED_PAD src0_sel:WORD_1
	s_waitcnt lgkmcnt(1)
	v_cvt_f32_f16_sdwa v191, v26 dst_sel:DWORD dst_unused:UNUSED_PAD src0_sel:WORD_1
	s_waitcnt lgkmcnt(0)
	v_cvt_f32_f16_sdwa v197, v27 dst_sel:DWORD dst_unused:UNUSED_PAD src0_sel:WORD_1
	v_cvt_f32_f16_e32 v196, v27
	v_cvt_f32_f16_e32 v190, v26
	v_pk_fma_f32 v[28:29], v[60:61], v[18:19], v[32:33]
	v_pk_fma_f32 v[26:27], v[62:63], v[20:21], v[30:31]
	;; [unrolled: 1-line block ×4, first 2 shown]
	s_cbranch_execnz .LBB25_98
.LBB25_97:                              ;   in Loop: Header=BB25_63 Depth=2
	v_pk_mov_b32 v[18:19], v[22:23], v[22:23] op_sel:[0,1]
	v_pk_mov_b32 v[26:27], v[30:31], v[30:31] op_sel:[0,1]
	;; [unrolled: 1-line block ×4, first 2 shown]
.LBB25_98:                              ;   in Loop: Header=BB25_63 Depth=2
	v_add_f32_e32 v22, 0x40051340, v26
	v_max_f32_e32 v23, v211, v211
	v_max_f32_e32 v22, v23, v22
	v_cndmask_b32_e64 v22, v211, v22, s[14:15]
	v_add_f32_e32 v23, 0x40051340, v27
	v_max_f32_e32 v24, v22, v22
	v_max_f32_e32 v23, v24, v23
	v_cndmask_b32_e64 v22, v22, v23, s[16:17]
	;; [unrolled: 4-line block ×8, first 2 shown]
	ds_bpermute_b32 v23, v87, v22
	v_max_f32_e32 v22, v22, v22
	v_cndmask_b32_e64 v19, v19, v19, s[22:23]
	v_cndmask_b32_e64 v20, v20, v20, s[22:23]
	;; [unrolled: 1-line block ×3, first 2 shown]
	s_waitcnt lgkmcnt(0)
	v_max_f32_e32 v23, v23, v23
	v_max_f32_e32 v22, v22, v23
	ds_bpermute_b32 v23, v88, v22
	s_mul_hi_i32 s45, s42, s80
	s_mul_i32 s44, s42, s80
	s_lshl_b64 s[44:45], s[44:45], 2
	s_add_u32 s43, s75, s44
	s_waitcnt lgkmcnt(0)
	v_max_f32_e32 v23, v23, v23
	v_max_f32_e32 v22, v22, v23
	v_sub_f32_e32 v23, v26, v22
	v_mul_f32_e32 v24, 0x3fb8aa3b, v23
	v_fma_f32 v25, v23, s85, -v24
	v_rndne_f32_e32 v26, v24
	v_fmac_f32_e32 v25, 0x32a5705f, v23
	v_sub_f32_e32 v24, v24, v26
	v_add_f32_e32 v24, v24, v25
	v_exp_f32_e32 v24, v24
	v_cvt_i32_f32_e32 v25, v26
	v_cmp_ngt_f32_e32 vcc, s8, v23
	v_sub_f32_e32 v18, v18, v22
	v_sub_f32_e32 v19, v19, v22
	v_ldexp_f32 v24, v24, v25
	v_cndmask_b32_e32 v24, 0, v24, vcc
	v_cmp_nlt_f32_e32 vcc, s9, v23
	v_cndmask_b32_e32 v23, v228, v24, vcc
	v_cndmask_b32_e64 v190, 0, v23, s[14:15]
	v_sub_f32_e32 v23, v27, v22
	v_mul_f32_e32 v24, 0x3fb8aa3b, v23
	v_fma_f32 v25, v23, s85, -v24
	v_rndne_f32_e32 v26, v24
	v_fmac_f32_e32 v25, 0x32a5705f, v23
	v_sub_f32_e32 v24, v24, v26
	v_add_f32_e32 v24, v24, v25
	v_exp_f32_e32 v24, v24
	v_cvt_i32_f32_e32 v25, v26
	v_cmp_ngt_f32_e32 vcc, s8, v23
	v_cndmask_b32_e64 v27, v28, v28, s[16:17]
	v_cndmask_b32_e64 v26, v29, v29, s[16:17]
	v_ldexp_f32 v24, v24, v25
	v_cndmask_b32_e32 v24, 0, v24, vcc
	v_cmp_nlt_f32_e32 vcc, s9, v23
	v_cndmask_b32_e32 v24, v228, v24, vcc
	v_mov_b32_e32 v23, s95
	v_add_f32_e32 v25, v24, v190
	v_cndmask_b32_e64 v191, v23, v24, s[16:17]
	v_sub_f32_e32 v24, v27, v22
	v_cndmask_b32_e64 v23, v190, v25, s[16:17]
	v_mul_f32_e32 v25, 0x3fb8aa3b, v24
	v_fma_f32 v27, v24, s85, -v25
	v_rndne_f32_e32 v28, v25
	v_fmac_f32_e32 v27, 0x32a5705f, v24
	v_sub_f32_e32 v25, v25, v28
	v_add_f32_e32 v25, v25, v27
	v_exp_f32_e32 v25, v25
	v_cvt_i32_f32_e32 v27, v28
	v_cmp_ngt_f32_e32 vcc, s8, v24
	s_addc_u32 s44, s76, s45
	buffer_store_dword v108, off, s[0:3], 0
	buffer_store_dword v108, off, s[0:3], 0 offset:4
	buffer_store_dword v108, off, s[0:3], 0 offset:8
	;; [unrolled: 1-line block ×3, first 2 shown]
	v_ldexp_f32 v25, v25, v27
	v_cndmask_b32_e32 v25, 0, v25, vcc
	v_cmp_nlt_f32_e32 vcc, s9, v24
	v_cndmask_b32_e32 v25, v228, v25, vcc
	v_add_f32_e32 v27, v23, v25
	v_mov_b32_e32 v24, s95
	v_cndmask_b32_e64 v195, v24, v25, s[18:19]
	v_cndmask_b32_e64 v24, v23, v27, s[18:19]
	v_sub_f32_e32 v23, v26, v22
	v_mul_f32_e32 v25, 0x3fb8aa3b, v23
	v_fma_f32 v26, v23, s85, -v25
	v_rndne_f32_e32 v27, v25
	v_fmac_f32_e32 v26, 0x32a5705f, v23
	v_sub_f32_e32 v25, v25, v27
	v_add_f32_e32 v25, v25, v26
	v_exp_f32_e32 v25, v25
	v_cvt_i32_f32_e32 v26, v27
	v_cmp_ngt_f32_e32 vcc, s8, v23
	s_add_i32 s48, s48, 1
	s_add_i32 s42, s42, 64
	v_ldexp_f32 v25, v25, v26
	v_cndmask_b32_e32 v25, 0, v25, vcc
	v_cmp_nlt_f32_e32 vcc, s9, v23
	v_cndmask_b32_e32 v25, v228, v25, vcc
	v_add_f32_e32 v26, v24, v25
	v_mov_b32_e32 v23, s95
	v_cndmask_b32_e64 v196, v23, v25, s[20:21]
	v_cndmask_b32_e64 v23, v24, v26, s[20:21]
	v_mul_f32_e32 v24, 0x3fb8aa3b, v18
	v_fma_f32 v25, v18, s85, -v24
	v_rndne_f32_e32 v26, v24
	v_fmac_f32_e32 v25, 0x32a5705f, v18
	v_sub_f32_e32 v24, v24, v26
	v_add_f32_e32 v24, v24, v25
	v_exp_f32_e32 v24, v24
	v_cvt_i32_f32_e32 v25, v26
	v_cmp_ngt_f32_e32 vcc, s8, v18
	s_cmp_lt_i32 s48, s46
	v_ldexp_f32 v24, v24, v25
	v_cndmask_b32_e32 v24, 0, v24, vcc
	v_cmp_nlt_f32_e32 vcc, s9, v18
	v_cndmask_b32_e32 v24, v228, v24, vcc
	v_add_f32_e32 v25, v24, v23
	v_mov_b32_e32 v18, s95
	v_cndmask_b32_e64 v197, v18, v24, s[22:23]
	v_cndmask_b32_e64 v18, v23, v25, s[22:23]
	v_mul_f32_e32 v23, 0x3fb8aa3b, v19
	v_fma_f32 v24, v19, s85, -v23
	v_rndne_f32_e32 v25, v23
	v_fmac_f32_e32 v24, 0x32a5705f, v19
	v_sub_f32_e32 v23, v23, v25
	v_add_f32_e32 v23, v23, v24
	v_exp_f32_e32 v23, v23
	v_cvt_i32_f32_e32 v24, v25
	v_cmp_ngt_f32_e32 vcc, s8, v19
	v_ldexp_f32 v23, v23, v24
	v_cndmask_b32_e32 v23, 0, v23, vcc
	v_cmp_nlt_f32_e32 vcc, s9, v19
	v_cndmask_b32_e32 v23, v228, v23, vcc
	v_add_f32_e32 v24, v23, v18
	v_mov_b32_e32 v19, s95
	v_cndmask_b32_e64 v206, v19, v23, s[24:25]
	v_cndmask_b32_e64 v19, v18, v24, s[24:25]
	v_sub_f32_e32 v18, v20, v22
	v_mul_f32_e32 v20, 0x3fb8aa3b, v18
	v_fma_f32 v23, v18, s85, -v20
	v_rndne_f32_e32 v24, v20
	v_fmac_f32_e32 v23, 0x32a5705f, v18
	v_sub_f32_e32 v20, v20, v24
	v_add_f32_e32 v20, v20, v23
	v_exp_f32_e32 v20, v20
	v_cvt_i32_f32_e32 v23, v24
	v_cmp_ngt_f32_e32 vcc, s8, v18
	v_ldexp_f32 v20, v20, v23
	v_cndmask_b32_e32 v20, 0, v20, vcc
	v_cmp_nlt_f32_e32 vcc, s9, v18
	v_cndmask_b32_e32 v20, v228, v20, vcc
	v_add_f32_e32 v23, v20, v19
	v_mov_b32_e32 v18, s95
	v_cndmask_b32_e64 v209, v18, v20, s[26:27]
	v_cndmask_b32_e64 v18, v19, v23, s[26:27]
	v_sub_f32_e32 v19, v21, v22
	v_mul_f32_e32 v20, 0x3fb8aa3b, v19
	v_fma_f32 v21, v19, s85, -v20
	v_rndne_f32_e32 v23, v20
	v_fmac_f32_e32 v21, 0x32a5705f, v19
	v_sub_f32_e32 v20, v20, v23
	v_add_f32_e32 v20, v20, v21
	v_exp_f32_e32 v20, v20
	v_cvt_i32_f32_e32 v21, v23
	v_cmp_ngt_f32_e32 vcc, s8, v19
	v_ldexp_f32 v20, v20, v21
	v_cndmask_b32_e32 v20, 0, v20, vcc
	v_cmp_nlt_f32_e32 vcc, s9, v19
	v_cndmask_b32_e32 v20, v228, v20, vcc
	v_add_f32_e32 v21, v20, v18
	v_mov_b32_e32 v19, s95
	v_cndmask_b32_e64 v23, v18, v21, s[28:29]
	v_sub_f32_e32 v18, v211, v22
	v_cndmask_b32_e64 v19, v19, v20, s[28:29]
	v_mul_f32_e32 v20, 0x3fb8aa3b, v18
	v_fma_f32 v21, v18, s85, -v20
	v_rndne_f32_e32 v24, v20
	v_fmac_f32_e32 v21, 0x32a5705f, v18
	v_sub_f32_e32 v20, v20, v24
	v_add_f32_e32 v20, v20, v21
	v_exp_f32_e32 v20, v20
	v_cvt_i32_f32_e32 v21, v24
	v_cmp_ngt_f32_e32 vcc, s8, v18
	v_cvt_f16_f32_e32 v19, v19
	v_ldexp_f32 v20, v20, v21
	v_cndmask_b32_e32 v20, 0, v20, vcc
	v_cmp_nlt_f32_e32 vcc, s9, v18
	v_cndmask_b32_e32 v20, v228, v20, vcc
	v_cmp_le_f32_e32 vcc, s70, v18
	v_cndmask_b32_e32 v18, 0, v20, vcc
	v_fmac_f32_e32 v23, v210, v18
	v_cvt_f16_f32_e32 v18, v18
	v_cvt_f16_f32_e32 v20, v191
	;; [unrolled: 1-line block ×3, first 2 shown]
	v_mov_b32_e32 v196, s44
	v_pk_mul_f16 v84, v18, v84 op_sel_hi:[0,1]
	v_pk_mul_f16 v83, v18, v83 op_sel_hi:[0,1]
	;; [unrolled: 1-line block ×16, first 2 shown]
	v_cvt_f16_f32_e32 v18, v190
	v_cvt_f16_f32_e32 v91, v206
	v_mov_b32_e32 v93, s44
	v_mov_b32_e32 v190, s44
	v_pack_b32_f16 v20, v18, v20
	v_cvt_f16_f32_e32 v18, v195
	v_mov_b32_e32 v195, s37
	v_mov_b32_e32 v198, s44
	v_pack_b32_f16 v21, v18, v21
	v_cvt_f16_f32_e32 v18, v197
	v_pack_b32_f16 v18, v18, v91
	v_cvt_f16_f32_e32 v91, v209
	v_pack_b32_f16 v19, v91, v19
	v_add_co_u32_e32 v91, vcc, s43, v44
	v_addc_co_u32_e32 v93, vcc, v93, v45, vcc
	v_add_co_u32_e32 v91, vcc, v91, v208
	v_addc_co_u32_e32 v93, vcc, 0, v93, vcc
	v_cndmask_b32_e64 v95, v195, v93, s[6:7]
	v_mov_b32_e32 v93, s36
	v_cndmask_b32_e64 v94, v93, v91, s[6:7]
	flat_load_dwordx4 v[204:207], v[94:95]
	v_add_co_u32_e32 v91, vcc, s43, v46
	v_addc_co_u32_e32 v190, vcc, v190, v47, vcc
	v_add_co_u32_e32 v91, vcc, v91, v208
	v_addc_co_u32_e32 v190, vcc, 0, v190, vcc
	v_cndmask_b32_e64 v191, v195, v190, s[38:39]
	v_cndmask_b32_e64 v190, v93, v91, s[38:39]
	v_add_co_u32_e32 v91, vcc, s43, v48
	v_addc_co_u32_e32 v196, vcc, v196, v49, vcc
	v_add_co_u32_e32 v91, vcc, v91, v208
	v_addc_co_u32_e32 v196, vcc, 0, v196, vcc
	v_cndmask_b32_e64 v197, v195, v196, s[10:11]
	v_cndmask_b32_e64 v196, v93, v91, s[10:11]
	;; [unrolled: 6-line block ×3, first 2 shown]
	v_add_u32_e32 v91, v134, v150
	s_waitcnt vmcnt(0) lgkmcnt(0)
	ds_write_b128 v120, v[204:207]
	flat_load_dwordx4 v[204:207], v[190:191]
	s_waitcnt vmcnt(0) lgkmcnt(0)
	ds_write_b128 v122, v[204:207]
	flat_load_dwordx4 v[204:207], v[196:197]
	;; [unrolled: 3-line block ×3, first 2 shown]
	v_add_u32_e32 v198, v134, v151
	s_waitcnt vmcnt(0) lgkmcnt(0)
	ds_write_b128 v126, v[204:207]
	s_waitcnt lgkmcnt(0)
	s_barrier
	ds_read_u16 v91, v91 offset:272
	ds_read_u16 v93, v153 offset:544
	v_cvt_f32_f16_e32 v206, v83
	v_cvt_f32_f16_sdwa v207, v83 dst_sel:DWORD dst_unused:UNUSED_PAD src0_sel:WORD_1
	ds_read_u16 v83, v198
	ds_read_u16 v190, v198 offset:32
	v_cvt_f32_f16_e32 v204, v84
	v_cvt_f32_f16_sdwa v205, v84 dst_sel:DWORD dst_unused:UNUSED_PAD src0_sel:WORD_1
	s_waitcnt lgkmcnt(1)
	v_perm_b32 v95, v83, v93, s71
	ds_read_u16 v83, v152
	ds_read_u16 v93, v152 offset:32
	ds_read_u16 v191, v152 offset:8704
	s_waitcnt lgkmcnt(2)
	v_perm_b32 v94, v91, v83, s71
	s_nop 1
	v_mfma_f32_16x16x16f16 v[204:207], v[94:95], v[20:21], v[204:207]
	v_add_u32_e32 v95, v135, v150
	ds_read_u16 v195, v95 offset:272
	ds_read_u16 v95, v154 offset:544
	;; [unrolled: 1-line block ×3, first 2 shown]
	s_waitcnt lgkmcnt(0)
	v_perm_b32 v95, v196, v95, s71
	s_nop 4
	v_cvt_f16_f32_e32 v94, v207
	v_cvt_f16_f32_e32 v83, v204
	;; [unrolled: 1-line block ×4, first 2 shown]
	v_cvt_f32_f16_e32 v207, v94
	v_perm_b32 v94, v195, v191, s71
	v_cvt_f32_f16_e32 v204, v83
	v_cvt_f32_f16_e32 v205, v84
	;; [unrolled: 1-line block ×3, first 2 shown]
	v_add_u32_e32 v191, v136, v151
	s_nop 0
	v_mfma_f32_16x16x16f16 v[204:207], v[94:95], v[18:19], v[204:207]
	v_add_u32_e32 v95, v137, v150
	s_nop 7
	s_nop 1
	v_cvt_f16_f32_e32 v83, v204
	v_cvt_f16_f32_e32 v84, v205
	;; [unrolled: 1-line block ×4, first 2 shown]
	v_cvt_f32_f16_e32 v204, v90
	v_pack_b32_f16 v84, v83, v84
	v_cvt_f32_f16_sdwa v205, v90 dst_sel:DWORD dst_unused:UNUSED_PAD src0_sel:WORD_1
	v_pack_b32_f16 v83, v91, v94
	v_add_u32_e32 v91, v136, v150
	ds_read_u16 v94, v91 offset:272
	ds_read_u16 v91, v155 offset:544
	v_cvt_f32_f16_e32 v206, v89
	v_cvt_f32_f16_sdwa v207, v89 dst_sel:DWORD dst_unused:UNUSED_PAD src0_sel:WORD_1
	s_waitcnt lgkmcnt(1)
	v_perm_b32 v90, v94, v93, s71
	s_waitcnt lgkmcnt(0)
	v_perm_b32 v91, v190, v91, s71
	ds_read_u16 v94, v156 offset:8704
	ds_read_u16 v95, v95 offset:272
	;; [unrolled: 1-line block ×3, first 2 shown]
	v_mfma_f32_16x16x16f16 v[204:207], v[90:91], v[20:21], v[204:207]
	ds_read_u16 v191, v191 offset:8704
	s_nop 7
	s_nop 1
	v_cvt_f16_f32_e32 v90, v205
	v_cvt_f16_f32_e32 v91, v206
	;; [unrolled: 1-line block ×4, first 2 shown]
	v_cvt_f32_f16_e32 v205, v90
	v_cvt_f32_f16_e32 v206, v91
	s_waitcnt lgkmcnt(0)
	v_perm_b32 v91, v191, v190, s71
	v_perm_b32 v90, v95, v94, s71
	v_cvt_f32_f16_e32 v204, v89
	v_cvt_f32_f16_e32 v207, v93
	s_nop 1
	v_mfma_f32_16x16x16f16 v[204:207], v[90:91], v[18:19], v[204:207]
	s_nop 7
	s_nop 2
	v_cvt_f16_f32_e32 v89, v204
	v_cvt_f16_f32_e32 v90, v205
	;; [unrolled: 1-line block ×4, first 2 shown]
	v_cvt_f32_f16_e32 v204, v92
	v_pack_b32_f16 v90, v89, v90
	v_cvt_f32_f16_sdwa v205, v92 dst_sel:DWORD dst_unused:UNUSED_PAD src0_sel:WORD_1
	v_pack_b32_f16 v89, v91, v93
	v_add_u32_e32 v93, v138, v150
	ds_read_u16 v91, v152 offset:64
	ds_read_u16 v93, v93 offset:272
	;; [unrolled: 1-line block ×4, first 2 shown]
	v_cvt_f32_f16_e32 v206, v61
	v_cvt_f32_f16_sdwa v207, v61 dst_sel:DWORD dst_unused:UNUSED_PAD src0_sel:WORD_1
	ds_read_u16 v190, v159 offset:8704
	s_waitcnt lgkmcnt(1)
	v_perm_b32 v95, v95, v94, s71
	v_perm_b32 v94, v93, v91, s71
	s_nop 1
	v_mfma_f32_16x16x16f16 v[92:95], v[94:95], v[20:21], v[204:207]
	s_nop 6
	v_cvt_f32_f16_e32 v204, v33
	v_cvt_f32_f16_sdwa v205, v33 dst_sel:DWORD dst_unused:UNUSED_PAD src0_sel:WORD_1
	s_nop 1
	v_cvt_f16_f32_e32 v61, v92
	v_add_u32_e32 v92, v139, v150
	ds_read_u16 v195, v92 offset:272
	ds_read_u16 v191, v160 offset:544
	v_add_u32_e32 v92, v138, v151
	ds_read_u16 v196, v92 offset:8704
	v_cvt_f16_f32_e32 v91, v93
	v_cvt_f16_f32_e32 v94, v94
	;; [unrolled: 1-line block ×3, first 2 shown]
	s_waitcnt lgkmcnt(2)
	v_perm_b32 v190, v195, v190, s71
	s_waitcnt lgkmcnt(0)
	v_perm_b32 v191, v196, v191, s71
	v_cvt_f32_f16_e32 v92, v61
	v_cvt_f32_f16_e32 v93, v91
	;; [unrolled: 1-line block ×5, first 2 shown]
	v_cvt_f32_f16_sdwa v207, v32 dst_sel:DWORD dst_unused:UNUSED_PAD src0_sel:WORD_1
	v_mfma_f32_16x16x16f16 v[92:95], v[190:191], v[18:19], v[92:95]
	v_add_u32_e32 v191, v140, v151
	s_nop 7
	s_nop 1
	v_cvt_f16_f32_e32 v61, v92
	v_cvt_f16_f32_e32 v91, v93
	;; [unrolled: 1-line block ×4, first 2 shown]
	v_pack_b32_f16 v92, v61, v91
	ds_read_u16 v61, v152 offset:96
	v_pack_b32_f16 v91, v93, v94
	v_add_u32_e32 v93, v140, v150
	ds_read_u16 v93, v93 offset:272
	ds_read_u16 v94, v161 offset:544
	;; [unrolled: 1-line block ×3, first 2 shown]
	s_waitcnt lgkmcnt(2)
	v_perm_b32 v32, v93, v61, s71
	s_waitcnt lgkmcnt(0)
	v_perm_b32 v33, v95, v94, s71
	v_add_u32_e32 v95, v141, v150
	s_nop 0
	v_mfma_f32_16x16x16f16 v[204:207], v[32:33], v[20:21], v[204:207]
	ds_read_u16 v94, v162 offset:8704
	ds_read_u16 v95, v95 offset:272
	;; [unrolled: 1-line block ×4, first 2 shown]
	s_nop 6
	v_cvt_f16_f32_e32 v32, v204
	v_cvt_f16_f32_e32 v33, v205
	;; [unrolled: 1-line block ×4, first 2 shown]
	v_cvt_f32_f16_e32 v204, v32
	v_cvt_f32_f16_e32 v205, v33
	s_waitcnt lgkmcnt(0)
	v_perm_b32 v33, v191, v190, s71
	v_perm_b32 v32, v95, v94, s71
	v_cvt_f32_f16_e32 v206, v61
	v_cvt_f32_f16_e32 v207, v93
	v_add_u32_e32 v191, v142, v151
	s_nop 0
	v_mfma_f32_16x16x16f16 v[204:207], v[32:33], v[18:19], v[204:207]
	s_nop 7
	s_nop 2
	v_cvt_f16_f32_e32 v32, v204
	v_cvt_f16_f32_e32 v33, v205
	;; [unrolled: 1-line block ×4, first 2 shown]
	v_cvt_f32_f16_e32 v204, v31
	v_pack_b32_f16 v94, v32, v33
	v_add_u32_e32 v33, v142, v150
	v_pack_b32_f16 v93, v61, v93
	ds_read_u16 v32, v152 offset:128
	ds_read_u16 v33, v33 offset:272
	;; [unrolled: 1-line block ×4, first 2 shown]
	v_cvt_f32_f16_sdwa v205, v31 dst_sel:DWORD dst_unused:UNUSED_PAD src0_sel:WORD_1
	v_cvt_f32_f16_e32 v206, v30
	v_cvt_f32_f16_sdwa v207, v30 dst_sel:DWORD dst_unused:UNUSED_PAD src0_sel:WORD_1
	s_waitcnt lgkmcnt(2)
	v_perm_b32 v30, v33, v32, s71
	s_waitcnt lgkmcnt(0)
	v_perm_b32 v31, v95, v61, s71
	v_add_u32_e32 v95, v143, v150
	ds_read_u16 v61, v165 offset:8704
	v_mfma_f32_16x16x16f16 v[30:33], v[30:31], v[20:21], v[204:207]
	ds_read_u16 v95, v95 offset:272
	ds_read_u16 v190, v166 offset:544
	;; [unrolled: 1-line block ×3, first 2 shown]
	s_waitcnt lgkmcnt(0)
	v_perm_b32 v191, v191, v190, s71
	s_nop 5
	v_cvt_f16_f32_e32 v30, v30
	v_cvt_f16_f32_e32 v31, v31
	;; [unrolled: 1-line block ×4, first 2 shown]
	v_perm_b32 v190, v95, v61, s71
	v_cvt_f32_f16_e32 v30, v30
	v_cvt_f32_f16_e32 v31, v31
	;; [unrolled: 1-line block ×4, first 2 shown]
	ds_read_u16 v61, v152 offset:160
	s_nop 0
	v_mfma_f32_16x16x16f16 v[30:33], v[190:191], v[18:19], v[30:33]
	s_nop 7
	s_nop 2
	v_cvt_f16_f32_e32 v30, v30
	v_cvt_f16_f32_e32 v31, v31
	;; [unrolled: 1-line block ×4, first 2 shown]
	v_pack_b32_f16 v207, v30, v31
	v_add_u32_e32 v30, v144, v150
	ds_read_u16 v190, v30 offset:272
	ds_read_u16 v191, v167 offset:544
	;; [unrolled: 1-line block ×3, first 2 shown]
	v_pack_b32_f16 v95, v32, v33
	v_cvt_f32_f16_e32 v30, v29
	v_cvt_f32_f16_sdwa v31, v29 dst_sel:DWORD dst_unused:UNUSED_PAD src0_sel:WORD_1
	v_cvt_f32_f16_e32 v32, v28
	v_cvt_f32_f16_sdwa v33, v28 dst_sel:DWORD dst_unused:UNUSED_PAD src0_sel:WORD_1
	s_waitcnt lgkmcnt(0)
	v_perm_b32 v29, v195, v191, s71
	v_perm_b32 v28, v190, v61, s71
	v_add_u32_e32 v190, v144, v151
	s_nop 0
	v_mfma_f32_16x16x16f16 v[28:31], v[28:29], v[20:21], v[30:33]
	s_nop 6
	v_add_u32_e32 v33, v145, v150
	ds_read_u16 v32, v168 offset:8704
	ds_read_u16 v61, v33 offset:272
	;; [unrolled: 1-line block ×4, first 2 shown]
	v_cvt_f16_f32_e32 v28, v28
	v_cvt_f16_f32_e32 v29, v29
	;; [unrolled: 1-line block ×4, first 2 shown]
	s_waitcnt lgkmcnt(0)
	v_perm_b32 v33, v190, v33, s71
	v_perm_b32 v32, v61, v32, s71
	v_cvt_f32_f16_e32 v28, v28
	v_cvt_f32_f16_e32 v29, v29
	;; [unrolled: 1-line block ×4, first 2 shown]
	s_nop 1
	v_mfma_f32_16x16x16f16 v[28:31], v[32:33], v[18:19], v[28:31]
	ds_read_u16 v32, v152 offset:192
	s_nop 7
	s_nop 1
	v_cvt_f16_f32_e32 v28, v28
	v_cvt_f16_f32_e32 v29, v29
	;; [unrolled: 1-line block ×4, first 2 shown]
	v_pack_b32_f16 v205, v28, v29
	v_add_u32_e32 v28, v146, v150
	ds_read_u16 v33, v28 offset:272
	ds_read_u16 v61, v170 offset:544
	;; [unrolled: 1-line block ×3, first 2 shown]
	v_pack_b32_f16 v204, v30, v31
	v_cvt_f32_f16_e32 v28, v27
	v_cvt_f32_f16_sdwa v29, v27 dst_sel:DWORD dst_unused:UNUSED_PAD src0_sel:WORD_1
	v_cvt_f32_f16_e32 v30, v26
	v_cvt_f32_f16_sdwa v31, v26 dst_sel:DWORD dst_unused:UNUSED_PAD src0_sel:WORD_1
	s_waitcnt lgkmcnt(0)
	v_perm_b32 v27, v190, v61, s71
	v_perm_b32 v26, v33, v32, s71
	v_add_u32_e32 v33, v146, v151
	s_nop 0
	v_mfma_f32_16x16x16f16 v[26:29], v[26:27], v[20:21], v[28:31]
	s_nop 6
	v_add_u32_e32 v31, v147, v150
	ds_read_u16 v30, v171 offset:8704
	ds_read_u16 v32, v31 offset:272
	;; [unrolled: 1-line block ×4, first 2 shown]
	v_cvt_f16_f32_e32 v26, v26
	v_cvt_f16_f32_e32 v27, v27
	;; [unrolled: 1-line block ×4, first 2 shown]
	s_waitcnt lgkmcnt(0)
	v_perm_b32 v31, v33, v31, s71
	v_perm_b32 v30, v32, v30, s71
	v_cvt_f32_f16_e32 v26, v26
	v_cvt_f32_f16_e32 v27, v27
	;; [unrolled: 1-line block ×4, first 2 shown]
	s_nop 1
	v_mfma_f32_16x16x16f16 v[26:29], v[30:31], v[18:19], v[26:29]
	ds_read_u16 v30, v152 offset:224
	s_nop 7
	s_nop 1
	v_cvt_f16_f32_e32 v26, v26
	v_cvt_f16_f32_e32 v27, v27
	;; [unrolled: 1-line block ×4, first 2 shown]
	v_pack_b32_f16 v202, v26, v27
	v_add_u32_e32 v26, v148, v150
	ds_read_u16 v31, v26 offset:272
	ds_read_u16 v32, v173 offset:544
	ds_read_u16 v33, v198 offset:224
	v_pack_b32_f16 v201, v28, v29
	v_cvt_f32_f16_e32 v26, v25
	v_cvt_f32_f16_sdwa v27, v25 dst_sel:DWORD dst_unused:UNUSED_PAD src0_sel:WORD_1
	v_cvt_f32_f16_e32 v28, v24
	v_cvt_f32_f16_sdwa v29, v24 dst_sel:DWORD dst_unused:UNUSED_PAD src0_sel:WORD_1
	s_waitcnt lgkmcnt(0)
	v_perm_b32 v25, v33, v32, s71
	v_perm_b32 v24, v31, v30, s71
	s_nop 1
	v_mfma_f32_16x16x16f16 v[24:27], v[24:25], v[20:21], v[26:29]
	s_nop 6
	ds_read_u16 v28, v174 offset:8704
	s_nop 2
	v_cvt_f16_f32_e32 v20, v24
	v_add_u32_e32 v24, v149, v150
	ds_read_u16 v29, v24 offset:272
	ds_read_u16 v30, v175 offset:544
	v_add_u32_e32 v24, v148, v151
	ds_read_u16 v31, v24 offset:8704
	v_cvt_f16_f32_e32 v21, v25
	v_cvt_f16_f32_e32 v26, v26
	v_cvt_f16_f32_e32 v27, v27
	v_cvt_f32_f16_e32 v24, v20
	v_cvt_f32_f16_e32 v25, v21
	s_waitcnt lgkmcnt(0)
	v_perm_b32 v21, v31, v30, s71
	v_perm_b32 v20, v29, v28, s71
	v_cvt_f32_f16_e32 v26, v26
	v_cvt_f32_f16_e32 v27, v27
	s_barrier
	s_nop 0
	v_mfma_f32_16x16x16f16 v[18:21], v[20:21], v[18:19], v[24:27]
	s_nop 7
	s_nop 2
	v_cvt_f16_f32_e32 v18, v18
	v_cvt_f16_f32_e32 v19, v19
	;; [unrolled: 1-line block ×4, first 2 shown]
	v_pack_b32_f16 v198, v18, v19
	v_pack_b32_f16 v199, v20, v21
	s_cbranch_scc0 .LBB25_103
; %bb.99:                               ;   in Loop: Header=BB25_63 Depth=2
	v_mov_b32_e32 v210, v23
	v_mov_b32_e32 v211, v22
	s_andn2_b64 vcc, exec, s[40:41]
	s_ashr_i32 s43, s42, 31
	s_cbranch_vccz .LBB25_58
	s_branch .LBB25_63
.LBB25_100:                             ;   in Loop: Header=BB25_63 Depth=2
                                        ; implicit-def: $vgpr26_vgpr27_vgpr28_vgpr29
                                        ; implicit-def: $vgpr18_vgpr19_vgpr20_vgpr21
	s_branch .LBB25_97
.LBB25_101:                             ;   in Loop: Header=BB25_16 Depth=1
	s_cbranch_execz .LBB25_15
	s_branch .LBB25_239
.LBB25_102:                             ;   in Loop: Header=BB25_16 Depth=1
	v_mov_b32_e32 v23, 0
	v_mov_b32_e32 v22, 0xfeffffff
	;; [unrolled: 1-line block ×17, first 2 shown]
.LBB25_103:                             ;   in Loop: Header=BB25_16 Depth=1
	s_mov_b32 s58, s90
	s_lshl_b32 s90, s48, 6
	v_readlane_b32 s40, v254, 4
	s_sub_i32 s64, s40, s90
	s_cmp_lg_u64 s[88:89], 0
	s_mov_b32 s56, s91
	s_cselect_b64 s[48:49], -1, 0
	s_ashr_i32 s91, s90, 31
	s_cmp_eq_u64 s[88:89], 0
	v_readlane_b32 s41, v254, 5
	s_cbranch_scc1 .LBB25_113
; %bb.104:                              ;   in Loop: Header=BB25_16 Depth=1
	s_lshl_b64 s[40:41], s[90:91], 1
	s_add_u32 s44, s88, s40
	s_addc_u32 s45, s89, s41
	v_cmp_le_i32_e32 vcc, s64, v34
                                        ; implicit-def: $sgpr46
	s_and_saveexec_b64 s[40:41], vcc
	s_xor_b64 s[40:41], exec, s[40:41]
	s_cbranch_execz .LBB25_106
; %bb.105:                              ;   in Loop: Header=BB25_16 Depth=1
	ds_write_b16 v111, v108 offset:17408
	ds_write_b16 v112, v108 offset:17408
	s_mov_b32 s46, 0
                                        ; implicit-def: $vgpr37
                                        ; implicit-def: $vgpr43
                                        ; implicit-def: $vgpr82
                                        ; implicit-def: $vgpr80
.LBB25_106:                             ;   in Loop: Header=BB25_16 Depth=1
	s_or_saveexec_b64 s[42:43], s[40:41]
	v_lshlrev_b32_e32 v18, 1, v34
	v_mov_b32_e32 v19, s45
	v_add_co_u32_e64 v18, s[40:41], s44, v18
	v_addc_co_u32_e64 v19, s[40:41], 0, v19, s[40:41]
	v_mov_b32_e32 v20, s46
	v_mov_b32_e32 v21, s46
	s_xor_b64 exec, exec, s[42:43]
	s_cbranch_execz .LBB25_108
; %bb.107:                              ;   in Loop: Header=BB25_16 Depth=1
	v_readlane_b32 s44, v254, 10
	v_mul_hi_u32 v20, s44, v37
	v_readlane_b32 s45, v254, 11
	v_add_u32_e32 v20, v37, v20
	v_lshrrev_b32_e32 v20, s45, v20
	v_mul_lo_u32 v20, v20, s84
	v_sub_u32_e32 v20, v37, v20
	s_mov_b32 s46, s58
	v_mad_i64_i32 v[20:21], s[40:41], v20, s46, 0
	v_lshlrev_b64 v[20:21], 1, v[20:21]
	v_add_co_u32_e64 v20, s[40:41], v18, v20
	v_addc_co_u32_e64 v21, s[40:41], v19, v21, s[40:41]
	flat_load_ushort v24, v[20:21]
	v_mul_hi_u32 v20, s44, v43
	v_add_u32_e32 v20, v43, v20
	v_lshrrev_b32_e32 v20, s45, v20
	v_mul_lo_u32 v20, v20, s84
	v_sub_u32_e32 v20, v43, v20
	v_mad_i64_i32 v[20:21], s[40:41], v20, s46, 0
	v_lshlrev_b64 v[20:21], 1, v[20:21]
	v_add_co_u32_e64 v20, s[40:41], v18, v20
	v_addc_co_u32_e64 v21, s[40:41], v19, v21, s[40:41]
	flat_load_ushort v20, v[20:21]
	s_waitcnt vmcnt(0) lgkmcnt(0)
	ds_write_b16 v111, v24 offset:17408
	ds_write_b16 v112, v20 offset:17408
	v_mul_hi_u32 v20, s44, v82
	v_add_u32_e32 v20, v82, v20
	v_lshrrev_b32_e32 v20, s45, v20
	v_mul_lo_u32 v20, v20, s84
	v_sub_u32_e32 v20, v82, v20
	v_mad_i64_i32 v[20:21], s[40:41], v20, s46, 0
	v_lshlrev_b64 v[20:21], 1, v[20:21]
	v_add_co_u32_e64 v20, s[40:41], v18, v20
	v_addc_co_u32_e64 v21, s[40:41], v19, v21, s[40:41]
	flat_load_ushort v20, v[20:21]
	v_mul_hi_u32 v21, s44, v80
	v_add_u32_e32 v21, v80, v21
	v_lshrrev_b32_e32 v21, s45, v21
	v_mul_lo_u32 v21, v21, s84
	v_sub_u32_e32 v21, v80, v21
	v_mad_i64_i32 v[24:25], s[40:41], v21, s46, 0
	v_lshlrev_b64 v[24:25], 1, v[24:25]
	v_add_co_u32_e64 v24, s[40:41], v18, v24
	v_addc_co_u32_e64 v25, s[40:41], v19, v25, s[40:41]
	flat_load_ushort v21, v[24:25]
.LBB25_108:                             ;   in Loop: Header=BB25_16 Depth=1
	s_or_b64 exec, exec, s[42:43]
	s_waitcnt vmcnt(0) lgkmcnt(0)
	ds_write_b16 v113, v20 offset:17408
	ds_write_b16 v114, v21 offset:17408
                                        ; implicit-def: $sgpr42
	s_and_saveexec_b64 s[40:41], vcc
	s_xor_b64 s[40:41], exec, s[40:41]
	s_cbranch_execz .LBB25_110
; %bb.109:                              ;   in Loop: Header=BB25_16 Depth=1
	ds_write_b16 v115, v108 offset:17408
	ds_write_b16 v116, v108 offset:17408
	s_mov_b32 s42, 0
                                        ; implicit-def: $vgpr1
                                        ; implicit-def: $vgpr18
                                        ; implicit-def: $vgpr19
                                        ; implicit-def: $vgpr35
                                        ; implicit-def: $vgpr39
                                        ; implicit-def: $vgpr81
.LBB25_110:                             ;   in Loop: Header=BB25_16 Depth=1
	s_or_saveexec_b64 s[40:41], s[40:41]
	v_mov_b32_e32 v20, s42
	v_mov_b32_e32 v21, s42
	s_xor_b64 exec, exec, s[40:41]
	s_cbranch_execz .LBB25_112
; %bb.111:                              ;   in Loop: Header=BB25_16 Depth=1
	v_readlane_b32 s44, v254, 10
	v_mul_hi_u32 v20, s44, v1
	v_readlane_b32 s45, v254, 11
	v_add_u32_e32 v20, v1, v20
	v_lshrrev_b32_e32 v20, s45, v20
	v_mul_lo_u32 v20, v20, s84
	v_sub_u32_e32 v1, v1, v20
	s_mov_b32 s46, s58
	v_mad_i64_i32 v[20:21], s[42:43], v1, s46, 0
	v_lshlrev_b64 v[20:21], 1, v[20:21]
	v_add_co_u32_e32 v20, vcc, v18, v20
	v_addc_co_u32_e32 v21, vcc, v19, v21, vcc
	flat_load_ushort v1, v[20:21]
	v_mul_hi_u32 v20, s44, v35
	v_add_u32_e32 v20, v35, v20
	v_lshrrev_b32_e32 v20, s45, v20
	v_mul_lo_u32 v20, v20, s84
	v_sub_u32_e32 v20, v35, v20
	v_mad_i64_i32 v[20:21], s[42:43], v20, s46, 0
	v_lshlrev_b64 v[20:21], 1, v[20:21]
	v_add_co_u32_e32 v20, vcc, v18, v20
	v_addc_co_u32_e32 v21, vcc, v19, v21, vcc
	flat_load_ushort v20, v[20:21]
	s_waitcnt vmcnt(0) lgkmcnt(0)
	ds_write_b16 v115, v1 offset:17408
	ds_write_b16 v116, v20 offset:17408
	v_mul_hi_u32 v1, s44, v39
	v_add_u32_e32 v1, v39, v1
	v_lshrrev_b32_e32 v1, s45, v1
	v_mul_lo_u32 v1, v1, s84
	v_sub_u32_e32 v1, v39, v1
	v_mad_i64_i32 v[20:21], s[42:43], v1, s46, 0
	v_mul_hi_u32 v1, s44, v81
	v_add_u32_e32 v1, v81, v1
	v_lshrrev_b32_e32 v1, s45, v1
	v_mul_lo_u32 v1, v1, s84
	v_lshlrev_b64 v[20:21], 1, v[20:21]
	v_sub_u32_e32 v1, v81, v1
	v_add_co_u32_e32 v20, vcc, v18, v20
	v_mad_i64_i32 v[24:25], s[42:43], v1, s46, 0
	v_addc_co_u32_e32 v21, vcc, v19, v21, vcc
	v_lshlrev_b64 v[24:25], 1, v[24:25]
	v_add_co_u32_e32 v18, vcc, v18, v24
	v_addc_co_u32_e32 v19, vcc, v19, v25, vcc
	flat_load_ushort v20, v[20:21]
	s_nop 0
	flat_load_ushort v21, v[18:19]
.LBB25_112:                             ;   in Loop: Header=BB25_16 Depth=1
	s_or_b64 exec, exec, s[40:41]
	s_waitcnt vmcnt(0) lgkmcnt(0)
	ds_write_b16 v117, v20 offset:17408
	ds_write_b16 v118, v21 offset:17408
.LBB25_113:                             ;   in Loop: Header=BB25_16 Depth=1
	s_mul_hi_i32 s41, s90, s86
	s_mul_i32 s40, s90, s86
	s_lshl_b64 s[40:41], s[40:41], 2
	s_add_u32 s46, s77, s40
	s_addc_u32 s47, s78, s41
	v_mov_b32_e32 v1, s47
	v_add_co_u32_e32 v18, vcc, s46, v52
	v_addc_co_u32_e32 v19, vcc, v1, v53, vcc
	v_lshlrev_b32_e32 v1, 2, v38
	v_add_co_u32_e32 v18, vcc, v18, v1
	v_addc_co_u32_e32 v19, vcc, 0, v19, vcc
	v_mov_b32_e32 v26, s37
	v_cmp_gt_i32_e64 s[40:41], s64, v119
	v_mov_b32_e32 v27, s36
	buffer_store_dword v108, off, s[0:3], 0
	buffer_store_dword v108, off, s[0:3], 0 offset:4
	buffer_store_dword v108, off, s[0:3], 0 offset:8
	;; [unrolled: 1-line block ×3, first 2 shown]
	v_cndmask_b32_e64 v19, v26, v19, s[40:41]
	v_cndmask_b32_e64 v18, v27, v18, s[40:41]
	flat_load_dwordx4 v[18:21], v[18:19]
	v_mov_b32_e32 v24, s47
	v_add_co_u32_e32 v25, vcc, s46, v54
	v_addc_co_u32_e32 v24, vcc, v24, v55, vcc
	v_add_co_u32_e32 v28, vcc, v25, v1
	v_addc_co_u32_e32 v24, vcc, 0, v24, vcc
	v_cmp_gt_i32_e64 s[42:43], s64, v121
	v_cndmask_b32_e64 v25, v26, v24, s[42:43]
	v_cndmask_b32_e64 v24, v27, v28, s[42:43]
	v_cmp_gt_i32_e64 s[44:45], s64, v123
	v_add_u32_e32 v32, v109, v127
	v_add_u32_e32 v33, 0x2000, v32
	s_waitcnt vmcnt(0) lgkmcnt(0)
	ds_write_b128 v120, v[18:21]
	flat_load_dwordx4 v[18:21], v[24:25]
	v_mov_b32_e32 v24, s47
	v_add_co_u32_e32 v25, vcc, s46, v56
	v_addc_co_u32_e32 v24, vcc, v24, v57, vcc
	v_add_co_u32_e32 v28, vcc, v25, v1
	v_addc_co_u32_e32 v24, vcc, 0, v24, vcc
	v_cndmask_b32_e64 v25, v26, v24, s[44:45]
	v_cndmask_b32_e64 v24, v27, v28, s[44:45]
	s_waitcnt vmcnt(0) lgkmcnt(0)
	ds_write_b128 v122, v[18:21]
	flat_load_dwordx4 v[18:21], v[24:25]
	v_mov_b32_e32 v24, s47
	v_add_co_u32_e32 v25, vcc, s46, v58
	v_addc_co_u32_e32 v24, vcc, v24, v59, vcc
	v_add_co_u32_e32 v28, vcc, v25, v1
	v_addc_co_u32_e32 v24, vcc, 0, v24, vcc
	v_cmp_gt_i32_e64 s[46:47], s64, v125
	v_cndmask_b32_e64 v25, v26, v24, s[46:47]
	v_cndmask_b32_e64 v24, v27, v28, s[46:47]
	s_waitcnt vmcnt(0) lgkmcnt(0)
	ds_write_b128 v124, v[18:21]
	flat_load_dwordx4 v[18:21], v[24:25]
	s_waitcnt vmcnt(0) lgkmcnt(0)
	ds_write_b128 v126, v[18:21]
	s_waitcnt lgkmcnt(0)
	s_barrier
	ds_read2_b64 v[18:21], v32 offset1:4
	ds_read2_b64 v[28:31], v33 offset0:64 offset1:68
	s_waitcnt lgkmcnt(1)
	v_mfma_f32_16x16x16f16 v[24:27], v[18:19], v[14:15], 0
	s_waitcnt lgkmcnt(0)
	v_mfma_f32_16x16x16f16 v[62:65], v[28:29], v[14:15], 0
	v_mfma_f32_16x16x16f16 v[18:21], v[20:21], v[16:17], v[24:27]
	;; [unrolled: 1-line block ×3, first 2 shown]
	s_nop 6
	ds_read2_b64 v[24:27], v32 offset0:8 offset1:12
	ds_read2_b64 v[28:31], v33 offset0:72 offset1:76
	s_waitcnt lgkmcnt(1)
	v_mfma_f32_16x16x16f16 v[18:21], v[24:25], v[10:11], v[18:21]
	s_waitcnt lgkmcnt(0)
	v_mfma_f32_16x16x16f16 v[14:17], v[28:29], v[10:11], v[14:17]
	v_mfma_f32_16x16x16f16 v[18:21], v[26:27], v[12:13], v[18:21]
	ds_read2_b64 v[24:27], v33 offset0:80 offset1:84
	v_mfma_f32_16x16x16f16 v[10:13], v[30:31], v[12:13], v[14:17]
	s_nop 7
	ds_read2_b64 v[14:17], v32 offset0:16 offset1:20
	s_waitcnt lgkmcnt(0)
	v_mfma_f32_16x16x16f16 v[18:21], v[14:15], v[6:7], v[18:21]
	v_mfma_f32_16x16x16f16 v[10:13], v[24:25], v[6:7], v[10:13]
	;; [unrolled: 1-line block ×4, first 2 shown]
	s_nop 7
	ds_read2_b64 v[18:21], v33 offset0:88 offset1:92
	ds_read2_b64 v[10:13], v32 offset0:24 offset1:28
	s_waitcnt lgkmcnt(0)
	v_mfma_f32_16x16x16f16 v[14:17], v[10:11], v[2:3], v[14:17]
	s_barrier
	v_mfma_f32_16x16x16f16 v[24:27], v[18:19], v[2:3], v[6:9]
	v_mfma_f32_16x16x16f16 v[6:9], v[12:13], v[4:5], v[14:17]
                                        ; implicit-def: $vgpr13
	v_mfma_f32_16x16x16f16 v[2:5], v[20:21], v[4:5], v[24:27]
	s_nop 7
	s_nop 1
	v_cmp_nlt_f32_e64 s[50:51], |v6|, s69
	s_and_saveexec_b64 s[52:53], s[50:51]
	s_xor_b64 s[50:51], exec, s[52:53]
	s_cbranch_execz .LBB25_115
; %bb.114:                              ;   in Loop: Header=BB25_16 Depth=1
	v_add_f32_e64 v10, |v6|, |v6|
	v_mul_f32_e32 v11, 0x3fb8aa3b, v10
	v_rndne_f32_e32 v12, v11
	v_sub_f32_e32 v13, v11, v12
	v_fma_f32 v11, v10, s85, -v11
	v_fmac_f32_e32 v11, 0x32a5705f, v10
	v_add_f32_e32 v11, v13, v11
	v_cvt_i32_f32_e32 v12, v12
	v_exp_f32_e32 v11, v11
	v_cmp_ngt_f32_e32 vcc, s8, v10
	v_ldexp_f32 v11, v11, v12
	v_cndmask_b32_e32 v11, 0, v11, vcc
	v_cmp_nlt_f32_e32 vcc, s9, v10
	v_cndmask_b32_e32 v10, v228, v11, vcc
	v_add_f32_e32 v10, 1.0, v10
	v_rcp_f32_e32 v10, v10
	v_fma_f32 v13, v10, -2.0, 1.0
.LBB25_115:                             ;   in Loop: Header=BB25_16 Depth=1
	s_or_saveexec_b64 s[50:51], s[50:51]
	s_mov_b32 s91, s56
	s_xor_b64 exec, exec, s[50:51]
; %bb.116:                              ;   in Loop: Header=BB25_16 Depth=1
	v_mul_f32_e32 v10, v6, v6
	v_mov_b32_e32 v11, 0x3ca908c9
	v_fmac_f32_e32 v11, 0xbbbac73d, v10
	v_fma_f32 v11, v10, v11, v250
	v_fma_f32 v11, v10, v11, v251
	;; [unrolled: 1-line block ×3, first 2 shown]
	v_mul_f32_e64 v11, |v6|, v11
	v_fma_f32 v13, v10, v11, |v6|
; %bb.117:                              ;   in Loop: Header=BB25_16 Depth=1
	s_or_b64 exec, exec, s[50:51]
	v_cmp_nlt_f32_e64 s[50:51], |v7|, s69
                                        ; implicit-def: $vgpr15
	s_and_saveexec_b64 s[52:53], s[50:51]
	s_xor_b64 s[50:51], exec, s[52:53]
	s_cbranch_execz .LBB25_119
; %bb.118:                              ;   in Loop: Header=BB25_16 Depth=1
	v_add_f32_e64 v10, |v7|, |v7|
	v_mul_f32_e32 v11, 0x3fb8aa3b, v10
	v_rndne_f32_e32 v12, v11
	v_sub_f32_e32 v14, v11, v12
	v_fma_f32 v11, v10, s85, -v11
	v_fmac_f32_e32 v11, 0x32a5705f, v10
	v_add_f32_e32 v11, v14, v11
	v_cvt_i32_f32_e32 v12, v12
	v_exp_f32_e32 v11, v11
	v_cmp_ngt_f32_e32 vcc, s8, v10
	v_ldexp_f32 v11, v11, v12
	v_cndmask_b32_e32 v11, 0, v11, vcc
	v_cmp_nlt_f32_e32 vcc, s9, v10
	v_cndmask_b32_e32 v10, v228, v11, vcc
	v_add_f32_e32 v10, 1.0, v10
	v_rcp_f32_e32 v10, v10
	v_fma_f32 v15, v10, -2.0, 1.0
.LBB25_119:                             ;   in Loop: Header=BB25_16 Depth=1
	s_andn2_saveexec_b64 s[50:51], s[50:51]
; %bb.120:                              ;   in Loop: Header=BB25_16 Depth=1
	v_mul_f32_e32 v10, v7, v7
	v_mov_b32_e32 v11, 0x3ca908c9
	v_fmac_f32_e32 v11, 0xbbbac73d, v10
	v_fma_f32 v11, v10, v11, v250
	v_fma_f32 v11, v10, v11, v251
	;; [unrolled: 1-line block ×3, first 2 shown]
	v_mul_f32_e64 v11, |v7|, v11
	v_fma_f32 v15, v10, v11, |v7|
; %bb.121:                              ;   in Loop: Header=BB25_16 Depth=1
	s_or_b64 exec, exec, s[50:51]
	v_cmp_nlt_f32_e64 s[50:51], |v8|, s69
                                        ; implicit-def: $vgpr16
	s_and_saveexec_b64 s[52:53], s[50:51]
	s_xor_b64 s[50:51], exec, s[52:53]
	s_cbranch_execz .LBB25_123
; %bb.122:                              ;   in Loop: Header=BB25_16 Depth=1
	v_add_f32_e64 v10, |v8|, |v8|
	v_mul_f32_e32 v11, 0x3fb8aa3b, v10
	v_rndne_f32_e32 v12, v11
	v_sub_f32_e32 v14, v11, v12
	v_fma_f32 v11, v10, s85, -v11
	v_fmac_f32_e32 v11, 0x32a5705f, v10
	v_add_f32_e32 v11, v14, v11
	v_cvt_i32_f32_e32 v12, v12
	v_exp_f32_e32 v11, v11
	v_cmp_ngt_f32_e32 vcc, s8, v10
	v_ldexp_f32 v11, v11, v12
	v_cndmask_b32_e32 v11, 0, v11, vcc
	v_cmp_nlt_f32_e32 vcc, s9, v10
	v_cndmask_b32_e32 v10, v228, v11, vcc
	v_add_f32_e32 v10, 1.0, v10
	v_rcp_f32_e32 v10, v10
	v_fma_f32 v16, v10, -2.0, 1.0
.LBB25_123:                             ;   in Loop: Header=BB25_16 Depth=1
	s_andn2_saveexec_b64 s[50:51], s[50:51]
; %bb.124:                              ;   in Loop: Header=BB25_16 Depth=1
	v_mul_f32_e32 v10, v8, v8
	v_mov_b32_e32 v11, 0x3ca908c9
	v_fmac_f32_e32 v11, 0xbbbac73d, v10
	v_fma_f32 v11, v10, v11, v250
	v_fma_f32 v11, v10, v11, v251
	;; [unrolled: 1-line block ×3, first 2 shown]
	v_mul_f32_e64 v11, |v8|, v11
	v_fma_f32 v16, v10, v11, |v8|
; %bb.125:                              ;   in Loop: Header=BB25_16 Depth=1
	s_or_b64 exec, exec, s[50:51]
	v_cmp_nlt_f32_e64 s[50:51], |v9|, s69
                                        ; implicit-def: $vgpr17
	s_and_saveexec_b64 s[52:53], s[50:51]
	s_xor_b64 s[50:51], exec, s[52:53]
	s_cbranch_execz .LBB25_127
; %bb.126:                              ;   in Loop: Header=BB25_16 Depth=1
	v_add_f32_e64 v10, |v9|, |v9|
	v_mul_f32_e32 v11, 0x3fb8aa3b, v10
	v_rndne_f32_e32 v12, v11
	v_sub_f32_e32 v14, v11, v12
	v_fma_f32 v11, v10, s85, -v11
	v_fmac_f32_e32 v11, 0x32a5705f, v10
	v_add_f32_e32 v11, v14, v11
	v_cvt_i32_f32_e32 v12, v12
	v_exp_f32_e32 v11, v11
	v_cmp_ngt_f32_e32 vcc, s8, v10
	v_ldexp_f32 v11, v11, v12
	v_cndmask_b32_e32 v11, 0, v11, vcc
	v_cmp_nlt_f32_e32 vcc, s9, v10
	v_cndmask_b32_e32 v10, v228, v11, vcc
	v_add_f32_e32 v10, 1.0, v10
	v_rcp_f32_e32 v10, v10
	v_fma_f32 v17, v10, -2.0, 1.0
.LBB25_127:                             ;   in Loop: Header=BB25_16 Depth=1
	s_andn2_saveexec_b64 s[50:51], s[50:51]
; %bb.128:                              ;   in Loop: Header=BB25_16 Depth=1
	v_mul_f32_e32 v10, v9, v9
	v_mov_b32_e32 v11, 0x3ca908c9
	v_fmac_f32_e32 v11, 0xbbbac73d, v10
	v_fma_f32 v11, v10, v11, v250
	v_fma_f32 v11, v10, v11, v251
	;; [unrolled: 1-line block ×3, first 2 shown]
	v_mul_f32_e64 v11, |v9|, v11
	v_fma_f32 v17, v10, v11, |v9|
; %bb.129:                              ;   in Loop: Header=BB25_16 Depth=1
	s_or_b64 exec, exec, s[50:51]
	v_cmp_nlt_f32_e64 s[50:51], |v2|, s69
                                        ; implicit-def: $vgpr10
	s_and_saveexec_b64 s[52:53], s[50:51]
	s_xor_b64 s[50:51], exec, s[52:53]
	s_cbranch_execz .LBB25_131
; %bb.130:                              ;   in Loop: Header=BB25_16 Depth=1
	v_add_f32_e64 v10, |v2|, |v2|
	v_mul_f32_e32 v11, 0x3fb8aa3b, v10
	v_rndne_f32_e32 v12, v11
	v_sub_f32_e32 v14, v11, v12
	v_fma_f32 v11, v10, s85, -v11
	v_fmac_f32_e32 v11, 0x32a5705f, v10
	v_add_f32_e32 v11, v14, v11
	v_cvt_i32_f32_e32 v12, v12
	v_exp_f32_e32 v11, v11
	v_cmp_ngt_f32_e32 vcc, s8, v10
	v_ldexp_f32 v11, v11, v12
	v_cndmask_b32_e32 v11, 0, v11, vcc
	v_cmp_nlt_f32_e32 vcc, s9, v10
	v_cndmask_b32_e32 v10, v228, v11, vcc
	v_add_f32_e32 v10, 1.0, v10
	v_rcp_f32_e32 v10, v10
	v_fma_f32 v10, v10, -2.0, 1.0
.LBB25_131:                             ;   in Loop: Header=BB25_16 Depth=1
	s_andn2_saveexec_b64 s[50:51], s[50:51]
; %bb.132:                              ;   in Loop: Header=BB25_16 Depth=1
	v_mul_f32_e32 v10, v2, v2
	v_mov_b32_e32 v11, 0x3ca908c9
	v_fmac_f32_e32 v11, 0xbbbac73d, v10
	v_fma_f32 v11, v10, v11, v250
	v_fma_f32 v11, v10, v11, v251
	v_fma_f32 v11, v10, v11, v252
	v_mul_f32_e64 v11, |v2|, v11
	v_fma_f32 v10, v10, v11, |v2|
; %bb.133:                              ;   in Loop: Header=BB25_16 Depth=1
	s_or_b64 exec, exec, s[50:51]
	v_cmp_nlt_f32_e64 s[50:51], |v3|, s69
                                        ; implicit-def: $vgpr11
	s_and_saveexec_b64 s[52:53], s[50:51]
	s_xor_b64 s[50:51], exec, s[52:53]
	s_cbranch_execz .LBB25_135
; %bb.134:                              ;   in Loop: Header=BB25_16 Depth=1
	v_add_f32_e64 v11, |v3|, |v3|
	v_mul_f32_e32 v12, 0x3fb8aa3b, v11
	v_rndne_f32_e32 v14, v12
	v_sub_f32_e32 v18, v12, v14
	v_fma_f32 v12, v11, s85, -v12
	v_fmac_f32_e32 v12, 0x32a5705f, v11
	v_add_f32_e32 v12, v18, v12
	v_cvt_i32_f32_e32 v14, v14
	v_exp_f32_e32 v12, v12
	v_cmp_ngt_f32_e32 vcc, s8, v11
	v_ldexp_f32 v12, v12, v14
	v_cndmask_b32_e32 v12, 0, v12, vcc
	v_cmp_nlt_f32_e32 vcc, s9, v11
	v_cndmask_b32_e32 v11, v228, v12, vcc
	v_add_f32_e32 v11, 1.0, v11
	v_rcp_f32_e32 v11, v11
	v_fma_f32 v11, v11, -2.0, 1.0
.LBB25_135:                             ;   in Loop: Header=BB25_16 Depth=1
	s_andn2_saveexec_b64 s[50:51], s[50:51]
; %bb.136:                              ;   in Loop: Header=BB25_16 Depth=1
	v_mul_f32_e32 v11, v3, v3
	v_mov_b32_e32 v12, 0x3ca908c9
	v_fmac_f32_e32 v12, 0xbbbac73d, v11
	v_fma_f32 v12, v11, v12, v250
	v_fma_f32 v12, v11, v12, v251
	;; [unrolled: 1-line block ×3, first 2 shown]
	v_mul_f32_e64 v12, |v3|, v12
	v_fma_f32 v11, v11, v12, |v3|
; %bb.137:                              ;   in Loop: Header=BB25_16 Depth=1
	s_or_b64 exec, exec, s[50:51]
	v_cmp_nlt_f32_e64 s[50:51], |v4|, s69
                                        ; implicit-def: $vgpr12
	s_and_saveexec_b64 s[52:53], s[50:51]
	s_xor_b64 s[50:51], exec, s[52:53]
	s_cbranch_execz .LBB25_139
; %bb.138:                              ;   in Loop: Header=BB25_16 Depth=1
	v_add_f32_e64 v12, |v4|, |v4|
	v_mul_f32_e32 v14, 0x3fb8aa3b, v12
	v_rndne_f32_e32 v18, v14
	v_sub_f32_e32 v19, v14, v18
	v_fma_f32 v14, v12, s85, -v14
	v_fmac_f32_e32 v14, 0x32a5705f, v12
	v_add_f32_e32 v14, v19, v14
	v_cvt_i32_f32_e32 v18, v18
	v_exp_f32_e32 v14, v14
	v_cmp_ngt_f32_e32 vcc, s8, v12
	v_ldexp_f32 v14, v14, v18
	v_cndmask_b32_e32 v14, 0, v14, vcc
	v_cmp_nlt_f32_e32 vcc, s9, v12
	v_cndmask_b32_e32 v12, v228, v14, vcc
	v_add_f32_e32 v12, 1.0, v12
	v_rcp_f32_e32 v12, v12
	v_fma_f32 v12, v12, -2.0, 1.0
.LBB25_139:                             ;   in Loop: Header=BB25_16 Depth=1
	s_andn2_saveexec_b64 s[50:51], s[50:51]
; %bb.140:                              ;   in Loop: Header=BB25_16 Depth=1
	v_mul_f32_e32 v12, v4, v4
	v_mov_b32_e32 v14, 0x3ca908c9
	v_fmac_f32_e32 v14, 0xbbbac73d, v12
	v_fma_f32 v14, v12, v14, v250
	v_fma_f32 v14, v12, v14, v251
	v_fma_f32 v14, v12, v14, v252
	v_mul_f32_e64 v14, |v4|, v14
	v_fma_f32 v12, v12, v14, |v4|
; %bb.141:                              ;   in Loop: Header=BB25_16 Depth=1
	s_or_b64 exec, exec, s[50:51]
	v_cmp_nlt_f32_e64 s[50:51], |v5|, s69
                                        ; implicit-def: $vgpr18
	s_and_saveexec_b64 s[52:53], s[50:51]
	s_xor_b64 s[50:51], exec, s[52:53]
	s_cbranch_execz .LBB25_143
; %bb.142:                              ;   in Loop: Header=BB25_16 Depth=1
	v_add_f32_e64 v14, |v5|, |v5|
	v_mul_f32_e32 v18, 0x3fb8aa3b, v14
	v_rndne_f32_e32 v19, v18
	v_sub_f32_e32 v20, v18, v19
	v_fma_f32 v18, v14, s85, -v18
	v_fmac_f32_e32 v18, 0x32a5705f, v14
	v_add_f32_e32 v18, v20, v18
	v_cvt_i32_f32_e32 v19, v19
	v_exp_f32_e32 v18, v18
	v_cmp_ngt_f32_e32 vcc, s8, v14
	v_ldexp_f32 v18, v18, v19
	v_cndmask_b32_e32 v18, 0, v18, vcc
	v_cmp_nlt_f32_e32 vcc, s9, v14
	v_cndmask_b32_e32 v14, v228, v18, vcc
	v_add_f32_e32 v14, 1.0, v14
	v_rcp_f32_e32 v14, v14
	v_fma_f32 v18, v14, -2.0, 1.0
.LBB25_143:                             ;   in Loop: Header=BB25_16 Depth=1
	s_andn2_saveexec_b64 s[50:51], s[50:51]
; %bb.144:                              ;   in Loop: Header=BB25_16 Depth=1
	v_mul_f32_e32 v14, v5, v5
	v_mov_b32_e32 v18, 0x3ca908c9
	v_fmac_f32_e32 v18, 0xbbbac73d, v14
	v_fma_f32 v18, v14, v18, v250
	v_fma_f32 v18, v14, v18, v251
	v_fma_f32 v18, v14, v18, v252
	v_mul_f32_e64 v18, |v5|, v18
	v_fma_f32 v18, v14, v18, |v5|
; %bb.145:                              ;   in Loop: Header=BB25_16 Depth=1
	s_or_b64 exec, exec, s[50:51]
	v_bfi_b32 v2, s68, v10, v2
	v_mul_f32_e32 v10, s97, v2
	v_bfi_b32 v2, s68, v11, v3
	v_mul_f32_e32 v11, s97, v2
	;; [unrolled: 2-line block ×8, first 2 shown]
	s_and_b64 vcc, exec, s[48:49]
	s_cbranch_vccz .LBB25_450
; %bb.146:                              ;   in Loop: Header=BB25_16 Depth=1
	v_add_u32_e32 v2, 0x4400, v129
	ds_read2_b32 v[2:3], v2 offset1:1
	ds_read_b32 v6, v131 offset:17408
	ds_read_b32 v7, v133 offset:17408
	s_waitcnt lgkmcnt(2)
	v_cvt_f32_f16_e32 v4, v2
	v_cvt_f32_f16_sdwa v5, v2 dst_sel:DWORD dst_unused:UNUSED_PAD src0_sel:WORD_1
	v_cvt_f32_f16_e32 v2, v3
	v_cvt_f32_f16_sdwa v3, v3 dst_sel:DWORD dst_unused:UNUSED_PAD src0_sel:WORD_1
	s_waitcnt lgkmcnt(1)
	v_cvt_f32_f16_sdwa v19, v6 dst_sel:DWORD dst_unused:UNUSED_PAD src0_sel:WORD_1
	s_waitcnt lgkmcnt(0)
	v_cvt_f32_f16_sdwa v21, v7 dst_sel:DWORD dst_unused:UNUSED_PAD src0_sel:WORD_1
	v_cvt_f32_f16_e32 v20, v7
	v_cvt_f32_f16_e32 v18, v6
	v_pk_fma_f32 v[8:9], v[60:61], v[2:3], v[16:17] op_sel_hi:[0,1,1]
	v_pk_fma_f32 v[6:7], v[60:61], v[4:5], v[14:15] op_sel_hi:[0,1,1]
	;; [unrolled: 1-line block ×4, first 2 shown]
	s_cbranch_execnz .LBB25_148
.LBB25_147:                             ;   in Loop: Header=BB25_16 Depth=1
	v_pk_mov_b32 v[2:3], v[10:11], v[10:11] op_sel:[0,1]
	v_pk_mov_b32 v[6:7], v[14:15], v[14:15] op_sel:[0,1]
	;; [unrolled: 1-line block ×4, first 2 shown]
.LBB25_148:                             ;   in Loop: Header=BB25_16 Depth=1
	v_add_f32_e32 v10, 0x40051340, v6
	v_max_f32_e32 v11, v22, v22
	v_cmp_gt_u32_e64 s[60:61], s64, v128
	v_max_f32_e32 v10, v11, v10
	v_cndmask_b32_e64 v10, v22, v10, s[60:61]
	v_add_f32_e32 v11, 0x40051340, v7
	v_max_f32_e32 v12, v10, v10
	v_cmp_gt_u32_e64 s[62:63], s64, v181
	v_max_f32_e32 v11, v12, v11
	v_cndmask_b32_e64 v10, v10, v11, s[62:63]
	v_add_f32_e32 v11, 0x40051340, v8
	v_max_f32_e32 v12, v10, v10
	v_cmp_gt_u32_e64 s[56:57], s64, v182
	v_max_f32_e32 v11, v12, v11
	v_cndmask_b32_e64 v10, v10, v11, s[56:57]
	v_add_f32_e32 v11, 0x40051340, v9
	v_max_f32_e32 v12, v10, v10
	v_cmp_gt_u32_e64 s[54:55], s64, v183
	v_max_f32_e32 v11, v12, v11
	v_cndmask_b32_e64 v10, v10, v11, s[54:55]
	v_add_f32_e32 v11, 0x40051340, v2
	v_max_f32_e32 v12, v10, v10
	v_cmp_gt_u32_e64 s[52:53], s64, v130
	v_max_f32_e32 v11, v12, v11
	v_cndmask_b32_e64 v10, v10, v11, s[52:53]
	v_add_f32_e32 v11, 0x40051340, v3
	v_max_f32_e32 v12, v10, v10
	v_cmp_gt_u32_e64 s[50:51], s64, v184
	v_max_f32_e32 v11, v12, v11
	v_cndmask_b32_e64 v10, v10, v11, s[50:51]
	v_add_f32_e32 v11, 0x40051340, v4
	v_max_f32_e32 v12, v10, v10
	v_cmp_gt_u32_e64 s[48:49], s64, v132
	v_max_f32_e32 v11, v12, v11
	v_cndmask_b32_e64 v10, v10, v11, s[48:49]
	v_add_f32_e32 v11, 0x40051340, v5
	v_max_f32_e32 v12, v10, v10
	v_cmp_gt_u32_e32 vcc, s64, v185
	v_max_f32_e32 v11, v12, v11
	v_cndmask_b32_e32 v10, v10, v11, vcc
	v_and_b32_e32 v11, 64, v231
	v_add_u32_e32 v12, 64, v11
	v_xor_b32_e32 v11, 32, v231
	v_cmp_lt_i32_e64 s[64:65], v11, v12
	v_cndmask_b32_e64 v11, v231, v11, s[64:65]
	v_lshlrev_b32_e32 v11, 2, v11
	ds_bpermute_b32 v13, v11, v10
	v_max_f32_e32 v10, v10, v10
	v_cndmask_b32_e64 v8, v8, v8, s[62:63]
	v_cndmask_b32_e64 v9, v9, v9, s[62:63]
	;; [unrolled: 1-line block ×3, first 2 shown]
	s_waitcnt lgkmcnt(0)
	v_max_f32_e32 v13, v13, v13
	v_max_f32_e32 v10, v10, v13
	v_xor_b32_e32 v13, 16, v231
	v_cmp_lt_i32_e64 s[64:65], v13, v12
	v_cndmask_b32_e64 v12, v231, v13, s[64:65]
	v_lshlrev_b32_e32 v21, 2, v12
	ds_bpermute_b32 v12, v21, v10
	v_cndmask_b32_e64 v5, v5, v5, s[52:53]
	v_cndmask_b32_e64 v4, v4, v4, s[52:53]
	buffer_store_dword v108, off, s[0:3], 0
	buffer_store_dword v108, off, s[0:3], 0 offset:4
	buffer_store_dword v108, off, s[0:3], 0 offset:8
	;; [unrolled: 1-line block ×3, first 2 shown]
	s_waitcnt lgkmcnt(0)
	v_max_f32_e32 v12, v12, v12
	v_max_f32_e32 v10, v10, v12
	v_sub_f32_e32 v6, v6, v10
	v_mul_f32_e32 v12, 0x3fb8aa3b, v6
	v_fma_f32 v13, v6, s85, -v12
	v_rndne_f32_e32 v14, v12
	v_fmac_f32_e32 v13, 0x32a5705f, v6
	v_sub_f32_e32 v12, v12, v14
	v_add_f32_e32 v12, v12, v13
	v_exp_f32_e32 v12, v12
	v_cvt_i32_f32_e32 v13, v14
	v_cmp_ngt_f32_e64 s[64:65], s8, v6
	v_sub_f32_e32 v2, v2, v10
	v_sub_f32_e32 v3, v3, v10
	v_ldexp_f32 v12, v12, v13
	v_cndmask_b32_e64 v12, 0, v12, s[64:65]
	v_cmp_nlt_f32_e64 s[64:65], s9, v6
	v_cndmask_b32_e64 v6, v228, v12, s[64:65]
	v_cndmask_b32_e64 v28, 0, v6, s[60:61]
	v_sub_f32_e32 v6, v7, v10
	v_mul_f32_e32 v7, 0x3fb8aa3b, v6
	v_fma_f32 v12, v6, s85, -v7
	v_rndne_f32_e32 v13, v7
	v_fmac_f32_e32 v12, 0x32a5705f, v6
	v_sub_f32_e32 v7, v7, v13
	v_add_f32_e32 v7, v7, v12
	v_exp_f32_e32 v7, v7
	v_cvt_i32_f32_e32 v12, v13
	v_cmp_ngt_f32_e64 s[60:61], s8, v6
	v_ldexp_f32 v7, v7, v12
	v_cndmask_b32_e64 v7, 0, v7, s[60:61]
	v_cmp_nlt_f32_e64 s[60:61], s9, v6
	v_cndmask_b32_e64 v6, v228, v7, s[60:61]
	v_mov_b32_e32 v7, s95
	v_add_f32_e32 v12, v6, v28
	v_cndmask_b32_e64 v25, v7, v6, s[62:63]
	v_sub_f32_e32 v6, v8, v10
	v_mul_f32_e32 v8, 0x3fb8aa3b, v6
	v_cndmask_b32_e64 v7, v28, v12, s[62:63]
	v_fma_f32 v12, v6, s85, -v8
	v_rndne_f32_e32 v13, v8
	v_fmac_f32_e32 v12, 0x32a5705f, v6
	v_sub_f32_e32 v8, v8, v13
	v_add_f32_e32 v8, v8, v12
	v_exp_f32_e32 v8, v8
	v_cvt_i32_f32_e32 v12, v13
	v_cmp_ngt_f32_e64 s[60:61], s8, v6
	v_ldexp_f32 v8, v8, v12
	v_cndmask_b32_e64 v8, 0, v8, s[60:61]
	v_cmp_nlt_f32_e64 s[60:61], s9, v6
	v_cndmask_b32_e64 v8, v228, v8, s[60:61]
	v_add_f32_e32 v12, v7, v8
	v_mov_b32_e32 v6, s95
	v_cndmask_b32_e64 v27, v6, v8, s[56:57]
	v_cndmask_b32_e64 v6, v7, v12, s[56:57]
	v_sub_f32_e32 v7, v9, v10
	v_mul_f32_e32 v8, 0x3fb8aa3b, v7
	v_fma_f32 v9, v7, s85, -v8
	v_rndne_f32_e32 v12, v8
	v_fmac_f32_e32 v9, 0x32a5705f, v7
	v_sub_f32_e32 v8, v8, v12
	v_add_f32_e32 v8, v8, v9
	v_exp_f32_e32 v8, v8
	v_cvt_i32_f32_e32 v9, v12
	v_cmp_ngt_f32_e64 s[56:57], s8, v7
	v_ldexp_f32 v8, v8, v9
	v_cndmask_b32_e64 v8, 0, v8, s[56:57]
	v_cmp_nlt_f32_e64 s[56:57], s9, v7
	v_cndmask_b32_e64 v8, v228, v8, s[56:57]
	v_mov_b32_e32 v7, s95
	v_add_f32_e32 v9, v6, v8
	v_cndmask_b32_e64 v29, v7, v8, s[54:55]
	v_mul_f32_e32 v7, 0x3fb8aa3b, v2
	v_cndmask_b32_e64 v6, v6, v9, s[54:55]
	v_fma_f32 v8, v2, s85, -v7
	v_rndne_f32_e32 v9, v7
	v_fmac_f32_e32 v8, 0x32a5705f, v2
	v_sub_f32_e32 v7, v7, v9
	v_add_f32_e32 v7, v7, v8
	v_exp_f32_e32 v7, v7
	v_cvt_i32_f32_e32 v8, v9
	v_cmp_ngt_f32_e64 s[54:55], s8, v2
	v_ldexp_f32 v7, v7, v8
	v_cndmask_b32_e64 v7, 0, v7, s[54:55]
	v_cmp_nlt_f32_e64 s[54:55], s9, v2
	v_cndmask_b32_e64 v7, v228, v7, s[54:55]
	v_add_f32_e32 v8, v7, v6
	v_mov_b32_e32 v2, s95
	v_cndmask_b32_e64 v30, v2, v7, s[52:53]
	v_cndmask_b32_e64 v2, v6, v8, s[52:53]
	v_mul_f32_e32 v6, 0x3fb8aa3b, v3
	v_fma_f32 v7, v3, s85, -v6
	v_rndne_f32_e32 v8, v6
	v_fmac_f32_e32 v7, 0x32a5705f, v3
	v_sub_f32_e32 v6, v6, v8
	v_add_f32_e32 v6, v6, v7
	v_exp_f32_e32 v6, v6
	v_cvt_i32_f32_e32 v7, v8
	v_cmp_ngt_f32_e64 s[52:53], s8, v3
	v_ldexp_f32 v6, v6, v7
	v_cndmask_b32_e64 v6, 0, v6, s[52:53]
	v_cmp_nlt_f32_e64 s[52:53], s9, v3
	v_cndmask_b32_e64 v6, v228, v6, s[52:53]
	v_add_f32_e32 v7, v6, v2
	v_mov_b32_e32 v3, s95
	v_cndmask_b32_e64 v31, v3, v6, s[50:51]
	v_cndmask_b32_e64 v3, v2, v7, s[50:51]
	v_sub_f32_e32 v2, v4, v10
	v_mul_f32_e32 v4, 0x3fb8aa3b, v2
	v_fma_f32 v6, v2, s85, -v4
	v_rndne_f32_e32 v7, v4
	v_fmac_f32_e32 v6, 0x32a5705f, v2
	v_sub_f32_e32 v4, v4, v7
	v_add_f32_e32 v4, v4, v6
	v_exp_f32_e32 v4, v4
	v_cvt_i32_f32_e32 v6, v7
	v_cmp_ngt_f32_e64 s[50:51], s8, v2
	v_ldexp_f32 v4, v4, v6
	v_cndmask_b32_e64 v4, 0, v4, s[50:51]
	v_cmp_nlt_f32_e64 s[50:51], s9, v2
	v_cndmask_b32_e64 v4, v228, v4, s[50:51]
	v_add_f32_e32 v6, v4, v3
	v_mov_b32_e32 v2, s95
	v_cndmask_b32_e64 v32, v2, v4, s[48:49]
	v_cndmask_b32_e64 v2, v3, v6, s[48:49]
	v_sub_f32_e32 v3, v5, v10
	v_mul_f32_e32 v4, 0x3fb8aa3b, v3
	v_fma_f32 v5, v3, s85, -v4
	v_rndne_f32_e32 v6, v4
	v_fmac_f32_e32 v5, 0x32a5705f, v3
	v_sub_f32_e32 v4, v4, v6
	v_add_f32_e32 v4, v4, v5
	v_exp_f32_e32 v4, v4
	v_cvt_i32_f32_e32 v5, v6
	v_cmp_ngt_f32_e64 s[48:49], s8, v3
	v_ldexp_f32 v4, v4, v5
	v_cndmask_b32_e64 v4, 0, v4, s[48:49]
	v_cmp_nlt_f32_e64 s[48:49], s9, v3
	v_cndmask_b32_e64 v4, v228, v4, s[48:49]
	v_add_f32_e32 v5, v4, v2
	v_mov_b32_e32 v3, s95
	v_cndmask_b32_e32 v24, v2, v5, vcc
	v_sub_f32_e32 v2, v22, v10
	v_cndmask_b32_e32 v3, v3, v4, vcc
	v_mul_f32_e32 v4, 0x3fb8aa3b, v2
	v_fma_f32 v5, v2, s85, -v4
	v_rndne_f32_e32 v6, v4
	v_fmac_f32_e32 v5, 0x32a5705f, v2
	v_sub_f32_e32 v4, v4, v6
	v_add_f32_e32 v4, v4, v5
	v_exp_f32_e32 v4, v4
	v_cvt_i32_f32_e32 v5, v6
	v_cmp_ngt_f32_e32 vcc, s8, v2
	v_cvt_f16_f32_e32 v3, v3
	s_mul_hi_i32 s49, s90, s80
	v_ldexp_f32 v4, v4, v5
	v_cndmask_b32_e32 v4, 0, v4, vcc
	v_cmp_nlt_f32_e32 vcc, s9, v2
	v_cndmask_b32_e32 v4, v228, v4, vcc
	v_cmp_le_f32_e32 vcc, s70, v2
	v_cndmask_b32_e32 v2, 0, v4, vcc
	v_fmac_f32_e32 v24, v23, v2
	v_cvt_f16_f32_e32 v2, v2
	v_cvt_f16_f32_e32 v4, v25
	;; [unrolled: 1-line block ×4, first 2 shown]
	v_pk_mul_f16 v26, v2, v84 op_sel_hi:[0,1]
	v_pk_mul_f16 v6, v2, v83 op_sel_hi:[0,1]
	;; [unrolled: 1-line block ×16, first 2 shown]
	v_cvt_f16_f32_e32 v2, v28
	s_mul_i32 s48, s90, s80
	s_lshl_b64 s[48:49], s[48:49], 2
	s_add_u32 s48, s75, s48
	v_pack_b32_f16 v4, v2, v4
	v_cvt_f16_f32_e32 v2, v27
	s_addc_u32 s49, s76, s49
	v_mov_b32_e32 v27, s49
	v_mov_b32_e32 v31, s49
	v_pack_b32_f16 v5, v2, v5
	v_cvt_f16_f32_e32 v2, v30
	v_mov_b32_e32 v30, s37
	s_cmp_eq_u64 s[30:31], 0
	v_pack_b32_f16 v2, v2, v25
	v_cvt_f16_f32_e32 v25, v32
	v_pack_b32_f16 v3, v25, v3
	v_add_co_u32_e32 v25, vcc, s48, v44
	v_addc_co_u32_e32 v27, vcc, v27, v45, vcc
	v_add_co_u32_e32 v25, vcc, v25, v1
	v_addc_co_u32_e32 v27, vcc, 0, v27, vcc
	v_cndmask_b32_e64 v29, v30, v27, s[40:41]
	v_mov_b32_e32 v27, s36
	v_cndmask_b32_e64 v28, v27, v25, s[40:41]
	v_add_co_u32_e32 v25, vcc, s48, v46
	v_addc_co_u32_e32 v31, vcc, v31, v47, vcc
	v_add_co_u32_e32 v25, vcc, v25, v1
	v_addc_co_u32_e32 v31, vcc, 0, v31, vcc
	v_cndmask_b32_e64 v33, v30, v31, s[42:43]
	v_cndmask_b32_e64 v32, v27, v25, s[42:43]
	v_add_co_u32_e32 v25, vcc, s48, v48
	v_mov_b32_e32 v31, s49
	v_addc_co_u32_e32 v31, vcc, v31, v49, vcc
	v_add_co_u32_e32 v25, vcc, v25, v1
	v_addc_co_u32_e32 v31, vcc, 0, v31, vcc
	v_cndmask_b32_e64 v63, v30, v31, s[44:45]
	v_cndmask_b32_e64 v62, v27, v25, s[44:45]
	v_add_co_u32_e32 v25, vcc, s48, v50
	v_mov_b32_e32 v31, s49
	v_addc_co_u32_e32 v31, vcc, v31, v51, vcc
	v_add_co_u32_e32 v1, vcc, v25, v1
	v_addc_co_u32_e32 v25, vcc, 0, v31, vcc
	v_cndmask_b32_e64 v65, v30, v25, s[46:47]
	flat_load_dwordx4 v[28:31], v[28:29]
	v_cndmask_b32_e64 v64, v27, v1, s[46:47]
	v_add_u32_e32 v1, v134, v150
	v_add_u32_e32 v25, v134, v151
	v_readlane_b32 s42, v254, 56
	v_readlane_b32 s43, v254, 57
	s_cselect_b64 s[40:41], -1, 0
	s_xor_b64 s[42:43], s[42:43], -1
	s_or_b64 s[40:41], s[42:43], s[40:41]
	s_waitcnt vmcnt(0) lgkmcnt(0)
	ds_write_b128 v120, v[28:31]
	flat_load_dwordx4 v[28:31], v[32:33]
	s_waitcnt vmcnt(0) lgkmcnt(0)
	ds_write_b128 v122, v[28:31]
	flat_load_dwordx4 v[28:31], v[62:63]
	;; [unrolled: 3-line block ×3, first 2 shown]
	s_waitcnt vmcnt(0) lgkmcnt(0)
	ds_write_b128 v126, v[28:31]
	s_waitcnt lgkmcnt(0)
	s_barrier
	ds_read_u16 v1, v1 offset:272
	ds_read_u16 v27, v153 offset:544
	v_cvt_f32_f16_e32 v28, v26
	v_cvt_f32_f16_sdwa v29, v26 dst_sel:DWORD dst_unused:UNUSED_PAD src0_sel:WORD_1
	v_cvt_f32_f16_e32 v30, v6
	v_cvt_f32_f16_sdwa v31, v6 dst_sel:DWORD dst_unused:UNUSED_PAD src0_sel:WORD_1
	ds_read_u16 v6, v25
	ds_read_u16 v26, v25 offset:32
	s_waitcnt lgkmcnt(1)
	v_perm_b32 v33, v6, v27, s71
	ds_read_u16 v6, v152
	ds_read_u16 v27, v152 offset:32
	s_waitcnt lgkmcnt(1)
	v_perm_b32 v32, v1, v6, s71
	s_nop 1
	v_mfma_f32_16x16x16f16 v[28:31], v[32:33], v[4:5], v[28:31]
	ds_read_u16 v32, v152 offset:8704
	s_nop 7
	s_nop 1
	v_cvt_f16_f32_e32 v1, v28
	v_add_u32_e32 v28, v135, v150
	ds_read_u16 v35, v28 offset:272
	ds_read_u16 v33, v154 offset:544
	;; [unrolled: 1-line block ×3, first 2 shown]
	v_cvt_f16_f32_e32 v6, v29
	v_cvt_f16_f32_e32 v30, v30
	;; [unrolled: 1-line block ×3, first 2 shown]
	s_waitcnt lgkmcnt(2)
	v_perm_b32 v32, v35, v32, s71
	s_waitcnt lgkmcnt(0)
	v_perm_b32 v33, v37, v33, s71
	v_cvt_f32_f16_e32 v28, v1
	v_cvt_f32_f16_e32 v29, v6
	;; [unrolled: 1-line block ×4, first 2 shown]
	s_nop 1
	v_mfma_f32_16x16x16f16 v[28:31], v[32:33], v[2:3], v[28:31]
	s_nop 7
	s_nop 2
	v_cvt_f16_f32_e32 v1, v28
	v_cvt_f16_f32_e32 v6, v29
	;; [unrolled: 1-line block ×4, first 2 shown]
	v_cvt_f32_f16_e32 v30, v7
	v_pack_b32_f16 v6, v1, v6
	v_cvt_f32_f16_sdwa v31, v7 dst_sel:DWORD dst_unused:UNUSED_PAD src0_sel:WORD_1
	v_pack_b32_f16 v1, v28, v29
	v_add_u32_e32 v28, v136, v150
	ds_read_u16 v32, v28 offset:272
	ds_read_u16 v33, v155 offset:544
	v_cvt_f32_f16_e32 v28, v8
	v_cvt_f32_f16_sdwa v29, v8 dst_sel:DWORD dst_unused:UNUSED_PAD src0_sel:WORD_1
	s_waitcnt lgkmcnt(1)
	v_perm_b32 v32, v32, v27, s71
	s_waitcnt lgkmcnt(0)
	v_perm_b32 v33, v26, v33, s71
	s_nop 1
	v_mfma_f32_16x16x16f16 v[26:29], v[32:33], v[4:5], v[28:31]
	s_nop 6
	ds_read_u16 v30, v156 offset:8704
	s_nop 2
	v_cvt_f16_f32_e32 v7, v26
	v_add_u32_e32 v26, v137, v150
	ds_read_u16 v32, v26 offset:272
	ds_read_u16 v31, v157 offset:544
	v_add_u32_e32 v26, v136, v151
	ds_read_u16 v33, v26 offset:8704
	v_cvt_f16_f32_e32 v8, v27
	v_cvt_f16_f32_e32 v28, v28
	v_cvt_f16_f32_e32 v29, v29
	s_waitcnt lgkmcnt(2)
	v_perm_b32 v30, v32, v30, s71
	s_waitcnt lgkmcnt(0)
	v_perm_b32 v31, v33, v31, s71
	v_cvt_f32_f16_e32 v26, v7
	v_cvt_f32_f16_e32 v27, v8
	v_cvt_f32_f16_e32 v28, v28
	v_cvt_f32_f16_e32 v29, v29
	s_nop 1
	v_mfma_f32_16x16x16f16 v[26:29], v[30:31], v[2:3], v[26:29]
	ds_read_u16 v30, v152 offset:64
	s_nop 7
	s_nop 1
	v_cvt_f16_f32_e32 v7, v26
	v_cvt_f16_f32_e32 v8, v27
	v_cvt_f16_f32_e32 v26, v28
	v_cvt_f16_f32_e32 v27, v29
	v_cvt_f32_f16_e32 v28, v9
	v_pack_b32_f16 v8, v7, v8
	v_cvt_f32_f16_sdwa v29, v9 dst_sel:DWORD dst_unused:UNUSED_PAD src0_sel:WORD_1
	v_pack_b32_f16 v7, v26, v27
	v_add_u32_e32 v26, v138, v150
	ds_read_u16 v32, v26 offset:272
	ds_read_u16 v31, v158 offset:544
	ds_read_u16 v33, v25 offset:64
	v_cvt_f32_f16_e32 v26, v12
	v_cvt_f32_f16_sdwa v27, v12 dst_sel:DWORD dst_unused:UNUSED_PAD src0_sel:WORD_1
	s_waitcnt lgkmcnt(2)
	v_perm_b32 v30, v32, v30, s71
	s_waitcnt lgkmcnt(0)
	v_perm_b32 v31, v33, v31, s71
	s_nop 1
	v_mfma_f32_16x16x16f16 v[26:29], v[30:31], v[4:5], v[26:29]
	ds_read_u16 v30, v159 offset:8704
	s_nop 7
	s_nop 1
	v_cvt_f16_f32_e32 v9, v26
	v_add_u32_e32 v26, v139, v150
	ds_read_u16 v32, v26 offset:272
	ds_read_u16 v31, v160 offset:544
	v_add_u32_e32 v26, v138, v151
	ds_read_u16 v33, v26 offset:8704
	v_cvt_f16_f32_e32 v12, v27
	v_cvt_f16_f32_e32 v28, v28
	v_cvt_f16_f32_e32 v29, v29
	s_waitcnt lgkmcnt(2)
	v_perm_b32 v30, v32, v30, s71
	s_waitcnt lgkmcnt(0)
	v_perm_b32 v31, v33, v31, s71
	v_cvt_f32_f16_e32 v26, v9
	v_cvt_f32_f16_e32 v27, v12
	v_cvt_f32_f16_e32 v28, v28
	v_cvt_f32_f16_e32 v29, v29
	s_nop 1
	v_mfma_f32_16x16x16f16 v[26:29], v[30:31], v[2:3], v[26:29]
	ds_read_u16 v30, v152 offset:96
	s_nop 7
	s_nop 1
	v_cvt_f16_f32_e32 v9, v26
	v_cvt_f16_f32_e32 v12, v27
	v_cvt_f16_f32_e32 v26, v28
	v_cvt_f16_f32_e32 v27, v29
	v_cvt_f32_f16_e32 v28, v13
	v_pack_b32_f16 v12, v9, v12
	v_cvt_f32_f16_sdwa v29, v13 dst_sel:DWORD dst_unused:UNUSED_PAD src0_sel:WORD_1
	v_pack_b32_f16 v9, v26, v27
	v_add_u32_e32 v26, v140, v150
	ds_read_u16 v32, v26 offset:272
	ds_read_u16 v31, v161 offset:544
	ds_read_u16 v33, v25 offset:96
	v_cvt_f32_f16_e32 v26, v14
	v_cvt_f32_f16_sdwa v27, v14 dst_sel:DWORD dst_unused:UNUSED_PAD src0_sel:WORD_1
	s_waitcnt lgkmcnt(2)
	v_perm_b32 v30, v32, v30, s71
	s_waitcnt lgkmcnt(0)
	v_perm_b32 v31, v33, v31, s71
	s_nop 1
	v_mfma_f32_16x16x16f16 v[26:29], v[30:31], v[4:5], v[26:29]
	ds_read_u16 v30, v162 offset:8704
	s_nop 7
	;; [unrolled: 45-line block ×5, first 2 shown]
	s_nop 1
	v_cvt_f16_f32_e32 v19, v26
	v_add_u32_e32 v26, v147, v150
	ds_read_u16 v32, v26 offset:272
	ds_read_u16 v31, v172 offset:544
	v_add_u32_e32 v26, v146, v151
	ds_read_u16 v33, v26 offset:8704
	v_cvt_f16_f32_e32 v20, v27
	v_cvt_f16_f32_e32 v28, v28
	v_cvt_f16_f32_e32 v29, v29
	s_waitcnt lgkmcnt(2)
	v_perm_b32 v30, v32, v30, s71
	s_waitcnt lgkmcnt(0)
	v_perm_b32 v31, v33, v31, s71
	v_cvt_f32_f16_e32 v26, v19
	v_cvt_f32_f16_e32 v27, v20
	;; [unrolled: 1-line block ×4, first 2 shown]
	s_nop 1
	v_mfma_f32_16x16x16f16 v[26:29], v[30:31], v[2:3], v[26:29]
	ds_read_u16 v30, v152 offset:224
	s_nop 7
	s_nop 1
	v_cvt_f16_f32_e32 v19, v26
	v_cvt_f16_f32_e32 v20, v27
	;; [unrolled: 1-line block ×4, first 2 shown]
	v_cvt_f32_f16_e32 v28, v22
	v_pack_b32_f16 v20, v19, v20
	v_cvt_f32_f16_sdwa v29, v22 dst_sel:DWORD dst_unused:UNUSED_PAD src0_sel:WORD_1
	v_pack_b32_f16 v19, v26, v27
	v_add_u32_e32 v26, v148, v150
	ds_read_u16 v31, v26 offset:272
	ds_read_u16 v32, v173 offset:544
	;; [unrolled: 1-line block ×3, first 2 shown]
	v_cvt_f32_f16_e32 v26, v23
	v_cvt_f32_f16_sdwa v27, v23 dst_sel:DWORD dst_unused:UNUSED_PAD src0_sel:WORD_1
	s_waitcnt lgkmcnt(2)
	v_perm_b32 v22, v31, v30, s71
	s_waitcnt lgkmcnt(0)
	v_perm_b32 v23, v25, v32, s71
	ds_read_u16 v25, v174 offset:8704
	s_nop 0
	v_mfma_f32_16x16x16f16 v[26:29], v[22:23], v[4:5], v[26:29]
	s_nop 7
	s_nop 2
	v_cvt_f16_f32_e32 v4, v26
	v_add_u32_e32 v26, v149, v150
	ds_read_u16 v30, v26 offset:272
	ds_read_u16 v31, v175 offset:544
	v_add_u32_e32 v26, v148, v151
	ds_read_u16 v32, v26 offset:8704
	v_cvt_f16_f32_e32 v5, v27
	v_cvt_f16_f32_e32 v22, v28
	;; [unrolled: 1-line block ×3, first 2 shown]
	v_cvt_f32_f16_e32 v26, v4
	v_cvt_f32_f16_e32 v27, v5
	s_waitcnt lgkmcnt(0)
	v_perm_b32 v5, v32, v31, s71
	v_perm_b32 v4, v30, v25, s71
	v_cvt_f32_f16_e32 v28, v22
	v_cvt_f32_f16_e32 v29, v23
	s_barrier
	s_nop 0
	v_mfma_f32_16x16x16f16 v[2:5], v[4:5], v[2:3], v[26:29]
	s_nop 7
	s_nop 2
	v_cvt_f16_f32_e32 v2, v2
	v_cvt_f16_f32_e32 v3, v3
	;; [unrolled: 1-line block ×4, first 2 shown]
	v_pack_b32_f16 v2, v2, v3
	v_pack_b32_f16 v3, v4, v5
	ds_bpermute_b32 v4, v11, v24
	s_waitcnt lgkmcnt(0)
	v_add_f32_e32 v4, v24, v4
	ds_bpermute_b32 v5, v21, v4
	s_waitcnt lgkmcnt(0)
	v_add_f32_e32 v11, v4, v5
	s_and_saveexec_b64 s[42:43], s[40:41]
	s_xor_b64 s[40:41], exec, s[42:43]
	s_or_saveexec_b64 s[40:41], s[40:41]
	s_mov_b32 s90, s58
	s_xor_b64 exec, exec, s[40:41]
	s_cbranch_execz .LBB25_150
; %bb.149:                              ;   in Loop: Header=BB25_16 Depth=1
	global_load_dword v5, v108, s[30:31]
	v_max_f32_e32 v22, v10, v10
	s_waitcnt vmcnt(0)
	v_max_f32_e32 v4, v5, v5
	v_max_f32_e32 v4, v22, v4
	v_sub_f32_e32 v10, v10, v4
	v_mul_f32_e32 v22, 0x3fb8aa3b, v10
	v_fma_f32 v23, v10, s85, -v22
	v_rndne_f32_e32 v24, v22
	v_fmac_f32_e32 v23, 0x32a5705f, v10
	v_sub_f32_e32 v22, v22, v24
	v_add_f32_e32 v22, v22, v23
	v_exp_f32_e32 v22, v22
	v_cvt_i32_f32_e32 v23, v24
	v_cmp_ngt_f32_e32 vcc, s8, v10
	v_sub_f32_e32 v5, v5, v4
	v_ldexp_f32 v22, v22, v23
	v_cndmask_b32_e32 v22, 0, v22, vcc
	v_cmp_nlt_f32_e32 vcc, s9, v10
	v_cndmask_b32_e32 v22, v228, v22, vcc
	v_cmp_le_f32_e32 vcc, s70, v10
	v_cndmask_b32_e32 v10, 0, v22, vcc
	v_cvt_f16_f32_e32 v22, v10
	v_cmp_ngt_f32_e32 vcc, s8, v5
	v_pk_mul_f16 v6, v22, v6 op_sel_hi:[0,1]
	v_pk_mul_f16 v1, v22, v1 op_sel_hi:[0,1]
	;; [unrolled: 1-line block ×16, first 2 shown]
	v_mul_f32_e32 v22, 0x3fb8aa3b, v5
	v_fma_f32 v23, v5, s85, -v22
	v_rndne_f32_e32 v24, v22
	v_fmac_f32_e32 v23, 0x32a5705f, v5
	v_sub_f32_e32 v22, v22, v24
	v_add_f32_e32 v22, v22, v23
	v_exp_f32_e32 v22, v22
	v_cvt_i32_f32_e32 v23, v24
	v_ldexp_f32 v22, v22, v23
	v_cndmask_b32_e32 v22, 0, v22, vcc
	v_cmp_nlt_f32_e32 vcc, s9, v5
	v_cndmask_b32_e32 v5, v228, v22, vcc
	v_fmac_f32_e32 v5, v11, v10
	v_pk_mov_b32 v[10:11], v[4:5], v[4:5] op_sel:[0,1]
.LBB25_150:                             ;   in Loop: Header=BB25_16 Depth=1
	s_or_b64 exec, exec, s[40:41]
	s_mov_b64 s[40:41], exec
	v_readlane_b32 s42, v254, 60
	v_readlane_b32 s43, v254, 61
	s_and_b64 s[42:43], s[40:41], s[42:43]
	s_mov_b64 exec, s[42:43]
	s_cbranch_execz .LBB25_152
; %bb.151:                              ;   in Loop: Header=BB25_16 Depth=1
	v_add_u32_e32 v4, 0, v176
	ds_write2_b32 v4, v10, v11 offset0:64 offset1:65
.LBB25_152:                             ;   in Loop: Header=BB25_16 Depth=1
	s_or_b64 exec, exec, s[40:41]
	s_waitcnt lgkmcnt(0)
	s_barrier
	s_mov_b64 s[40:41], exec
	v_readlane_b32 s42, v254, 58
	v_readlane_b32 s43, v254, 59
	s_and_b64 s[42:43], s[40:41], s[42:43]
	s_xor_b64 s[40:41], s[42:43], s[40:41]
	s_mov_b64 exec, s[42:43]
	s_cbranch_execz .LBB25_154
; %bb.153:                              ;   in Loop: Header=BB25_16 Depth=1
	s_barrier
	s_waitcnt lgkmcnt(0)
                                        ; implicit-def: $vgpr21
.LBB25_154:                             ;   in Loop: Header=BB25_16 Depth=1
	s_andn2_saveexec_b64 s[40:41], s[40:41]
	s_cbranch_execz .LBB25_160
; %bb.155:                              ;   in Loop: Header=BB25_16 Depth=1
	v_add_u32_e32 v5, 0, v177
	ds_read_b64 v[22:23], v5 offset:256
	s_waitcnt lgkmcnt(0)
	s_barrier
	ds_bpermute_b32 v4, v21, v22
	v_max_f32_e32 v10, v22, v22
	s_waitcnt lgkmcnt(0)
	v_max_f32_e32 v4, v4, v4
	v_max_f32_e32 v4, v10, v4
	v_sub_f32_e32 v10, v22, v4
	v_mul_f32_e32 v11, 0x3fb8aa3b, v10
	v_fma_f32 v22, v10, s85, -v11
	v_rndne_f32_e32 v24, v11
	v_fmac_f32_e32 v22, 0x32a5705f, v10
	v_sub_f32_e32 v11, v11, v24
	v_add_f32_e32 v11, v11, v22
	v_cvt_i32_f32_e32 v24, v24
	v_exp_f32_e32 v11, v11
	v_cmp_ngt_f32_e32 vcc, s8, v10
	v_ldexp_f32 v11, v11, v24
	v_cndmask_b32_e32 v11, 0, v11, vcc
	v_cmp_nlt_f32_e32 vcc, s9, v10
	v_cndmask_b32_e32 v10, v228, v11, vcc
	v_mul_f32_e32 v11, v23, v10
	ds_bpermute_b32 v11, v21, v11
	s_waitcnt lgkmcnt(0)
	v_fmac_f32_e32 v11, v23, v10
	s_mov_b64 s[42:43], exec
	v_readlane_b32 s44, v254, 62
	v_readlane_b32 s45, v254, 63
	s_and_b64 s[44:45], s[42:43], s[44:45]
	s_mov_b64 exec, s[44:45]
	s_cbranch_execz .LBB25_157
; %bb.156:                              ;   in Loop: Header=BB25_16 Depth=1
	ds_write_b64 v5, v[10:11] offset:256
.LBB25_157:                             ;   in Loop: Header=BB25_16 Depth=1
	s_or_b64 exec, exec, s[42:43]
	s_mov_b64 s[42:43], exec
	v_readlane_b32 s44, v254, 60
	v_readlane_b32 s45, v254, 61
	s_and_b64 s[44:45], s[42:43], s[44:45]
	s_mov_b64 exec, s[44:45]
	s_cbranch_execz .LBB25_159
; %bb.158:                              ;   in Loop: Header=BB25_16 Depth=1
	v_mov_b32_e32 v5, v11
	global_store_dwordx2 v[40:41], v[4:5], off
.LBB25_159:                             ;   in Loop: Header=BB25_16 Depth=1
	s_or_b64 exec, exec, s[42:43]
.LBB25_160:                             ;   in Loop: Header=BB25_16 Depth=1
	s_or_b64 exec, exec, s[40:41]
	ds_write2_b32 v178, v6, v1 offset1:1
	ds_write2_b32 v178, v8, v7 offset0:8 offset1:9
	ds_write2_b32 v178, v12, v9 offset0:16 offset1:17
	;; [unrolled: 1-line block ×7, first 2 shown]
	s_waitcnt lgkmcnt(0)
	s_barrier
	s_mov_b64 s[40:41], exec
	v_readlane_b32 s42, v254, 56
	v_readlane_b32 s43, v254, 57
	s_and_b64 s[42:43], s[40:41], s[42:43]
	s_mov_b64 exec, s[42:43]
	s_cbranch_execz .LBB25_238
; %bb.161:                              ;   in Loop: Header=BB25_16 Depth=1
	v_add_u32_e32 v2, s74, v179
	v_cmp_gt_i32_e32 vcc, s84, v2
	v_mov_b32_e32 v1, 0x47
	s_and_saveexec_b64 s[42:43], vcc
	s_cbranch_execz .LBB25_163
; %bb.162:                              ;   in Loop: Header=BB25_16 Depth=1
	v_add_u32_e32 v1, 0, v186
	ds_read2st64_b32 v[4:5], v1 offset0:1 offset1:18
	ds_read2st64_b32 v[6:7], v187 offset1:17
	v_readlane_b32 s44, v255, 1
	v_mad_u64_u32 v[2:3], s[44:45], s44, v2, v[34:35]
	v_ashrrev_i32_e32 v3, 31, v2
	s_waitcnt lgkmcnt(0)
	v_cvt_f32_f16_sdwa v9, v6 dst_sel:DWORD dst_unused:UNUSED_PAD src0_sel:WORD_1
	v_cvt_f32_f16_e32 v8, v6
	v_cvt_f32_f16_sdwa v11, v7 dst_sel:DWORD dst_unused:UNUSED_PAD src0_sel:WORD_1
	v_cvt_f32_f16_e32 v10, v7
	v_lshlrev_b64 v[2:3], 3, v[2:3]
	v_add_co_u32_e32 v2, vcc, s67, v2
	v_mov_b32_e32 v1, s91
	v_pk_fma_f32 v[8:9], v[4:5], v[8:9], 0 op_sel_hi:[0,1,0]
	v_mov_b32_e32 v4, v5
	v_addc_co_u32_e32 v3, vcc, v1, v3, vcc
	v_pk_fma_f32 v[4:5], v[4:5], v[10:11], v[8:9] op_sel_hi:[0,1,1]
	v_mov_b32_e32 v1, 0
	global_store_dwordx2 v[2:3], v[4:5], off
.LBB25_163:                             ;   in Loop: Header=BB25_16 Depth=1
	s_or_b64 exec, exec, s[42:43]
	s_movk_i32 s42, 0x47
	v_cmp_gt_i32_e32 vcc, s42, v1
	s_mov_b64 s[42:43], -1
	s_and_saveexec_b64 s[44:45], vcc
; %bb.164:                              ;   in Loop: Header=BB25_16 Depth=1
	v_cmp_eq_u32_e32 vcc, 0, v1
	s_orn2_b64 s[42:43], vcc, exec
; %bb.165:                              ;   in Loop: Header=BB25_16 Depth=1
	s_or_b64 exec, exec, s[44:45]
	s_and_b64 exec, exec, s[42:43]
	s_cbranch_execz .LBB25_238
; %bb.166:                              ;   in Loop: Header=BB25_16 Depth=1
	v_add_u32_e32 v2, s74, v188
	v_cmp_gt_i32_e32 vcc, s84, v2
	v_mov_b32_e32 v1, 0x47
	s_and_saveexec_b64 s[42:43], vcc
	s_cbranch_execz .LBB25_168
; %bb.167:                              ;   in Loop: Header=BB25_16 Depth=1
	v_add_u32_e32 v1, 0, v189
	ds_read2st64_b32 v[4:5], v1 offset0:1 offset1:18
	ds_read2st64_b32 v[6:7], v221 offset1:17
	v_readlane_b32 s44, v255, 1
	v_mad_u64_u32 v[2:3], s[44:45], s44, v2, v[34:35]
	v_ashrrev_i32_e32 v3, 31, v2
	s_waitcnt lgkmcnt(0)
	v_cvt_f32_f16_sdwa v9, v6 dst_sel:DWORD dst_unused:UNUSED_PAD src0_sel:WORD_1
	v_cvt_f32_f16_e32 v8, v6
	v_cvt_f32_f16_sdwa v11, v7 dst_sel:DWORD dst_unused:UNUSED_PAD src0_sel:WORD_1
	v_cvt_f32_f16_e32 v10, v7
	v_lshlrev_b64 v[2:3], 3, v[2:3]
	v_add_co_u32_e32 v2, vcc, s67, v2
	v_mov_b32_e32 v1, s91
	v_pk_fma_f32 v[8:9], v[4:5], v[8:9], 0 op_sel_hi:[0,1,0]
	v_mov_b32_e32 v4, v5
	v_addc_co_u32_e32 v3, vcc, v1, v3, vcc
	v_pk_fma_f32 v[4:5], v[4:5], v[10:11], v[8:9] op_sel_hi:[0,1,1]
	v_mov_b32_e32 v1, 0
	global_store_dwordx2 v[2:3], v[4:5], off
.LBB25_168:                             ;   in Loop: Header=BB25_16 Depth=1
	s_or_b64 exec, exec, s[42:43]
	s_movk_i32 s42, 0x47
	v_cmp_gt_i32_e32 vcc, s42, v1
	s_mov_b64 s[42:43], -1
	s_and_saveexec_b64 s[44:45], vcc
; %bb.169:                              ;   in Loop: Header=BB25_16 Depth=1
	v_cmp_eq_u32_e32 vcc, 0, v1
	s_orn2_b64 s[42:43], vcc, exec
; %bb.170:                              ;   in Loop: Header=BB25_16 Depth=1
	s_or_b64 exec, exec, s[44:45]
	s_and_b64 exec, exec, s[42:43]
	;; [unrolled: 40-line block ×3, first 2 shown]
	s_cbranch_execz .LBB25_238
; %bb.176:                              ;   in Loop: Header=BB25_16 Depth=1
	v_add_u32_e32 v2, s74, v194
	v_cmp_gt_i32_e32 vcc, s84, v2
	v_mov_b32_e32 v1, 0x47
	s_and_saveexec_b64 s[42:43], vcc
	s_cbranch_execz .LBB25_178
; %bb.177:                              ;   in Loop: Header=BB25_16 Depth=1
	buffer_load_dword v1, off, s[0:3], 0 offset:16 ; 4-byte Folded Reload
	v_readlane_b32 s44, v255, 1
	v_mad_u64_u32 v[2:3], s[44:45], s44, v2, v[34:35]
	v_ashrrev_i32_e32 v3, 31, v2
	v_lshlrev_b64 v[2:3], 3, v[2:3]
	v_add_co_u32_e32 v2, vcc, s67, v2
	s_waitcnt vmcnt(0)
	v_add_u32_e32 v1, 0, v1
	ds_read2st64_b32 v[4:5], v1 offset0:1 offset1:18
	buffer_load_dword v1, off, s[0:3], 0 offset:20 ; 4-byte Folded Reload
	s_waitcnt vmcnt(0)
	ds_read2st64_b32 v[6:7], v1 offset1:17
	v_mov_b32_e32 v1, s91
	v_addc_co_u32_e32 v3, vcc, v1, v3, vcc
	v_mov_b32_e32 v1, 0
	s_waitcnt lgkmcnt(0)
	v_cvt_f32_f16_sdwa v9, v6 dst_sel:DWORD dst_unused:UNUSED_PAD src0_sel:WORD_1
	v_cvt_f32_f16_e32 v8, v6
	v_cvt_f32_f16_sdwa v11, v7 dst_sel:DWORD dst_unused:UNUSED_PAD src0_sel:WORD_1
	v_cvt_f32_f16_e32 v10, v7
	v_pk_fma_f32 v[8:9], v[4:5], v[8:9], 0 op_sel_hi:[0,1,0]
	v_mov_b32_e32 v4, v5
	v_pk_fma_f32 v[4:5], v[4:5], v[10:11], v[8:9] op_sel_hi:[0,1,1]
	global_store_dwordx2 v[2:3], v[4:5], off
.LBB25_178:                             ;   in Loop: Header=BB25_16 Depth=1
	s_or_b64 exec, exec, s[42:43]
	s_movk_i32 s42, 0x47
	v_cmp_gt_i32_e32 vcc, s42, v1
	s_mov_b64 s[42:43], -1
	s_and_saveexec_b64 s[44:45], vcc
; %bb.179:                              ;   in Loop: Header=BB25_16 Depth=1
	v_cmp_eq_u32_e32 vcc, 0, v1
	s_orn2_b64 s[42:43], vcc, exec
; %bb.180:                              ;   in Loop: Header=BB25_16 Depth=1
	s_or_b64 exec, exec, s[44:45]
	s_and_b64 exec, exec, s[42:43]
	s_cbranch_execz .LBB25_238
; %bb.181:                              ;   in Loop: Header=BB25_16 Depth=1
	v_add_u32_e32 v2, s74, v230
	v_cmp_gt_i32_e32 vcc, s84, v2
	v_mov_b32_e32 v1, 0x47
	s_and_saveexec_b64 s[42:43], vcc
	s_cbranch_execz .LBB25_183
; %bb.182:                              ;   in Loop: Header=BB25_16 Depth=1
	buffer_load_dword v1, off, s[0:3], 0 offset:24 ; 4-byte Folded Reload
	v_readlane_b32 s44, v255, 1
	v_mad_u64_u32 v[2:3], s[44:45], s44, v2, v[34:35]
	v_ashrrev_i32_e32 v3, 31, v2
	v_lshlrev_b64 v[2:3], 3, v[2:3]
	v_add_co_u32_e32 v2, vcc, s67, v2
	s_waitcnt vmcnt(0)
	v_add_u32_e32 v1, 0, v1
	ds_read2st64_b32 v[4:5], v1 offset0:1 offset1:18
	buffer_load_dword v1, off, s[0:3], 0 offset:28 ; 4-byte Folded Reload
	s_waitcnt vmcnt(0)
	ds_read2st64_b32 v[6:7], v1 offset1:17
	v_mov_b32_e32 v1, s91
	v_addc_co_u32_e32 v3, vcc, v1, v3, vcc
	v_mov_b32_e32 v1, 0
	s_waitcnt lgkmcnt(0)
	v_cvt_f32_f16_sdwa v9, v6 dst_sel:DWORD dst_unused:UNUSED_PAD src0_sel:WORD_1
	v_cvt_f32_f16_e32 v8, v6
	v_cvt_f32_f16_sdwa v11, v7 dst_sel:DWORD dst_unused:UNUSED_PAD src0_sel:WORD_1
	v_cvt_f32_f16_e32 v10, v7
	v_pk_fma_f32 v[8:9], v[4:5], v[8:9], 0 op_sel_hi:[0,1,0]
	v_mov_b32_e32 v4, v5
	v_pk_fma_f32 v[4:5], v[4:5], v[10:11], v[8:9] op_sel_hi:[0,1,1]
	global_store_dwordx2 v[2:3], v[4:5], off
.LBB25_183:                             ;   in Loop: Header=BB25_16 Depth=1
	s_or_b64 exec, exec, s[42:43]
	s_movk_i32 s42, 0x47
	v_cmp_gt_i32_e32 vcc, s42, v1
	s_mov_b64 s[42:43], -1
	s_and_saveexec_b64 s[44:45], vcc
; %bb.184:                              ;   in Loop: Header=BB25_16 Depth=1
	v_cmp_eq_u32_e32 vcc, 0, v1
	s_orn2_b64 s[42:43], vcc, exec
; %bb.185:                              ;   in Loop: Header=BB25_16 Depth=1
	s_or_b64 exec, exec, s[44:45]
	s_and_b64 exec, exec, s[42:43]
	;; [unrolled: 44-line block ×5, first 2 shown]
	s_cbranch_execz .LBB25_238
; %bb.201:                              ;   in Loop: Header=BB25_16 Depth=1
	v_add_u32_e32 v1, 16, v179
	v_add_u32_e32 v2, s74, v1
	v_cmp_gt_i32_e32 vcc, s84, v2
	v_mov_b32_e32 v1, 0x47
	s_and_saveexec_b64 s[42:43], vcc
	s_cbranch_execz .LBB25_203
; %bb.202:                              ;   in Loop: Header=BB25_16 Depth=1
	buffer_load_dword v1, off, s[0:3], 0 offset:56 ; 4-byte Folded Reload
	v_readlane_b32 s44, v255, 1
	v_mad_u64_u32 v[2:3], s[44:45], s44, v2, v[34:35]
	v_ashrrev_i32_e32 v3, 31, v2
	v_lshlrev_b64 v[2:3], 3, v[2:3]
	v_add_co_u32_e32 v2, vcc, s67, v2
	s_waitcnt vmcnt(0)
	v_add_u32_e32 v1, 0, v1
	ds_read2st64_b32 v[4:5], v1 offset0:1 offset1:18
	buffer_load_dword v1, off, s[0:3], 0 offset:60 ; 4-byte Folded Reload
	s_waitcnt vmcnt(0)
	ds_read2st64_b32 v[6:7], v1 offset1:17
	v_mov_b32_e32 v1, s91
	v_addc_co_u32_e32 v3, vcc, v1, v3, vcc
	v_mov_b32_e32 v1, 0
	s_waitcnt lgkmcnt(0)
	v_cvt_f32_f16_sdwa v9, v6 dst_sel:DWORD dst_unused:UNUSED_PAD src0_sel:WORD_1
	v_cvt_f32_f16_e32 v8, v6
	v_cvt_f32_f16_sdwa v11, v7 dst_sel:DWORD dst_unused:UNUSED_PAD src0_sel:WORD_1
	v_cvt_f32_f16_e32 v10, v7
	v_pk_fma_f32 v[8:9], v[4:5], v[8:9], 0 op_sel_hi:[0,1,0]
	v_mov_b32_e32 v4, v5
	v_pk_fma_f32 v[4:5], v[4:5], v[10:11], v[8:9] op_sel_hi:[0,1,1]
	global_store_dwordx2 v[2:3], v[4:5], off
.LBB25_203:                             ;   in Loop: Header=BB25_16 Depth=1
	s_or_b64 exec, exec, s[42:43]
	s_movk_i32 s42, 0x47
	v_cmp_gt_i32_e32 vcc, s42, v1
	s_mov_b64 s[42:43], -1
	s_and_saveexec_b64 s[44:45], vcc
; %bb.204:                              ;   in Loop: Header=BB25_16 Depth=1
	v_cmp_eq_u32_e32 vcc, 0, v1
	s_orn2_b64 s[42:43], vcc, exec
; %bb.205:                              ;   in Loop: Header=BB25_16 Depth=1
	s_or_b64 exec, exec, s[44:45]
	s_and_b64 exec, exec, s[42:43]
	s_cbranch_execz .LBB25_238
; %bb.206:                              ;   in Loop: Header=BB25_16 Depth=1
	v_add_u32_e32 v2, s74, v212
	v_cmp_gt_i32_e32 vcc, s84, v2
	v_mov_b32_e32 v1, 0x47
	s_and_saveexec_b64 s[42:43], vcc
	s_cbranch_execz .LBB25_208
; %bb.207:                              ;   in Loop: Header=BB25_16 Depth=1
	buffer_load_dword v1, off, s[0:3], 0 offset:64 ; 4-byte Folded Reload
	v_readlane_b32 s44, v255, 1
	v_mad_u64_u32 v[2:3], s[44:45], s44, v2, v[34:35]
	v_ashrrev_i32_e32 v3, 31, v2
	v_lshlrev_b64 v[2:3], 3, v[2:3]
	v_add_co_u32_e32 v2, vcc, s67, v2
	s_waitcnt vmcnt(0)
	v_add_u32_e32 v1, 0, v1
	ds_read2st64_b32 v[4:5], v1 offset0:1 offset1:18
	buffer_load_dword v1, off, s[0:3], 0 offset:68 ; 4-byte Folded Reload
	s_waitcnt vmcnt(0)
	ds_read2st64_b32 v[6:7], v1 offset1:17
	v_mov_b32_e32 v1, s91
	v_addc_co_u32_e32 v3, vcc, v1, v3, vcc
	v_mov_b32_e32 v1, 0
	s_waitcnt lgkmcnt(0)
	v_cvt_f32_f16_sdwa v9, v6 dst_sel:DWORD dst_unused:UNUSED_PAD src0_sel:WORD_1
	v_cvt_f32_f16_e32 v8, v6
	v_cvt_f32_f16_sdwa v11, v7 dst_sel:DWORD dst_unused:UNUSED_PAD src0_sel:WORD_1
	v_cvt_f32_f16_e32 v10, v7
	v_pk_fma_f32 v[8:9], v[4:5], v[8:9], 0 op_sel_hi:[0,1,0]
	v_mov_b32_e32 v4, v5
	v_pk_fma_f32 v[4:5], v[4:5], v[10:11], v[8:9] op_sel_hi:[0,1,1]
	global_store_dwordx2 v[2:3], v[4:5], off
.LBB25_208:                             ;   in Loop: Header=BB25_16 Depth=1
	s_or_b64 exec, exec, s[42:43]
	s_movk_i32 s42, 0x47
	v_cmp_gt_i32_e32 vcc, s42, v1
	s_mov_b64 s[42:43], -1
	s_and_saveexec_b64 s[44:45], vcc
; %bb.209:                              ;   in Loop: Header=BB25_16 Depth=1
	v_cmp_eq_u32_e32 vcc, 0, v1
	s_orn2_b64 s[42:43], vcc, exec
; %bb.210:                              ;   in Loop: Header=BB25_16 Depth=1
	s_or_b64 exec, exec, s[44:45]
	s_and_b64 exec, exec, s[42:43]
	s_cbranch_execz .LBB25_238
; %bb.211:                              ;   in Loop: Header=BB25_16 Depth=1
	;; [unrolled: 44-line block ×3, first 2 shown]
	v_add_u32_e32 v1, 22, v179
	v_add_u32_e32 v2, s74, v1
	v_cmp_gt_i32_e32 vcc, s84, v2
	v_mov_b32_e32 v1, 0x47
	s_and_saveexec_b64 s[42:43], vcc
	s_cbranch_execz .LBB25_218
; %bb.217:                              ;   in Loop: Header=BB25_16 Depth=1
	buffer_load_dword v1, off, s[0:3], 0 offset:80 ; 4-byte Folded Reload
	v_readlane_b32 s44, v255, 1
	v_mad_u64_u32 v[2:3], s[44:45], s44, v2, v[34:35]
	v_ashrrev_i32_e32 v3, 31, v2
	v_lshlrev_b64 v[2:3], 3, v[2:3]
	v_add_co_u32_e32 v2, vcc, s67, v2
	s_waitcnt vmcnt(0)
	v_add_u32_e32 v1, 0, v1
	ds_read2st64_b32 v[4:5], v1 offset0:1 offset1:18
	buffer_load_dword v1, off, s[0:3], 0 offset:84 ; 4-byte Folded Reload
	s_waitcnt vmcnt(0)
	ds_read2st64_b32 v[6:7], v1 offset1:17
	v_mov_b32_e32 v1, s91
	v_addc_co_u32_e32 v3, vcc, v1, v3, vcc
	v_mov_b32_e32 v1, 0
	s_waitcnt lgkmcnt(0)
	v_cvt_f32_f16_sdwa v9, v6 dst_sel:DWORD dst_unused:UNUSED_PAD src0_sel:WORD_1
	v_cvt_f32_f16_e32 v8, v6
	v_cvt_f32_f16_sdwa v11, v7 dst_sel:DWORD dst_unused:UNUSED_PAD src0_sel:WORD_1
	v_cvt_f32_f16_e32 v10, v7
	v_pk_fma_f32 v[8:9], v[4:5], v[8:9], 0 op_sel_hi:[0,1,0]
	v_mov_b32_e32 v4, v5
	v_pk_fma_f32 v[4:5], v[4:5], v[10:11], v[8:9] op_sel_hi:[0,1,1]
	global_store_dwordx2 v[2:3], v[4:5], off
.LBB25_218:                             ;   in Loop: Header=BB25_16 Depth=1
	s_or_b64 exec, exec, s[42:43]
	s_movk_i32 s42, 0x47
	v_cmp_gt_i32_e32 vcc, s42, v1
	s_mov_b64 s[42:43], -1
	s_and_saveexec_b64 s[44:45], vcc
; %bb.219:                              ;   in Loop: Header=BB25_16 Depth=1
	v_cmp_eq_u32_e32 vcc, 0, v1
	s_orn2_b64 s[42:43], vcc, exec
; %bb.220:                              ;   in Loop: Header=BB25_16 Depth=1
	s_or_b64 exec, exec, s[44:45]
	s_and_b64 exec, exec, s[42:43]
	s_cbranch_execz .LBB25_238
; %bb.221:                              ;   in Loop: Header=BB25_16 Depth=1
	v_add_u32_e32 v1, 24, v179
	v_add_u32_e32 v2, s74, v1
	v_cmp_gt_i32_e32 vcc, s84, v2
	v_mov_b32_e32 v1, 0x47
	s_and_saveexec_b64 s[42:43], vcc
	s_cbranch_execz .LBB25_223
; %bb.222:                              ;   in Loop: Header=BB25_16 Depth=1
	buffer_load_dword v1, off, s[0:3], 0 offset:88 ; 4-byte Folded Reload
	v_readlane_b32 s44, v255, 1
	v_mad_u64_u32 v[2:3], s[44:45], s44, v2, v[34:35]
	v_ashrrev_i32_e32 v3, 31, v2
	v_lshlrev_b64 v[2:3], 3, v[2:3]
	v_add_co_u32_e32 v2, vcc, s67, v2
	s_waitcnt vmcnt(0)
	v_add_u32_e32 v1, 0, v1
	ds_read2st64_b32 v[4:5], v1 offset0:1 offset1:18
	buffer_load_dword v1, off, s[0:3], 0 offset:92 ; 4-byte Folded Reload
	s_waitcnt vmcnt(0)
	ds_read2st64_b32 v[6:7], v1 offset1:17
	v_mov_b32_e32 v1, s91
	v_addc_co_u32_e32 v3, vcc, v1, v3, vcc
	v_mov_b32_e32 v1, 0
	s_waitcnt lgkmcnt(0)
	v_cvt_f32_f16_sdwa v9, v6 dst_sel:DWORD dst_unused:UNUSED_PAD src0_sel:WORD_1
	v_cvt_f32_f16_e32 v8, v6
	v_cvt_f32_f16_sdwa v11, v7 dst_sel:DWORD dst_unused:UNUSED_PAD src0_sel:WORD_1
	v_cvt_f32_f16_e32 v10, v7
	v_pk_fma_f32 v[8:9], v[4:5], v[8:9], 0 op_sel_hi:[0,1,0]
	v_mov_b32_e32 v4, v5
	v_pk_fma_f32 v[4:5], v[4:5], v[10:11], v[8:9] op_sel_hi:[0,1,1]
	global_store_dwordx2 v[2:3], v[4:5], off
.LBB25_223:                             ;   in Loop: Header=BB25_16 Depth=1
	s_or_b64 exec, exec, s[42:43]
	s_movk_i32 s42, 0x47
	v_cmp_gt_i32_e32 vcc, s42, v1
	s_mov_b64 s[42:43], -1
	s_and_saveexec_b64 s[44:45], vcc
; %bb.224:                              ;   in Loop: Header=BB25_16 Depth=1
	v_cmp_eq_u32_e32 vcc, 0, v1
	s_orn2_b64 s[42:43], vcc, exec
; %bb.225:                              ;   in Loop: Header=BB25_16 Depth=1
	s_or_b64 exec, exec, s[44:45]
	s_and_b64 exec, exec, s[42:43]
	s_cbranch_execz .LBB25_238
; %bb.226:                              ;   in Loop: Header=BB25_16 Depth=1
	;; [unrolled: 45-line block ×4, first 2 shown]
	v_add_u32_e32 v1, 30, v179
	v_add_u32_e32 v1, s74, v1
	v_cmp_gt_i32_e32 vcc, s84, v1
	s_and_b64 exec, exec, vcc
	s_cbranch_execz .LBB25_238
; %bb.237:                              ;   in Loop: Header=BB25_16 Depth=1
	buffer_load_dword v2, off, s[0:3], 0 offset:112 ; 4-byte Folded Reload
	buffer_load_dword v4, off, s[0:3], 0 offset:116 ; 4-byte Folded Reload
	v_readlane_b32 s42, v255, 1
	v_mad_u64_u32 v[6:7], s[42:43], s42, v1, v[34:35]
	v_ashrrev_i32_e32 v7, 31, v6
	v_lshlrev_b64 v[6:7], 3, v[6:7]
	v_add_co_u32_e32 v6, vcc, s67, v6
	v_mov_b32_e32 v1, s91
	v_addc_co_u32_e32 v7, vcc, v1, v7, vcc
	s_waitcnt vmcnt(1)
	v_add_u32_e32 v2, 0, v2
	s_waitcnt vmcnt(0)
	ds_read2st64_b32 v[4:5], v4 offset1:17
	ds_read2st64_b32 v[2:3], v2 offset0:1 offset1:18
	s_waitcnt lgkmcnt(1)
	v_cvt_f32_f16_sdwa v9, v4 dst_sel:DWORD dst_unused:UNUSED_PAD src0_sel:WORD_1
	v_cvt_f32_f16_e32 v8, v4
	v_cvt_f32_f16_sdwa v11, v5 dst_sel:DWORD dst_unused:UNUSED_PAD src0_sel:WORD_1
	v_cvt_f32_f16_e32 v10, v5
	s_waitcnt lgkmcnt(0)
	v_pk_fma_f32 v[8:9], v[2:3], v[8:9], 0 op_sel_hi:[0,1,0]
	v_mov_b32_e32 v2, v3
	v_pk_fma_f32 v[2:3], v[2:3], v[10:11], v[8:9] op_sel_hi:[0,1,1]
	global_store_dwordx2 v[6:7], v[2:3], off
.LBB25_238:                             ;   in Loop: Header=BB25_16 Depth=1
	s_or_b64 exec, exec, s[40:41]
	s_barrier
	s_branch .LBB25_15
.LBB25_239:                             ;   in Loop: Header=BB25_16 Depth=1
	s_lshl_b32 s58, s72, 5
	v_add_u32_e32 v75, s58, v96
	v_cmp_le_i32_e32 vcc, s84, v75
	s_and_saveexec_b64 s[40:41], vcc
	s_xor_b64 s[40:41], exec, s[40:41]
	s_cbranch_execz .LBB25_241
; %bb.240:                              ;   in Loop: Header=BB25_16 Depth=1
	ds_write_b32 v180, v108
.LBB25_241:                             ;   in Loop: Header=BB25_16 Depth=1
	s_andn2_saveexec_b64 s[40:41], s[40:41]
	s_cbranch_execz .LBB25_243
; %bb.242:                              ;   in Loop: Header=BB25_16 Depth=1
	v_readlane_b32 s42, v254, 18
	v_mad_u64_u32 v[2:3], s[42:43], v75, s42, v[34:35]
	v_ashrrev_i32_e32 v3, 31, v2
	v_lshlrev_b64 v[2:3], 3, v[2:3]
	v_mov_b32_e32 v1, s83
	v_add_co_u32_e32 v2, vcc, s73, v2
	v_addc_co_u32_e32 v3, vcc, v1, v3, vcc
	global_load_dwordx2 v[2:3], v[2:3], off
	s_waitcnt vmcnt(0)
	v_cvt_f16_f32_e32 v1, v2
	v_cvt_f16_f32_e32 v2, v3
	v_pack_b32_f16 v1, v1, v2
	v_pk_mul_f16 v1, v100, v1
	ds_write_b32 v180, v1
.LBB25_243:                             ;   in Loop: Header=BB25_16 Depth=1
	s_or_b64 exec, exec, s[40:41]
	v_add_u32_e32 v79, s58, v107
	v_cmp_le_i32_e32 vcc, s84, v79
	s_and_saveexec_b64 s[40:41], vcc
	s_xor_b64 s[40:41], exec, s[40:41]
	s_cbranch_execz .LBB25_245
; %bb.244:                              ;   in Loop: Header=BB25_16 Depth=1
	ds_write_b32 v180, v108 offset:1088
.LBB25_245:                             ;   in Loop: Header=BB25_16 Depth=1
	s_andn2_saveexec_b64 s[40:41], s[40:41]
	s_cbranch_execz .LBB25_247
; %bb.246:                              ;   in Loop: Header=BB25_16 Depth=1
	v_readlane_b32 s42, v254, 18
	v_mad_u64_u32 v[2:3], s[42:43], v79, s42, v[34:35]
	v_ashrrev_i32_e32 v3, 31, v2
	v_lshlrev_b64 v[2:3], 3, v[2:3]
	v_mov_b32_e32 v1, s83
	v_add_co_u32_e32 v2, vcc, s73, v2
	v_addc_co_u32_e32 v3, vcc, v1, v3, vcc
	global_load_dwordx2 v[2:3], v[2:3], off
	s_waitcnt vmcnt(0)
	v_cvt_f16_f32_e32 v1, v2
	v_cvt_f16_f32_e32 v2, v3
	v_pack_b32_f16 v1, v1, v2
	v_pk_mul_f16 v1, v100, v1
	ds_write_b32 v180, v1 offset:1088
.LBB25_247:                             ;   in Loop: Header=BB25_16 Depth=1
	s_or_b64 exec, exec, s[40:41]
	v_add_u32_e32 v226, s58, v106
	v_cmp_le_i32_e32 vcc, s84, v226
	s_and_saveexec_b64 s[40:41], vcc
	s_xor_b64 s[40:41], exec, s[40:41]
	s_cbranch_execz .LBB25_249
; %bb.248:                              ;   in Loop: Header=BB25_16 Depth=1
	ds_write_b32 v180, v108 offset:2176
.LBB25_249:                             ;   in Loop: Header=BB25_16 Depth=1
	s_andn2_saveexec_b64 s[40:41], s[40:41]
	s_cbranch_execz .LBB25_251
; %bb.250:                              ;   in Loop: Header=BB25_16 Depth=1
	v_readlane_b32 s42, v254, 18
	v_mad_u64_u32 v[2:3], s[42:43], v226, s42, v[34:35]
	v_ashrrev_i32_e32 v3, 31, v2
	v_lshlrev_b64 v[2:3], 3, v[2:3]
	v_mov_b32_e32 v1, s83
	v_add_co_u32_e32 v2, vcc, s73, v2
	v_addc_co_u32_e32 v3, vcc, v1, v3, vcc
	global_load_dwordx2 v[2:3], v[2:3], off
	s_waitcnt vmcnt(0)
	v_cvt_f16_f32_e32 v1, v2
	v_cvt_f16_f32_e32 v2, v3
	v_pack_b32_f16 v1, v1, v2
	v_pk_mul_f16 v1, v100, v1
	ds_write_b32 v180, v1 offset:2176
.LBB25_251:                             ;   in Loop: Header=BB25_16 Depth=1
	;; [unrolled: 27-line block ×7, first 2 shown]
	s_or_b64 exec, exec, s[40:41]
	s_waitcnt lgkmcnt(0)
	s_barrier
	ds_read2_b64 v[14:17], v110 offset1:4
	ds_read2_b64 v[10:13], v110 offset0:8 offset1:12
	ds_read2_b64 v[6:9], v110 offset0:16 offset1:20
	;; [unrolled: 1-line block ×3, first 2 shown]
	s_mov_b32 s44, 0
	s_cmp_lt_i32 s79, 2
	v_mov_b32_e32 v222, 0
	s_waitcnt lgkmcnt(0)
	s_barrier
	s_cbranch_scc1 .LBB25_316
; %bb.272:                              ;   in Loop: Header=BB25_16 Depth=1
	v_readlane_b32 s42, v254, 10
	v_mul_hi_u32 v1, s42, v75
	v_readlane_b32 s43, v254, 11
	v_add_u32_e32 v1, v75, v1
	v_lshrrev_b32_e32 v1, s43, v1
	v_mul_lo_u32 v1, v1, s84
	v_sub_u32_e32 v20, v75, v1
	v_mul_hi_u32 v1, s42, v79
	v_add_u32_e32 v1, v79, v1
	v_lshrrev_b32_e32 v1, s43, v1
	v_mul_lo_u32 v1, v1, s84
	v_sub_u32_e32 v21, v79, v1
	v_mul_hi_u32 v1, s42, v226
	;; [unrolled: 5-line block ×7, first 2 shown]
	v_add_u32_e32 v1, v232, v1
	v_lshrrev_b32_e32 v1, s43, v1
	v_mul_lo_u32 v1, v1, s84
	v_sub_u32_e32 v27, v232, v1
	v_and_b32_e32 v1, 64, v231
	v_add_u32_e32 v1, 64, v1
	v_xor_b32_e32 v18, 32, v231
	v_cmp_lt_i32_e32 vcc, v18, v1
	s_add_i32 s44, s79, -1
	v_cndmask_b32_e32 v18, v231, v18, vcc
	s_cmp_lg_u64 s[88:89], 0
	v_lshlrev_b32_e32 v219, 2, v18
	v_xor_b32_e32 v18, 16, v231
	v_readlane_b32 s42, v255, 18
	v_readlane_b32 s43, v255, 19
	s_cselect_b64 s[40:41], -1, 0
	v_cmp_lt_i32_e32 vcc, v18, v1
	s_add_u32 s42, s42, s43
	v_cndmask_b32_e32 v1, v231, v18, vcc
	s_addc_u32 s43, s59, s94
	v_lshlrev_b32_e32 v220, 2, v1
	v_mov_b32_e32 v1, s43
	v_add_co_u32_e32 v64, vcc, s42, v233
	v_addc_co_u32_e32 v1, vcc, v234, v1, vcc
	v_mov_b32_e32 v18, s43
	v_add_co_u32_e32 v66, vcc, s42, v235
	v_addc_co_u32_e32 v35, vcc, v236, v18, vcc
	v_add_co_u32_e32 v68, vcc, s42, v237
	v_addc_co_u32_e32 v37, vcc, v238, v18, vcc
	v_add_co_u32_e32 v70, vcc, s42, v239
	v_readlane_b32 s42, v255, 20
	v_readlane_b32 s43, v255, 21
	s_add_u32 s42, s42, s43
	v_addc_co_u32_e32 v39, vcc, v240, v18, vcc
	s_addc_u32 s43, s66, s82
	v_mov_b32_e32 v18, s43
	v_add_co_u32_e32 v72, vcc, s42, v241
	v_addc_co_u32_e32 v43, vcc, v242, v18, vcc
	v_add_co_u32_e32 v74, vcc, s42, v243
	v_addc_co_u32_e32 v65, vcc, v244, v18, vcc
	;; [unrolled: 2-line block ×3, first 2 shown]
	v_add_co_u32_e32 v78, vcc, s42, v247
	v_readlane_b32 s42, v255, 15
	v_addc_co_u32_e32 v69, vcc, v248, v18, vcc
	v_pk_mov_b32 v[18:19], s[88:89], s[88:89] op_sel:[0,1]
	v_readlane_b32 s43, v255, 16
	s_mov_b32 s46, s42
	v_mov_b32_e32 v198, 0
	v_mov_b32_e32 v62, v60
	;; [unrolled: 1-line block ×3, first 2 shown]
	v_mad_i64_i32 v[80:81], s[42:43], s46, v23, v[18:19]
	v_mad_i64_i32 v[82:83], s[42:43], s46, v22, v[18:19]
	;; [unrolled: 1-line block ×8, first 2 shown]
	v_mov_b32_e32 v209, 0
	v_mov_b32_e32 v195, 0xfeffffff
	s_mov_b32 s45, s44
	v_mov_b32_e32 v199, 0
	v_mov_b32_e32 v202, 0
	;; [unrolled: 1-line block ×15, first 2 shown]
	s_andn2_b64 vcc, exec, s[40:41]
	s_cbranch_vccnz .LBB25_278
.LBB25_273:                             ;   in Loop: Header=BB25_16 Depth=1
                                        ; implicit-def: $sgpr46
	s_and_saveexec_b64 s[42:43], s[4:5]
	s_xor_b64 s[42:43], exec, s[42:43]
	s_cbranch_execz .LBB25_275
; %bb.274:                              ;   in Loop: Header=BB25_16 Depth=1
	ds_write_b16 v111, v108 offset:17408
	ds_write_b16 v112, v108 offset:17408
	;; [unrolled: 1-line block ×4, first 2 shown]
	s_mov_b32 s46, 0
.LBB25_275:                             ;   in Loop: Header=BB25_16 Depth=1
	s_or_saveexec_b64 s[42:43], s[42:43]
	v_mov_b32_e32 v18, s46
	v_mov_b32_e32 v19, s46
	;; [unrolled: 1-line block ×4, first 2 shown]
	s_xor_b64 exec, exec, s[42:43]
	s_cbranch_execz .LBB25_277
; %bb.276:                              ;   in Loop: Header=BB25_16 Depth=1
	v_add_co_u32_e32 v18, vcc, v86, v36
	v_addc_co_u32_e32 v19, vcc, 0, v87, vcc
	flat_load_ushort v20, v[18:19]
	v_add_co_u32_e32 v18, vcc, v84, v36
	v_addc_co_u32_e32 v19, vcc, 0, v85, vcc
	flat_load_ushort v21, v[18:19]
	;; [unrolled: 3-line block ×4, first 2 shown]
	s_waitcnt vmcnt(0) lgkmcnt(0)
	ds_write_b16 v111, v20 offset:17408
	ds_write_b16 v112, v21 offset:17408
	;; [unrolled: 1-line block ×4, first 2 shown]
	v_add_co_u32_e32 v18, vcc, v94, v36
	v_addc_co_u32_e32 v19, vcc, 0, v95, vcc
	v_add_co_u32_e32 v20, vcc, v92, v36
	v_addc_co_u32_e32 v21, vcc, 0, v93, vcc
	flat_load_ushort v18, v[18:19]
	s_nop 0
	flat_load_ushort v19, v[20:21]
	v_add_co_u32_e32 v20, vcc, v90, v36
	v_addc_co_u32_e32 v21, vcc, 0, v91, vcc
	v_add_co_u32_e32 v22, vcc, v88, v36
	v_addc_co_u32_e32 v23, vcc, 0, v89, vcc
	flat_load_ushort v20, v[20:21]
	s_nop 0
	flat_load_ushort v21, v[22:23]
.LBB25_277:                             ;   in Loop: Header=BB25_16 Depth=1
	s_or_b64 exec, exec, s[42:43]
	s_waitcnt vmcnt(0) lgkmcnt(0)
	ds_write_b16 v115, v18 offset:17408
	ds_write_b16 v116, v19 offset:17408
	;; [unrolled: 1-line block ×4, first 2 shown]
.LBB25_278:                             ;   Parent Loop BB25_16 Depth=1
                                        ; =>  This Inner Loop Header: Depth=2
	v_add_co_u32_e32 v18, vcc, v72, v42
	v_addc_co_u32_e32 v19, vcc, 0, v43, vcc
	v_mov_b32_e32 v22, s37
	v_mov_b32_e32 v23, s36
	buffer_store_dword v108, off, s[0:3], 0
	buffer_store_dword v108, off, s[0:3], 0 offset:4
	buffer_store_dword v108, off, s[0:3], 0 offset:8
	;; [unrolled: 1-line block ×3, first 2 shown]
	v_cndmask_b32_e64 v19, v22, v19, s[6:7]
	v_cndmask_b32_e64 v18, v23, v18, s[6:7]
	flat_load_dwordx4 v[18:21], v[18:19]
	v_add_u32_e32 v26, v109, v127
	v_add_u32_e32 v30, 0x2000, v26
	s_waitcnt vmcnt(0) lgkmcnt(0)
	ds_write_b128 v120, v[18:21]
	v_add_co_u32_e32 v18, vcc, v74, v42
	v_addc_co_u32_e32 v19, vcc, 0, v65, vcc
	v_cndmask_b32_e64 v19, v22, v19, s[38:39]
	v_cndmask_b32_e64 v18, v23, v18, s[38:39]
	flat_load_dwordx4 v[18:21], v[18:19]
	s_waitcnt vmcnt(0) lgkmcnt(0)
	ds_write_b128 v122, v[18:21]
	v_add_co_u32_e32 v18, vcc, v76, v42
	v_addc_co_u32_e32 v19, vcc, 0, v67, vcc
	v_cndmask_b32_e64 v19, v22, v19, s[10:11]
	v_cndmask_b32_e64 v18, v23, v18, s[10:11]
	flat_load_dwordx4 v[18:21], v[18:19]
	;; [unrolled: 7-line block ×3, first 2 shown]
	s_waitcnt vmcnt(0) lgkmcnt(0)
	ds_write_b128 v126, v[18:21]
	s_waitcnt lgkmcnt(0)
	s_barrier
	ds_read2_b64 v[18:21], v26 offset1:4
	s_waitcnt lgkmcnt(0)
	v_mfma_f32_16x16x16f16 v[22:25], v[18:19], v[14:15], 0
	v_mfma_f32_16x16x16f16 v[18:21], v[20:21], v[16:17], v[22:25]
	s_nop 7
	s_nop 1
	ds_read2_b64 v[22:25], v26 offset0:8 offset1:12
	s_waitcnt lgkmcnt(0)
	v_mfma_f32_16x16x16f16 v[18:21], v[22:23], v[10:11], v[18:21]
	v_mfma_f32_16x16x16f16 v[18:21], v[24:25], v[12:13], v[18:21]
	ds_read2_b64 v[22:25], v26 offset0:16 offset1:20
	s_waitcnt lgkmcnt(0)
	v_mfma_f32_16x16x16f16 v[18:21], v[22:23], v[6:7], v[18:21]
	v_mfma_f32_16x16x16f16 v[18:21], v[24:25], v[8:9], v[18:21]
	;; [unrolled: 4-line block ×3, first 2 shown]
	ds_read2_b64 v[22:25], v30 offset0:64 offset1:68
	s_waitcnt lgkmcnt(0)
	v_mfma_f32_16x16x16f16 v[26:29], v[22:23], v[14:15], 0
	s_nop 7
	v_cmp_nlt_f32_e64 s[42:43], |v18|, s69
	v_mfma_f32_16x16x16f16 v[22:25], v[24:25], v[16:17], v[26:29]
	s_nop 6
	ds_read2_b64 v[26:29], v30 offset0:72 offset1:76
	s_waitcnt lgkmcnt(0)
	v_mfma_f32_16x16x16f16 v[22:25], v[26:27], v[10:11], v[22:25]
	v_mfma_f32_16x16x16f16 v[22:25], v[28:29], v[12:13], v[22:25]
	ds_read2_b64 v[26:29], v30 offset0:80 offset1:84
	s_waitcnt lgkmcnt(0)
	v_mfma_f32_16x16x16f16 v[22:25], v[26:27], v[6:7], v[22:25]
	v_mfma_f32_16x16x16f16 v[22:25], v[28:29], v[8:9], v[22:25]
	ds_read2_b64 v[26:29], v30 offset0:88 offset1:92
	s_waitcnt lgkmcnt(0)
	s_barrier
	v_mfma_f32_16x16x16f16 v[22:25], v[26:27], v[2:3], v[22:25]
                                        ; implicit-def: $vgpr26
	v_mfma_f32_16x16x16f16 v[22:25], v[28:29], v[4:5], v[22:25]
	s_and_saveexec_b64 s[46:47], s[42:43]
	s_xor_b64 s[42:43], exec, s[46:47]
	s_cbranch_execz .LBB25_280
; %bb.279:                              ;   in Loop: Header=BB25_278 Depth=2
	v_add_f32_e64 v26, |v18|, |v18|
	v_mul_f32_e32 v27, 0x3fb8aa3b, v26
	v_rndne_f32_e32 v28, v27
	v_sub_f32_e32 v29, v27, v28
	v_fma_f32 v27, v26, s85, -v27
	v_fmac_f32_e32 v27, 0x32a5705f, v26
	v_add_f32_e32 v27, v29, v27
	v_cvt_i32_f32_e32 v28, v28
	v_exp_f32_e32 v27, v27
	v_cmp_ngt_f32_e32 vcc, s8, v26
	v_ldexp_f32 v27, v27, v28
	v_cndmask_b32_e32 v27, 0, v27, vcc
	v_cmp_nlt_f32_e32 vcc, s9, v26
	v_cndmask_b32_e32 v26, v228, v27, vcc
	v_add_f32_e32 v26, 1.0, v26
	v_rcp_f32_e32 v26, v26
	v_fma_f32 v26, v26, -2.0, 1.0
.LBB25_280:                             ;   in Loop: Header=BB25_278 Depth=2
	s_andn2_saveexec_b64 s[42:43], s[42:43]
; %bb.281:                              ;   in Loop: Header=BB25_278 Depth=2
	v_mul_f32_e32 v26, v18, v18
	v_mov_b32_e32 v27, 0x3ca908c9
	v_fmac_f32_e32 v27, 0xbbbac73d, v26
	v_fma_f32 v27, v26, v27, v250
	v_fma_f32 v27, v26, v27, v251
	;; [unrolled: 1-line block ×3, first 2 shown]
	v_mul_f32_e64 v27, |v18|, v27
	v_fma_f32 v26, v26, v27, |v18|
; %bb.282:                              ;   in Loop: Header=BB25_278 Depth=2
	s_or_b64 exec, exec, s[42:43]
	v_cmp_nlt_f32_e64 s[42:43], |v19|, s69
                                        ; implicit-def: $vgpr27
	s_and_saveexec_b64 s[46:47], s[42:43]
	s_xor_b64 s[42:43], exec, s[46:47]
	s_cbranch_execz .LBB25_284
; %bb.283:                              ;   in Loop: Header=BB25_278 Depth=2
	v_add_f32_e64 v27, |v19|, |v19|
	v_mul_f32_e32 v28, 0x3fb8aa3b, v27
	v_rndne_f32_e32 v29, v28
	v_sub_f32_e32 v30, v28, v29
	v_fma_f32 v28, v27, s85, -v28
	v_fmac_f32_e32 v28, 0x32a5705f, v27
	v_add_f32_e32 v28, v30, v28
	v_cvt_i32_f32_e32 v29, v29
	v_exp_f32_e32 v28, v28
	v_cmp_ngt_f32_e32 vcc, s8, v27
	v_ldexp_f32 v28, v28, v29
	v_cndmask_b32_e32 v28, 0, v28, vcc
	v_cmp_nlt_f32_e32 vcc, s9, v27
	v_cndmask_b32_e32 v27, v228, v28, vcc
	v_add_f32_e32 v27, 1.0, v27
	v_rcp_f32_e32 v27, v27
	v_fma_f32 v27, v27, -2.0, 1.0
.LBB25_284:                             ;   in Loop: Header=BB25_278 Depth=2
	s_andn2_saveexec_b64 s[42:43], s[42:43]
; %bb.285:                              ;   in Loop: Header=BB25_278 Depth=2
	v_mul_f32_e32 v27, v19, v19
	v_mov_b32_e32 v28, 0x3ca908c9
	v_fmac_f32_e32 v28, 0xbbbac73d, v27
	v_fma_f32 v28, v27, v28, v250
	v_fma_f32 v28, v27, v28, v251
	;; [unrolled: 1-line block ×3, first 2 shown]
	v_mul_f32_e64 v28, |v19|, v28
	v_fma_f32 v27, v27, v28, |v19|
; %bb.286:                              ;   in Loop: Header=BB25_278 Depth=2
	s_or_b64 exec, exec, s[42:43]
	v_cmp_nlt_f32_e64 s[42:43], |v20|, s69
                                        ; implicit-def: $vgpr28
	s_and_saveexec_b64 s[46:47], s[42:43]
	s_xor_b64 s[42:43], exec, s[46:47]
	s_cbranch_execz .LBB25_288
; %bb.287:                              ;   in Loop: Header=BB25_278 Depth=2
	v_add_f32_e64 v28, |v20|, |v20|
	v_mul_f32_e32 v29, 0x3fb8aa3b, v28
	v_rndne_f32_e32 v30, v29
	v_sub_f32_e32 v31, v29, v30
	v_fma_f32 v29, v28, s85, -v29
	v_fmac_f32_e32 v29, 0x32a5705f, v28
	v_add_f32_e32 v29, v31, v29
	v_cvt_i32_f32_e32 v30, v30
	v_exp_f32_e32 v29, v29
	v_cmp_ngt_f32_e32 vcc, s8, v28
	v_ldexp_f32 v29, v29, v30
	v_cndmask_b32_e32 v29, 0, v29, vcc
	v_cmp_nlt_f32_e32 vcc, s9, v28
	v_cndmask_b32_e32 v28, v228, v29, vcc
	v_add_f32_e32 v28, 1.0, v28
	v_rcp_f32_e32 v28, v28
	v_fma_f32 v28, v28, -2.0, 1.0
.LBB25_288:                             ;   in Loop: Header=BB25_278 Depth=2
	s_andn2_saveexec_b64 s[42:43], s[42:43]
; %bb.289:                              ;   in Loop: Header=BB25_278 Depth=2
	v_mul_f32_e32 v28, v20, v20
	v_mov_b32_e32 v29, 0x3ca908c9
	v_fmac_f32_e32 v29, 0xbbbac73d, v28
	v_fma_f32 v29, v28, v29, v250
	v_fma_f32 v29, v28, v29, v251
	;; [unrolled: 1-line block ×3, first 2 shown]
	v_mul_f32_e64 v29, |v20|, v29
	v_fma_f32 v28, v28, v29, |v20|
; %bb.290:                              ;   in Loop: Header=BB25_278 Depth=2
	s_or_b64 exec, exec, s[42:43]
	v_cmp_nlt_f32_e64 s[42:43], |v21|, s69
                                        ; implicit-def: $vgpr29
	s_and_saveexec_b64 s[46:47], s[42:43]
	s_xor_b64 s[42:43], exec, s[46:47]
	s_cbranch_execz .LBB25_292
; %bb.291:                              ;   in Loop: Header=BB25_278 Depth=2
	v_add_f32_e64 v29, |v21|, |v21|
	v_mul_f32_e32 v30, 0x3fb8aa3b, v29
	v_rndne_f32_e32 v31, v30
	v_sub_f32_e32 v32, v30, v31
	v_fma_f32 v30, v29, s85, -v30
	v_fmac_f32_e32 v30, 0x32a5705f, v29
	v_add_f32_e32 v30, v32, v30
	v_cvt_i32_f32_e32 v31, v31
	v_exp_f32_e32 v30, v30
	v_cmp_ngt_f32_e32 vcc, s8, v29
	v_ldexp_f32 v30, v30, v31
	v_cndmask_b32_e32 v30, 0, v30, vcc
	v_cmp_nlt_f32_e32 vcc, s9, v29
	v_cndmask_b32_e32 v29, v228, v30, vcc
	v_add_f32_e32 v29, 1.0, v29
	v_rcp_f32_e32 v29, v29
	v_fma_f32 v29, v29, -2.0, 1.0
.LBB25_292:                             ;   in Loop: Header=BB25_278 Depth=2
	s_andn2_saveexec_b64 s[42:43], s[42:43]
; %bb.293:                              ;   in Loop: Header=BB25_278 Depth=2
	v_mul_f32_e32 v29, v21, v21
	v_mov_b32_e32 v30, 0x3ca908c9
	v_fmac_f32_e32 v30, 0xbbbac73d, v29
	v_fma_f32 v30, v29, v30, v250
	v_fma_f32 v30, v29, v30, v251
	;; [unrolled: 1-line block ×3, first 2 shown]
	v_mul_f32_e64 v30, |v21|, v30
	v_fma_f32 v29, v29, v30, |v21|
; %bb.294:                              ;   in Loop: Header=BB25_278 Depth=2
	s_or_b64 exec, exec, s[42:43]
	v_cmp_nlt_f32_e64 s[42:43], |v22|, s69
                                        ; implicit-def: $vgpr30
	s_and_saveexec_b64 s[46:47], s[42:43]
	s_xor_b64 s[42:43], exec, s[46:47]
	s_cbranch_execz .LBB25_296
; %bb.295:                              ;   in Loop: Header=BB25_278 Depth=2
	v_add_f32_e64 v30, |v22|, |v22|
	v_mul_f32_e32 v31, 0x3fb8aa3b, v30
	v_rndne_f32_e32 v32, v31
	v_sub_f32_e32 v33, v31, v32
	v_fma_f32 v31, v30, s85, -v31
	v_fmac_f32_e32 v31, 0x32a5705f, v30
	v_add_f32_e32 v31, v33, v31
	v_cvt_i32_f32_e32 v32, v32
	v_exp_f32_e32 v31, v31
	v_cmp_ngt_f32_e32 vcc, s8, v30
	v_ldexp_f32 v31, v31, v32
	v_cndmask_b32_e32 v31, 0, v31, vcc
	v_cmp_nlt_f32_e32 vcc, s9, v30
	v_cndmask_b32_e32 v30, v228, v31, vcc
	v_add_f32_e32 v30, 1.0, v30
	v_rcp_f32_e32 v30, v30
	v_fma_f32 v30, v30, -2.0, 1.0
.LBB25_296:                             ;   in Loop: Header=BB25_278 Depth=2
	s_andn2_saveexec_b64 s[42:43], s[42:43]
; %bb.297:                              ;   in Loop: Header=BB25_278 Depth=2
	v_mul_f32_e32 v30, v22, v22
	v_mov_b32_e32 v31, 0x3ca908c9
	v_fmac_f32_e32 v31, 0xbbbac73d, v30
	v_fma_f32 v31, v30, v31, v250
	v_fma_f32 v31, v30, v31, v251
	;; [unrolled: 1-line block ×3, first 2 shown]
	v_mul_f32_e64 v31, |v22|, v31
	v_fma_f32 v30, v30, v31, |v22|
; %bb.298:                              ;   in Loop: Header=BB25_278 Depth=2
	s_or_b64 exec, exec, s[42:43]
	v_cmp_nlt_f32_e64 s[42:43], |v23|, s69
                                        ; implicit-def: $vgpr31
	s_and_saveexec_b64 s[46:47], s[42:43]
	s_xor_b64 s[42:43], exec, s[46:47]
	s_cbranch_execz .LBB25_300
; %bb.299:                              ;   in Loop: Header=BB25_278 Depth=2
	v_add_f32_e64 v31, |v23|, |v23|
	v_mul_f32_e32 v32, 0x3fb8aa3b, v31
	v_rndne_f32_e32 v33, v32
	v_sub_f32_e32 v61, v32, v33
	v_fma_f32 v32, v31, s85, -v32
	v_fmac_f32_e32 v32, 0x32a5705f, v31
	v_add_f32_e32 v32, v61, v32
	v_cvt_i32_f32_e32 v33, v33
	v_exp_f32_e32 v32, v32
	v_cmp_ngt_f32_e32 vcc, s8, v31
	v_ldexp_f32 v32, v32, v33
	v_cndmask_b32_e32 v32, 0, v32, vcc
	v_cmp_nlt_f32_e32 vcc, s9, v31
	v_cndmask_b32_e32 v31, v228, v32, vcc
	v_add_f32_e32 v31, 1.0, v31
	v_rcp_f32_e32 v31, v31
	v_fma_f32 v31, v31, -2.0, 1.0
.LBB25_300:                             ;   in Loop: Header=BB25_278 Depth=2
	s_andn2_saveexec_b64 s[42:43], s[42:43]
; %bb.301:                              ;   in Loop: Header=BB25_278 Depth=2
	v_mul_f32_e32 v31, v23, v23
	v_mov_b32_e32 v32, 0x3ca908c9
	v_fmac_f32_e32 v32, 0xbbbac73d, v31
	v_fma_f32 v32, v31, v32, v250
	v_fma_f32 v32, v31, v32, v251
	;; [unrolled: 1-line block ×3, first 2 shown]
	v_mul_f32_e64 v32, |v23|, v32
	v_fma_f32 v31, v31, v32, |v23|
; %bb.302:                              ;   in Loop: Header=BB25_278 Depth=2
	s_or_b64 exec, exec, s[42:43]
	v_cmp_nlt_f32_e64 s[42:43], |v24|, s69
                                        ; implicit-def: $vgpr32
	s_and_saveexec_b64 s[46:47], s[42:43]
	s_xor_b64 s[42:43], exec, s[46:47]
	s_cbranch_execz .LBB25_304
; %bb.303:                              ;   in Loop: Header=BB25_278 Depth=2
	v_add_f32_e64 v32, |v24|, |v24|
	v_mul_f32_e32 v33, 0x3fb8aa3b, v32
	v_rndne_f32_e32 v61, v33
	v_sub_f32_e32 v190, v33, v61
	v_fma_f32 v33, v32, s85, -v33
	v_fmac_f32_e32 v33, 0x32a5705f, v32
	v_add_f32_e32 v33, v190, v33
	v_cvt_i32_f32_e32 v61, v61
	v_exp_f32_e32 v33, v33
	v_cmp_ngt_f32_e32 vcc, s8, v32
	v_ldexp_f32 v33, v33, v61
	v_cndmask_b32_e32 v33, 0, v33, vcc
	v_cmp_nlt_f32_e32 vcc, s9, v32
	v_cndmask_b32_e32 v32, v228, v33, vcc
	v_add_f32_e32 v32, 1.0, v32
	v_rcp_f32_e32 v32, v32
	v_fma_f32 v32, v32, -2.0, 1.0
.LBB25_304:                             ;   in Loop: Header=BB25_278 Depth=2
	s_andn2_saveexec_b64 s[42:43], s[42:43]
; %bb.305:                              ;   in Loop: Header=BB25_278 Depth=2
	v_mul_f32_e32 v32, v24, v24
	v_mov_b32_e32 v33, 0x3ca908c9
	v_fmac_f32_e32 v33, 0xbbbac73d, v32
	v_fma_f32 v33, v32, v33, v250
	v_fma_f32 v33, v32, v33, v251
	;; [unrolled: 1-line block ×3, first 2 shown]
	v_mul_f32_e64 v33, |v24|, v33
	v_fma_f32 v32, v32, v33, |v24|
; %bb.306:                              ;   in Loop: Header=BB25_278 Depth=2
	s_or_b64 exec, exec, s[42:43]
	v_cmp_nlt_f32_e64 s[42:43], |v25|, s69
                                        ; implicit-def: $vgpr61
	s_and_saveexec_b64 s[46:47], s[42:43]
	s_xor_b64 s[42:43], exec, s[46:47]
	s_cbranch_execz .LBB25_308
; %bb.307:                              ;   in Loop: Header=BB25_278 Depth=2
	v_add_f32_e64 v33, |v25|, |v25|
	v_mul_f32_e32 v61, 0x3fb8aa3b, v33
	v_rndne_f32_e32 v190, v61
	v_sub_f32_e32 v191, v61, v190
	v_fma_f32 v61, v33, s85, -v61
	v_fmac_f32_e32 v61, 0x32a5705f, v33
	v_add_f32_e32 v61, v191, v61
	v_cvt_i32_f32_e32 v190, v190
	v_exp_f32_e32 v61, v61
	v_cmp_ngt_f32_e32 vcc, s8, v33
	v_ldexp_f32 v61, v61, v190
	v_cndmask_b32_e32 v61, 0, v61, vcc
	v_cmp_nlt_f32_e32 vcc, s9, v33
	v_cndmask_b32_e32 v33, v228, v61, vcc
	v_add_f32_e32 v33, 1.0, v33
	v_rcp_f32_e32 v33, v33
	v_fma_f32 v61, v33, -2.0, 1.0
.LBB25_308:                             ;   in Loop: Header=BB25_278 Depth=2
	s_andn2_saveexec_b64 s[42:43], s[42:43]
; %bb.309:                              ;   in Loop: Header=BB25_278 Depth=2
	v_mul_f32_e32 v33, v25, v25
	v_mov_b32_e32 v61, 0x3ca908c9
	v_fmac_f32_e32 v61, 0xbbbac73d, v33
	v_fma_f32 v61, v33, v61, v250
	v_fma_f32 v61, v33, v61, v251
	;; [unrolled: 1-line block ×3, first 2 shown]
	v_mul_f32_e64 v61, |v25|, v61
	v_fma_f32 v61, v33, v61, |v25|
; %bb.310:                              ;   in Loop: Header=BB25_278 Depth=2
	s_or_b64 exec, exec, s[42:43]
	v_bfi_b32 v18, s68, v26, v18
	v_bfi_b32 v22, s68, v30, v22
	v_mul_f32_e32 v30, s97, v18
	v_bfi_b32 v18, s68, v27, v19
	v_bfi_b32 v23, s68, v31, v23
	v_mul_f32_e32 v31, s97, v18
	;; [unrolled: 3-line block ×3, first 2 shown]
	v_bfi_b32 v18, s68, v29, v21
	v_mul_f32_e32 v33, s97, v18
	v_bfi_b32 v18, s68, v61, v25
	v_mul_f32_e32 v22, s97, v22
	v_mul_f32_e32 v23, s97, v23
	v_mul_f32_e32 v24, s97, v24
	v_mul_f32_e32 v25, s97, v18
	s_and_b64 vcc, exec, s[40:41]
	s_cbranch_vccz .LBB25_315
; %bb.311:                              ;   in Loop: Header=BB25_278 Depth=2
	v_add_u32_e32 v18, 0x4400, v129
	ds_read2_b32 v[18:19], v18 offset1:1
	ds_read_b32 v26, v131 offset:17408
	ds_read_b32 v27, v133 offset:17408
	v_mov_b32_e32 v61, v60
	s_waitcnt lgkmcnt(2)
	v_cvt_f32_f16_e32 v20, v18
	v_cvt_f32_f16_sdwa v21, v18 dst_sel:DWORD dst_unused:UNUSED_PAD src0_sel:WORD_1
	v_cvt_f32_f16_e32 v18, v19
	v_cvt_f32_f16_sdwa v19, v19 dst_sel:DWORD dst_unused:UNUSED_PAD src0_sel:WORD_1
	s_waitcnt lgkmcnt(1)
	v_cvt_f32_f16_sdwa v197, v26 dst_sel:DWORD dst_unused:UNUSED_PAD src0_sel:WORD_1
	s_waitcnt lgkmcnt(0)
	v_cvt_f32_f16_sdwa v191, v27 dst_sel:DWORD dst_unused:UNUSED_PAD src0_sel:WORD_1
	v_cvt_f32_f16_e32 v190, v27
	v_cvt_f32_f16_e32 v196, v26
	v_pk_fma_f32 v[28:29], v[60:61], v[18:19], v[32:33]
	v_pk_fma_f32 v[26:27], v[62:63], v[20:21], v[30:31]
	;; [unrolled: 1-line block ×4, first 2 shown]
	s_cbranch_execnz .LBB25_313
.LBB25_312:                             ;   in Loop: Header=BB25_278 Depth=2
	v_pk_mov_b32 v[18:19], v[22:23], v[22:23] op_sel:[0,1]
	v_pk_mov_b32 v[26:27], v[30:31], v[30:31] op_sel:[0,1]
	v_pk_mov_b32 v[20:21], v[24:25], v[24:25] op_sel:[0,1]
	v_pk_mov_b32 v[28:29], v[32:33], v[32:33] op_sel:[0,1]
.LBB25_313:                             ;   in Loop: Header=BB25_278 Depth=2
	v_add_f32_e32 v22, 0x40051340, v26
	v_max_f32_e32 v23, v195, v195
	v_max_f32_e32 v22, v23, v22
	v_cndmask_b32_e64 v22, v195, v22, s[14:15]
	v_add_f32_e32 v23, 0x40051340, v27
	v_max_f32_e32 v24, v22, v22
	v_max_f32_e32 v23, v24, v23
	v_cndmask_b32_e64 v22, v22, v23, s[16:17]
	;; [unrolled: 4-line block ×8, first 2 shown]
	ds_bpermute_b32 v23, v219, v22
	v_max_f32_e32 v22, v22, v22
	v_cndmask_b32_e64 v19, v19, v19, s[22:23]
	v_cndmask_b32_e64 v20, v20, v20, s[22:23]
	;; [unrolled: 1-line block ×3, first 2 shown]
	s_waitcnt lgkmcnt(0)
	v_max_f32_e32 v23, v23, v23
	v_max_f32_e32 v22, v22, v23
	ds_bpermute_b32 v23, v220, v22
	buffer_store_dword v108, off, s[0:3], 0
	buffer_store_dword v108, off, s[0:3], 0 offset:4
	buffer_store_dword v108, off, s[0:3], 0 offset:8
	;; [unrolled: 1-line block ×3, first 2 shown]
	s_add_i32 s45, s45, -1
	s_cmp_lg_u32 s45, 0
	s_waitcnt lgkmcnt(0)
	v_max_f32_e32 v23, v23, v23
	v_max_f32_e32 v22, v22, v23
	v_sub_f32_e32 v23, v26, v22
	v_mul_f32_e32 v24, 0x3fb8aa3b, v23
	v_fma_f32 v25, v23, s85, -v24
	v_rndne_f32_e32 v26, v24
	v_fmac_f32_e32 v25, 0x32a5705f, v23
	v_sub_f32_e32 v24, v24, v26
	v_add_f32_e32 v24, v24, v25
	v_exp_f32_e32 v24, v24
	v_cvt_i32_f32_e32 v25, v26
	v_cmp_ngt_f32_e32 vcc, s8, v23
	v_sub_f32_e32 v18, v18, v22
	v_sub_f32_e32 v19, v19, v22
	v_ldexp_f32 v24, v24, v25
	v_cndmask_b32_e32 v24, 0, v24, vcc
	v_cmp_nlt_f32_e32 vcc, s9, v23
	v_cndmask_b32_e32 v23, v228, v24, vcc
	v_cndmask_b32_e64 v190, 0, v23, s[14:15]
	v_sub_f32_e32 v23, v27, v22
	v_mul_f32_e32 v24, 0x3fb8aa3b, v23
	v_fma_f32 v25, v23, s85, -v24
	v_rndne_f32_e32 v26, v24
	v_fmac_f32_e32 v25, 0x32a5705f, v23
	v_sub_f32_e32 v24, v24, v26
	v_add_f32_e32 v24, v24, v25
	v_exp_f32_e32 v24, v24
	v_cvt_i32_f32_e32 v25, v26
	v_cmp_ngt_f32_e32 vcc, s8, v23
	v_cndmask_b32_e64 v27, v28, v28, s[16:17]
	v_cndmask_b32_e64 v26, v29, v29, s[16:17]
	v_ldexp_f32 v24, v24, v25
	v_cndmask_b32_e32 v24, 0, v24, vcc
	v_cmp_nlt_f32_e32 vcc, s9, v23
	v_cndmask_b32_e32 v24, v228, v24, vcc
	v_mov_b32_e32 v23, s95
	v_add_f32_e32 v25, v24, v190
	v_cndmask_b32_e64 v61, v23, v24, s[16:17]
	v_sub_f32_e32 v24, v27, v22
	v_cndmask_b32_e64 v23, v190, v25, s[16:17]
	v_mul_f32_e32 v25, 0x3fb8aa3b, v24
	v_fma_f32 v27, v24, s85, -v25
	v_rndne_f32_e32 v28, v25
	v_fmac_f32_e32 v27, 0x32a5705f, v24
	v_sub_f32_e32 v25, v25, v28
	v_add_f32_e32 v25, v25, v27
	v_exp_f32_e32 v25, v25
	v_cvt_i32_f32_e32 v27, v28
	v_cmp_ngt_f32_e32 vcc, s8, v24
	v_ldexp_f32 v25, v25, v27
	v_cndmask_b32_e32 v25, 0, v25, vcc
	v_cmp_nlt_f32_e32 vcc, s9, v24
	v_cndmask_b32_e32 v25, v228, v25, vcc
	v_add_f32_e32 v27, v23, v25
	v_mov_b32_e32 v24, s95
	v_cndmask_b32_e64 v191, v24, v25, s[18:19]
	v_cndmask_b32_e64 v24, v23, v27, s[18:19]
	v_sub_f32_e32 v23, v26, v22
	v_mul_f32_e32 v25, 0x3fb8aa3b, v23
	v_fma_f32 v26, v23, s85, -v25
	v_rndne_f32_e32 v27, v25
	v_fmac_f32_e32 v26, 0x32a5705f, v23
	v_sub_f32_e32 v25, v25, v27
	v_add_f32_e32 v25, v25, v26
	v_exp_f32_e32 v25, v25
	v_cvt_i32_f32_e32 v26, v27
	v_cmp_ngt_f32_e32 vcc, s8, v23
	v_ldexp_f32 v25, v25, v26
	v_cndmask_b32_e32 v25, 0, v25, vcc
	v_cmp_nlt_f32_e32 vcc, s9, v23
	v_cndmask_b32_e32 v25, v228, v25, vcc
	v_add_f32_e32 v26, v24, v25
	v_mov_b32_e32 v23, s95
	v_cndmask_b32_e64 v196, v23, v25, s[20:21]
	v_cndmask_b32_e64 v23, v24, v26, s[20:21]
	v_mul_f32_e32 v24, 0x3fb8aa3b, v18
	v_fma_f32 v25, v18, s85, -v24
	v_rndne_f32_e32 v26, v24
	v_fmac_f32_e32 v25, 0x32a5705f, v18
	v_sub_f32_e32 v24, v24, v26
	v_add_f32_e32 v24, v24, v25
	v_exp_f32_e32 v24, v24
	v_cvt_i32_f32_e32 v25, v26
	v_cmp_ngt_f32_e32 vcc, s8, v18
	v_ldexp_f32 v24, v24, v25
	v_cndmask_b32_e32 v24, 0, v24, vcc
	v_cmp_nlt_f32_e32 vcc, s9, v18
	v_cndmask_b32_e32 v24, v228, v24, vcc
	v_add_f32_e32 v25, v24, v23
	v_mov_b32_e32 v18, s95
	v_cndmask_b32_e64 v197, v18, v24, s[22:23]
	v_cndmask_b32_e64 v18, v23, v25, s[22:23]
	;; [unrolled: 17-line block ×3, first 2 shown]
	v_sub_f32_e32 v18, v20, v22
	v_mul_f32_e32 v20, 0x3fb8aa3b, v18
	v_fma_f32 v23, v18, s85, -v20
	v_rndne_f32_e32 v24, v20
	v_fmac_f32_e32 v23, 0x32a5705f, v18
	v_sub_f32_e32 v20, v20, v24
	v_add_f32_e32 v20, v20, v23
	v_exp_f32_e32 v20, v20
	v_cvt_i32_f32_e32 v23, v24
	v_cmp_ngt_f32_e32 vcc, s8, v18
	v_ldexp_f32 v20, v20, v23
	v_cndmask_b32_e32 v20, 0, v20, vcc
	v_cmp_nlt_f32_e32 vcc, s9, v18
	v_cndmask_b32_e32 v20, v228, v20, vcc
	v_add_f32_e32 v23, v20, v19
	v_mov_b32_e32 v18, s95
	v_cndmask_b32_e64 v218, v18, v20, s[26:27]
	v_cndmask_b32_e64 v18, v19, v23, s[26:27]
	v_sub_f32_e32 v19, v21, v22
	v_mul_f32_e32 v20, 0x3fb8aa3b, v19
	v_fma_f32 v21, v19, s85, -v20
	v_rndne_f32_e32 v23, v20
	v_fmac_f32_e32 v21, 0x32a5705f, v19
	v_sub_f32_e32 v20, v20, v23
	v_add_f32_e32 v20, v20, v21
	v_exp_f32_e32 v20, v20
	v_cvt_i32_f32_e32 v21, v23
	v_cmp_ngt_f32_e32 vcc, s8, v19
	v_ldexp_f32 v20, v20, v21
	v_cndmask_b32_e32 v20, 0, v20, vcc
	v_cmp_nlt_f32_e32 vcc, s9, v19
	v_cndmask_b32_e32 v20, v228, v20, vcc
	v_add_f32_e32 v21, v20, v18
	v_mov_b32_e32 v19, s95
	v_cndmask_b32_e64 v23, v18, v21, s[28:29]
	v_sub_f32_e32 v18, v195, v22
	v_cndmask_b32_e64 v19, v19, v20, s[28:29]
	v_mul_f32_e32 v20, 0x3fb8aa3b, v18
	v_fma_f32 v21, v18, s85, -v20
	v_rndne_f32_e32 v24, v20
	v_fmac_f32_e32 v21, 0x32a5705f, v18
	v_sub_f32_e32 v20, v20, v24
	v_add_f32_e32 v20, v20, v21
	v_exp_f32_e32 v20, v20
	v_cvt_i32_f32_e32 v21, v24
	v_cmp_ngt_f32_e32 vcc, s8, v18
	v_cvt_f16_f32_e32 v19, v19
	v_ldexp_f32 v20, v20, v21
	v_cndmask_b32_e32 v20, 0, v20, vcc
	v_cmp_nlt_f32_e32 vcc, s9, v18
	v_cndmask_b32_e32 v20, v228, v20, vcc
	v_cmp_le_f32_e32 vcc, s70, v18
	v_cndmask_b32_e32 v18, 0, v20, vcc
	v_fmac_f32_e32 v23, v209, v18
	v_cvt_f16_f32_e32 v18, v18
	v_cvt_f16_f32_e32 v20, v61
	;; [unrolled: 1-line block ×4, first 2 shown]
	v_pk_mul_f16 v223, v18, v223 op_sel_hi:[0,1]
	v_pk_mul_f16 v222, v18, v222 op_sel_hi:[0,1]
	v_pk_mul_f16 v209, v18, v217 op_sel_hi:[0,1]
	v_pk_mul_f16 v195, v18, v216 op_sel_hi:[0,1]
	v_pk_mul_f16 v214, v18, v214 op_sel_hi:[0,1]
	v_pk_mul_f16 v213, v18, v213 op_sel_hi:[0,1]
	v_pk_mul_f16 v33, v18, v211 op_sel_hi:[0,1]
	v_pk_mul_f16 v32, v18, v210 op_sel_hi:[0,1]
	v_pk_mul_f16 v31, v18, v208 op_sel_hi:[0,1]
	v_pk_mul_f16 v30, v18, v207 op_sel_hi:[0,1]
	v_pk_mul_f16 v29, v18, v205 op_sel_hi:[0,1]
	v_pk_mul_f16 v28, v18, v204 op_sel_hi:[0,1]
	v_pk_mul_f16 v27, v18, v202 op_sel_hi:[0,1]
	v_pk_mul_f16 v26, v18, v201 op_sel_hi:[0,1]
	v_pk_mul_f16 v25, v18, v198 op_sel_hi:[0,1]
	v_pk_mul_f16 v24, v18, v199 op_sel_hi:[0,1]
	v_cvt_f16_f32_e32 v18, v190
	v_mov_b32_e32 v201, s37
	v_mov_b32_e32 v202, s36
	v_pack_b32_f16 v20, v18, v20
	v_cvt_f16_f32_e32 v18, v191
	v_pack_b32_f16 v21, v18, v21
	v_cvt_f16_f32_e32 v18, v197
	;; [unrolled: 2-line block ×3, first 2 shown]
	v_pack_b32_f16 v19, v61, v19
	v_add_co_u32_e32 v61, vcc, v64, v42
	v_addc_co_u32_e32 v190, vcc, 0, v1, vcc
	v_cndmask_b32_e64 v191, v201, v190, s[6:7]
	v_cndmask_b32_e64 v190, v202, v61, s[6:7]
	v_add_co_u32_e32 v61, vcc, v66, v42
	v_addc_co_u32_e32 v196, vcc, 0, v35, vcc
	v_cndmask_b32_e64 v197, v201, v196, s[38:39]
	v_cndmask_b32_e64 v196, v202, v61, s[38:39]
	;; [unrolled: 4-line block ×3, first 2 shown]
	v_add_co_u32_e32 v61, vcc, v70, v42
	v_addc_co_u32_e32 v204, vcc, 0, v39, vcc
	v_cndmask_b32_e64 v211, v201, v204, s[12:13]
	flat_load_dwordx4 v[204:207], v[190:191]
	v_cndmask_b32_e64 v210, v202, v61, s[12:13]
	v_add_u32_e32 v61, v134, v150
	v_add_u32_e32 v202, v135, v150
	v_add_co_u32_e32 v64, vcc, s92, v64
	s_waitcnt vmcnt(0) lgkmcnt(0)
	ds_write_b128 v120, v[204:207]
	flat_load_dwordx4 v[204:207], v[196:197]
	s_waitcnt vmcnt(0) lgkmcnt(0)
	ds_write_b128 v122, v[204:207]
	flat_load_dwordx4 v[204:207], v[198:199]
	;; [unrolled: 3-line block ×3, first 2 shown]
	s_waitcnt vmcnt(0) lgkmcnt(0)
	ds_write_b128 v126, v[204:207]
	s_waitcnt lgkmcnt(0)
	s_barrier
	ds_read_u16 v190, v61 offset:272
	ds_read_u16 v191, v153 offset:544
	v_add_u32_e32 v61, v134, v151
	ds_read_u16 v196, v61
	ds_read_u16 v197, v61 offset:32
	v_cvt_f32_f16_e32 v204, v223
	v_cvt_f32_f16_sdwa v205, v223 dst_sel:DWORD dst_unused:UNUSED_PAD src0_sel:WORD_1
	v_cvt_f32_f16_e32 v206, v222
	s_waitcnt lgkmcnt(1)
	v_perm_b32 v191, v196, v191, s71
	ds_read_u16 v196, v152
	ds_read_u16 v198, v152 offset:32
	v_cvt_f32_f16_sdwa v207, v222 dst_sel:DWORD dst_unused:UNUSED_PAD src0_sel:WORD_1
	ds_read_u16 v201, v152 offset:8704
	ds_read_u16 v202, v202 offset:272
	ds_read_u16 v208, v154 offset:544
	ds_read_u16 v210, v61 offset:8704
	s_waitcnt lgkmcnt(5)
	v_perm_b32 v190, v190, v196, s71
	s_nop 1
	v_mfma_f32_16x16x16f16 v[204:207], v[190:191], v[20:21], v[204:207]
	s_nop 7
	s_nop 2
	v_cvt_f16_f32_e32 v190, v204
	v_cvt_f16_f32_e32 v191, v205
	;; [unrolled: 1-line block ×4, first 2 shown]
	v_cvt_f32_f16_e32 v204, v190
	v_cvt_f32_f16_e32 v205, v191
	s_waitcnt lgkmcnt(0)
	v_perm_b32 v191, v210, v208, s71
	v_perm_b32 v190, v202, v201, s71
	v_cvt_f32_f16_e32 v206, v196
	v_cvt_f32_f16_e32 v207, v199
	v_add_u32_e32 v201, v136, v151
	s_nop 0
	v_mfma_f32_16x16x16f16 v[204:207], v[190:191], v[18:19], v[204:207]
	s_nop 7
	s_nop 2
	v_cvt_f16_f32_e32 v190, v204
	v_cvt_f16_f32_e32 v191, v205
	;; [unrolled: 1-line block ×4, first 2 shown]
	v_cvt_f32_f16_e32 v204, v209
	v_pack_b32_f16 v223, v190, v191
	v_add_u32_e32 v190, v136, v150
	ds_read_u16 v190, v190 offset:272
	ds_read_u16 v191, v155 offset:544
	v_cvt_f32_f16_sdwa v205, v209 dst_sel:DWORD dst_unused:UNUSED_PAD src0_sel:WORD_1
	v_cvt_f32_f16_e32 v206, v195
	v_cvt_f32_f16_sdwa v207, v195 dst_sel:DWORD dst_unused:UNUSED_PAD src0_sel:WORD_1
	s_waitcnt lgkmcnt(1)
	v_perm_b32 v190, v190, v198, s71
	s_waitcnt lgkmcnt(0)
	v_perm_b32 v191, v197, v191, s71
	v_add_u32_e32 v198, v137, v150
	v_pack_b32_f16 v222, v196, v199
	v_mfma_f32_16x16x16f16 v[204:207], v[190:191], v[20:21], v[204:207]
	ds_read_u16 v197, v156 offset:8704
	ds_read_u16 v198, v198 offset:272
	ds_read_u16 v199, v157 offset:544
	ds_read_u16 v201, v201 offset:8704
	s_nop 6
	v_cvt_f16_f32_e32 v190, v204
	v_cvt_f16_f32_e32 v191, v205
	;; [unrolled: 1-line block ×4, first 2 shown]
	v_cvt_f32_f16_e32 v204, v190
	v_cvt_f32_f16_e32 v205, v191
	s_waitcnt lgkmcnt(0)
	v_perm_b32 v191, v201, v199, s71
	v_perm_b32 v190, v198, v197, s71
	v_cvt_f32_f16_e32 v206, v195
	v_cvt_f32_f16_e32 v207, v196
	v_add_u32_e32 v198, v139, v150
	v_add_u32_e32 v201, v138, v151
	v_mfma_f32_16x16x16f16 v[204:207], v[190:191], v[18:19], v[204:207]
	s_nop 7
	s_nop 2
	v_cvt_f16_f32_e32 v190, v204
	v_cvt_f16_f32_e32 v191, v205
	;; [unrolled: 1-line block ×4, first 2 shown]
	v_cvt_f32_f16_e32 v204, v214
	v_pack_b32_f16 v217, v190, v191
	v_add_u32_e32 v191, v138, v150
	v_pack_b32_f16 v216, v195, v196
	ds_read_u16 v190, v152 offset:64
	ds_read_u16 v195, v191 offset:272
	;; [unrolled: 1-line block ×4, first 2 shown]
	v_cvt_f32_f16_sdwa v205, v214 dst_sel:DWORD dst_unused:UNUSED_PAD src0_sel:WORD_1
	v_cvt_f32_f16_e32 v206, v213
	v_cvt_f32_f16_sdwa v207, v213 dst_sel:DWORD dst_unused:UNUSED_PAD src0_sel:WORD_1
	s_waitcnt lgkmcnt(2)
	v_perm_b32 v190, v195, v190, s71
	s_waitcnt lgkmcnt(0)
	v_perm_b32 v191, v196, v191, s71
	ds_read_u16 v197, v159 offset:8704
	ds_read_u16 v198, v198 offset:272
	ds_read_u16 v199, v160 offset:544
	v_mfma_f32_16x16x16f16 v[204:207], v[190:191], v[20:21], v[204:207]
	ds_read_u16 v201, v201 offset:8704
	s_nop 7
	s_nop 1
	v_cvt_f16_f32_e32 v190, v204
	v_cvt_f16_f32_e32 v191, v205
	;; [unrolled: 1-line block ×4, first 2 shown]
	v_cvt_f32_f16_e32 v204, v190
	v_cvt_f32_f16_e32 v205, v191
	s_waitcnt lgkmcnt(0)
	v_perm_b32 v191, v201, v199, s71
	v_perm_b32 v190, v198, v197, s71
	v_cvt_f32_f16_e32 v206, v195
	v_cvt_f32_f16_e32 v207, v196
	s_nop 1
	v_mfma_f32_16x16x16f16 v[204:207], v[190:191], v[18:19], v[204:207]
	s_nop 7
	s_nop 2
	v_cvt_f16_f32_e32 v190, v204
	v_cvt_f16_f32_e32 v191, v205
	;; [unrolled: 1-line block ×4, first 2 shown]
	v_cvt_f32_f16_e32 v204, v33
	v_pack_b32_f16 v214, v190, v191
	v_add_u32_e32 v190, v140, v150
	v_pack_b32_f16 v213, v195, v196
	ds_read_u16 v195, v152 offset:96
	ds_read_u16 v198, v190 offset:272
	;; [unrolled: 1-line block ×4, first 2 shown]
	v_cvt_f32_f16_sdwa v205, v33 dst_sel:DWORD dst_unused:UNUSED_PAD src0_sel:WORD_1
	v_cvt_f32_f16_e32 v206, v32
	v_cvt_f32_f16_sdwa v207, v32 dst_sel:DWORD dst_unused:UNUSED_PAD src0_sel:WORD_1
	s_waitcnt lgkmcnt(2)
	v_perm_b32 v32, v198, v195, s71
	s_waitcnt lgkmcnt(0)
	v_perm_b32 v33, v190, v199, s71
	v_add_u32_e32 v196, v141, v150
	v_add_u32_e32 v198, v140, v151
	v_mfma_f32_16x16x16f16 v[204:207], v[32:33], v[20:21], v[204:207]
	ds_read_u16 v195, v162 offset:8704
	ds_read_u16 v196, v196 offset:272
	;; [unrolled: 1-line block ×4, first 2 shown]
	s_nop 6
	v_cvt_f16_f32_e32 v32, v204
	v_cvt_f16_f32_e32 v33, v205
	v_cvt_f16_f32_e32 v190, v206
	v_cvt_f16_f32_e32 v191, v207
	v_cvt_f32_f16_e32 v204, v32
	v_cvt_f32_f16_e32 v205, v33
	s_waitcnt lgkmcnt(0)
	v_perm_b32 v33, v198, v197, s71
	v_perm_b32 v32, v196, v195, s71
	v_cvt_f32_f16_e32 v206, v190
	v_cvt_f32_f16_e32 v207, v191
	v_add_u32_e32 v196, v142, v151
	s_nop 0
	v_mfma_f32_16x16x16f16 v[204:207], v[32:33], v[18:19], v[204:207]
	s_nop 7
	s_nop 2
	v_cvt_f16_f32_e32 v32, v204
	v_cvt_f16_f32_e32 v33, v205
	;; [unrolled: 1-line block ×4, first 2 shown]
	v_cvt_f32_f16_e32 v204, v31
	v_pack_b32_f16 v211, v32, v33
	v_add_u32_e32 v33, v142, v150
	v_pack_b32_f16 v210, v190, v191
	ds_read_u16 v32, v152 offset:128
	ds_read_u16 v33, v33 offset:272
	;; [unrolled: 1-line block ×4, first 2 shown]
	v_cvt_f32_f16_sdwa v205, v31 dst_sel:DWORD dst_unused:UNUSED_PAD src0_sel:WORD_1
	v_cvt_f32_f16_e32 v206, v30
	v_cvt_f32_f16_sdwa v207, v30 dst_sel:DWORD dst_unused:UNUSED_PAD src0_sel:WORD_1
	s_waitcnt lgkmcnt(2)
	v_perm_b32 v30, v33, v32, s71
	s_waitcnt lgkmcnt(0)
	v_perm_b32 v31, v191, v190, s71
	v_add_u32_e32 v191, v143, v150
	ds_read_u16 v190, v165 offset:8704
	v_mfma_f32_16x16x16f16 v[30:33], v[30:31], v[20:21], v[204:207]
	ds_read_u16 v195, v191 offset:272
	ds_read_u16 v191, v166 offset:544
	;; [unrolled: 1-line block ×3, first 2 shown]
	s_waitcnt lgkmcnt(2)
	v_perm_b32 v190, v195, v190, s71
	s_waitcnt lgkmcnt(0)
	v_perm_b32 v191, v196, v191, s71
	s_nop 3
	v_cvt_f16_f32_e32 v30, v30
	v_cvt_f16_f32_e32 v31, v31
	;; [unrolled: 1-line block ×4, first 2 shown]
	v_cvt_f32_f16_e32 v30, v30
	v_cvt_f32_f16_e32 v31, v31
	;; [unrolled: 1-line block ×4, first 2 shown]
	s_nop 1
	v_mfma_f32_16x16x16f16 v[30:33], v[190:191], v[18:19], v[30:33]
	ds_read_u16 v190, v152 offset:160
	s_nop 7
	s_nop 1
	v_cvt_f16_f32_e32 v30, v30
	v_cvt_f16_f32_e32 v31, v31
	;; [unrolled: 1-line block ×4, first 2 shown]
	v_pack_b32_f16 v208, v30, v31
	v_add_u32_e32 v30, v144, v150
	ds_read_u16 v191, v30 offset:272
	ds_read_u16 v195, v167 offset:544
	;; [unrolled: 1-line block ×3, first 2 shown]
	v_pack_b32_f16 v207, v32, v33
	v_cvt_f32_f16_e32 v30, v29
	v_cvt_f32_f16_sdwa v31, v29 dst_sel:DWORD dst_unused:UNUSED_PAD src0_sel:WORD_1
	v_cvt_f32_f16_e32 v32, v28
	v_cvt_f32_f16_sdwa v33, v28 dst_sel:DWORD dst_unused:UNUSED_PAD src0_sel:WORD_1
	s_waitcnt lgkmcnt(0)
	v_perm_b32 v29, v196, v195, s71
	v_perm_b32 v28, v191, v190, s71
	v_add_u32_e32 v191, v144, v151
	s_nop 0
	v_mfma_f32_16x16x16f16 v[28:31], v[28:29], v[20:21], v[30:33]
	s_nop 6
	v_add_u32_e32 v33, v145, v150
	ds_read_u16 v32, v168 offset:8704
	ds_read_u16 v190, v33 offset:272
	;; [unrolled: 1-line block ×4, first 2 shown]
	v_cvt_f16_f32_e32 v28, v28
	v_cvt_f16_f32_e32 v29, v29
	v_cvt_f16_f32_e32 v30, v30
	v_cvt_f16_f32_e32 v31, v31
	s_waitcnt lgkmcnt(0)
	v_perm_b32 v33, v191, v33, s71
	v_perm_b32 v32, v190, v32, s71
	v_cvt_f32_f16_e32 v28, v28
	v_cvt_f32_f16_e32 v29, v29
	;; [unrolled: 1-line block ×4, first 2 shown]
	s_nop 1
	v_mfma_f32_16x16x16f16 v[28:31], v[32:33], v[18:19], v[28:31]
	ds_read_u16 v32, v152 offset:192
	s_nop 7
	s_nop 1
	v_cvt_f16_f32_e32 v28, v28
	v_cvt_f16_f32_e32 v29, v29
	;; [unrolled: 1-line block ×4, first 2 shown]
	v_pack_b32_f16 v205, v28, v29
	v_add_u32_e32 v28, v146, v150
	ds_read_u16 v33, v28 offset:272
	ds_read_u16 v190, v170 offset:544
	;; [unrolled: 1-line block ×3, first 2 shown]
	v_pack_b32_f16 v204, v30, v31
	v_cvt_f32_f16_e32 v28, v27
	v_cvt_f32_f16_sdwa v29, v27 dst_sel:DWORD dst_unused:UNUSED_PAD src0_sel:WORD_1
	v_cvt_f32_f16_e32 v30, v26
	v_cvt_f32_f16_sdwa v31, v26 dst_sel:DWORD dst_unused:UNUSED_PAD src0_sel:WORD_1
	s_waitcnt lgkmcnt(0)
	v_perm_b32 v27, v191, v190, s71
	v_perm_b32 v26, v33, v32, s71
	v_add_u32_e32 v33, v146, v151
	s_nop 0
	v_mfma_f32_16x16x16f16 v[26:29], v[26:27], v[20:21], v[28:31]
	s_nop 6
	v_add_u32_e32 v31, v147, v150
	ds_read_u16 v30, v171 offset:8704
	ds_read_u16 v32, v31 offset:272
	;; [unrolled: 1-line block ×4, first 2 shown]
	v_cvt_f16_f32_e32 v26, v26
	v_cvt_f16_f32_e32 v27, v27
	;; [unrolled: 1-line block ×4, first 2 shown]
	s_waitcnt lgkmcnt(0)
	v_perm_b32 v31, v33, v31, s71
	v_perm_b32 v30, v32, v30, s71
	v_cvt_f32_f16_e32 v26, v26
	v_cvt_f32_f16_e32 v27, v27
	;; [unrolled: 1-line block ×4, first 2 shown]
	s_nop 1
	v_mfma_f32_16x16x16f16 v[26:29], v[30:31], v[18:19], v[26:29]
	ds_read_u16 v30, v152 offset:224
	s_nop 7
	s_nop 1
	v_cvt_f16_f32_e32 v26, v26
	v_cvt_f16_f32_e32 v27, v27
	;; [unrolled: 1-line block ×4, first 2 shown]
	v_pack_b32_f16 v202, v26, v27
	v_add_u32_e32 v26, v148, v150
	ds_read_u16 v31, v26 offset:272
	ds_read_u16 v32, v173 offset:544
	ds_read_u16 v33, v61 offset:224
	v_pack_b32_f16 v201, v28, v29
	v_cvt_f32_f16_e32 v26, v25
	v_cvt_f32_f16_sdwa v27, v25 dst_sel:DWORD dst_unused:UNUSED_PAD src0_sel:WORD_1
	v_cvt_f32_f16_e32 v28, v24
	v_cvt_f32_f16_sdwa v29, v24 dst_sel:DWORD dst_unused:UNUSED_PAD src0_sel:WORD_1
	s_waitcnt lgkmcnt(0)
	v_perm_b32 v25, v33, v32, s71
	v_perm_b32 v24, v31, v30, s71
	s_nop 1
	v_mfma_f32_16x16x16f16 v[24:27], v[24:25], v[20:21], v[26:29]
	s_nop 6
	ds_read_u16 v28, v174 offset:8704
	s_nop 2
	v_cvt_f16_f32_e32 v20, v24
	v_add_u32_e32 v24, v149, v150
	ds_read_u16 v29, v24 offset:272
	ds_read_u16 v30, v175 offset:544
	v_add_u32_e32 v24, v148, v151
	ds_read_u16 v31, v24 offset:8704
	v_cvt_f16_f32_e32 v21, v25
	v_cvt_f16_f32_e32 v26, v26
	;; [unrolled: 1-line block ×3, first 2 shown]
	v_cvt_f32_f16_e32 v24, v20
	v_cvt_f32_f16_e32 v25, v21
	s_waitcnt lgkmcnt(0)
	v_perm_b32 v21, v31, v30, s71
	v_perm_b32 v20, v29, v28, s71
	v_cvt_f32_f16_e32 v26, v26
	v_cvt_f32_f16_e32 v27, v27
	s_barrier
	s_nop 0
	v_mfma_f32_16x16x16f16 v[18:21], v[20:21], v[18:19], v[24:27]
	s_nop 7
	s_nop 2
	v_cvt_f16_f32_e32 v18, v18
	v_cvt_f16_f32_e32 v19, v19
	;; [unrolled: 1-line block ×4, first 2 shown]
	v_pack_b32_f16 v198, v18, v19
	v_mov_b32_e32 v18, s93
	v_addc_co_u32_e32 v1, vcc, v1, v18, vcc
	v_add_co_u32_e32 v66, vcc, s92, v66
	v_addc_co_u32_e32 v35, vcc, v35, v18, vcc
	v_add_co_u32_e32 v68, vcc, s92, v68
	;; [unrolled: 2-line block ×4, first 2 shown]
	v_mov_b32_e32 v18, s35
	v_addc_co_u32_e32 v43, vcc, v43, v18, vcc
	v_add_co_u32_e32 v74, vcc, s34, v74
	v_addc_co_u32_e32 v65, vcc, v65, v18, vcc
	v_add_co_u32_e32 v76, vcc, s34, v76
	;; [unrolled: 2-line block ×11, first 2 shown]
	v_pack_b32_f16 v199, v20, v21
	v_addc_co_u32_e32 v95, vcc, 0, v95, vcc
	s_cbranch_scc0 .LBB25_317
; %bb.314:                              ;   in Loop: Header=BB25_278 Depth=2
	v_mov_b32_e32 v209, v23
	v_mov_b32_e32 v195, v22
	s_andn2_b64 vcc, exec, s[40:41]
	s_cbranch_vccz .LBB25_273
	s_branch .LBB25_278
.LBB25_315:                             ;   in Loop: Header=BB25_278 Depth=2
                                        ; implicit-def: $vgpr26_vgpr27_vgpr28_vgpr29
                                        ; implicit-def: $vgpr18_vgpr19_vgpr20_vgpr21
	s_branch .LBB25_312
.LBB25_316:                             ;   in Loop: Header=BB25_16 Depth=1
	v_mov_b32_e32 v23, 0
	v_mov_b32_e32 v22, 0xfeffffff
	v_mov_b32_e32 v223, 0
	v_mov_b32_e32 v216, 0
	v_mov_b32_e32 v217, 0
	v_mov_b32_e32 v213, 0
	v_mov_b32_e32 v214, 0
	v_mov_b32_e32 v210, 0
	v_mov_b32_e32 v211, 0
	v_mov_b32_e32 v207, 0
	v_mov_b32_e32 v208, 0
	v_mov_b32_e32 v204, 0
	v_mov_b32_e32 v205, 0
	v_mov_b32_e32 v201, 0
	v_mov_b32_e32 v202, 0
	v_mov_b32_e32 v199, 0
	v_mov_b32_e32 v198, 0
.LBB25_317:                             ;   in Loop: Header=BB25_16 Depth=1
	s_lshl_b32 s94, s44, 6
	v_readlane_b32 s40, v254, 4
	s_sub_i32 s64, s40, s94
	s_cmp_lg_u64 s[88:89], 0
	s_cselect_b64 s[48:49], -1, 0
	s_cmp_eq_u64 s[88:89], 0
	v_readlane_b32 s41, v254, 5
	s_cbranch_scc1 .LBB25_327
; %bb.318:                              ;   in Loop: Header=BB25_16 Depth=1
	s_lshl_b64 s[40:41], s[94:95], 1
	s_add_u32 s44, s88, s40
	s_addc_u32 s45, s89, s41
	v_cmp_le_i32_e32 vcc, s64, v34
                                        ; implicit-def: $sgpr46
	s_and_saveexec_b64 s[40:41], vcc
	s_xor_b64 s[40:41], exec, s[40:41]
	s_cbranch_execz .LBB25_320
; %bb.319:                              ;   in Loop: Header=BB25_16 Depth=1
	ds_write_b16 v111, v108 offset:17408
	ds_write_b16 v112, v108 offset:17408
	s_mov_b32 s46, 0
                                        ; implicit-def: $vgpr75
                                        ; implicit-def: $vgpr79
                                        ; implicit-def: $vgpr226
                                        ; implicit-def: $vgpr225
.LBB25_320:                             ;   in Loop: Header=BB25_16 Depth=1
	s_or_saveexec_b64 s[42:43], s[40:41]
	v_lshlrev_b32_e32 v1, 1, v34
	v_mov_b32_e32 v18, s45
	v_add_co_u32_e64 v1, s[40:41], s44, v1
	v_addc_co_u32_e64 v18, s[40:41], 0, v18, s[40:41]
	v_mov_b32_e32 v19, s46
	v_mov_b32_e32 v20, s46
	s_xor_b64 exec, exec, s[42:43]
	s_cbranch_execz .LBB25_322
; %bb.321:                              ;   in Loop: Header=BB25_16 Depth=1
	v_readlane_b32 s44, v254, 10
	v_mul_hi_u32 v19, s44, v75
	v_readlane_b32 s45, v254, 11
	v_add_u32_e32 v19, v75, v19
	v_lshrrev_b32_e32 v19, s45, v19
	v_mul_lo_u32 v19, v19, s84
	v_sub_u32_e32 v19, v75, v19
	v_mad_i64_i32 v[20:21], s[40:41], v19, s90, 0
	v_lshlrev_b64 v[20:21], 1, v[20:21]
	v_add_co_u32_e64 v20, s[40:41], v1, v20
	v_addc_co_u32_e64 v21, s[40:41], v18, v21, s[40:41]
	flat_load_ushort v19, v[20:21]
	v_mul_hi_u32 v20, s44, v79
	v_add_u32_e32 v20, v79, v20
	v_lshrrev_b32_e32 v20, s45, v20
	v_mul_lo_u32 v20, v20, s84
	v_sub_u32_e32 v20, v79, v20
	v_mad_i64_i32 v[20:21], s[40:41], v20, s90, 0
	v_lshlrev_b64 v[20:21], 1, v[20:21]
	v_add_co_u32_e64 v20, s[40:41], v1, v20
	v_addc_co_u32_e64 v21, s[40:41], v18, v21, s[40:41]
	flat_load_ushort v20, v[20:21]
	s_waitcnt vmcnt(0) lgkmcnt(0)
	ds_write_b16 v111, v19 offset:17408
	ds_write_b16 v112, v20 offset:17408
	v_mul_hi_u32 v19, s44, v226
	v_add_u32_e32 v19, v226, v19
	v_lshrrev_b32_e32 v19, s45, v19
	v_mul_lo_u32 v19, v19, s84
	v_sub_u32_e32 v19, v226, v19
	v_mad_i64_i32 v[20:21], s[40:41], v19, s90, 0
	v_lshlrev_b64 v[20:21], 1, v[20:21]
	v_add_co_u32_e64 v20, s[40:41], v1, v20
	v_addc_co_u32_e64 v21, s[40:41], v18, v21, s[40:41]
	flat_load_ushort v19, v[20:21]
	v_mul_hi_u32 v20, s44, v225
	v_add_u32_e32 v20, v225, v20
	v_lshrrev_b32_e32 v20, s45, v20
	v_mul_lo_u32 v20, v20, s84
	v_sub_u32_e32 v20, v225, v20
	v_mad_i64_i32 v[20:21], s[40:41], v20, s90, 0
	v_lshlrev_b64 v[20:21], 1, v[20:21]
	v_add_co_u32_e64 v20, s[40:41], v1, v20
	v_addc_co_u32_e64 v21, s[40:41], v18, v21, s[40:41]
	flat_load_ushort v20, v[20:21]
.LBB25_322:                             ;   in Loop: Header=BB25_16 Depth=1
	s_or_b64 exec, exec, s[42:43]
	s_waitcnt vmcnt(0) lgkmcnt(0)
	ds_write_b16 v113, v19 offset:17408
	ds_write_b16 v114, v20 offset:17408
                                        ; implicit-def: $sgpr42
	s_and_saveexec_b64 s[40:41], vcc
	s_xor_b64 s[40:41], exec, s[40:41]
	s_cbranch_execz .LBB25_324
; %bb.323:                              ;   in Loop: Header=BB25_16 Depth=1
	ds_write_b16 v115, v108 offset:17408
	ds_write_b16 v116, v108 offset:17408
	s_mov_b32 s42, 0
                                        ; implicit-def: $vgpr71
                                        ; implicit-def: $vgpr1
                                        ; implicit-def: $vgpr18
                                        ; implicit-def: $vgpr73
                                        ; implicit-def: $vgpr77
                                        ; implicit-def: $vgpr232
.LBB25_324:                             ;   in Loop: Header=BB25_16 Depth=1
	s_or_saveexec_b64 s[40:41], s[40:41]
	v_mov_b32_e32 v19, s42
	v_mov_b32_e32 v20, s42
	s_xor_b64 exec, exec, s[40:41]
	s_cbranch_execz .LBB25_326
; %bb.325:                              ;   in Loop: Header=BB25_16 Depth=1
	v_readlane_b32 s44, v254, 10
	v_mul_hi_u32 v19, s44, v71
	v_readlane_b32 s45, v254, 11
	v_add_u32_e32 v19, v71, v19
	v_lshrrev_b32_e32 v19, s45, v19
	v_mul_lo_u32 v19, v19, s84
	v_sub_u32_e32 v19, v71, v19
	v_mad_i64_i32 v[20:21], s[42:43], v19, s90, 0
	v_lshlrev_b64 v[20:21], 1, v[20:21]
	v_add_co_u32_e32 v20, vcc, v1, v20
	v_addc_co_u32_e32 v21, vcc, v18, v21, vcc
	flat_load_ushort v19, v[20:21]
	v_mul_hi_u32 v20, s44, v73
	v_add_u32_e32 v20, v73, v20
	v_lshrrev_b32_e32 v20, s45, v20
	v_mul_lo_u32 v20, v20, s84
	v_sub_u32_e32 v20, v73, v20
	v_mad_i64_i32 v[20:21], s[42:43], v20, s90, 0
	v_lshlrev_b64 v[20:21], 1, v[20:21]
	v_add_co_u32_e32 v20, vcc, v1, v20
	v_addc_co_u32_e32 v21, vcc, v18, v21, vcc
	flat_load_ushort v20, v[20:21]
	s_waitcnt vmcnt(0) lgkmcnt(0)
	ds_write_b16 v115, v19 offset:17408
	ds_write_b16 v116, v20 offset:17408
	v_mul_hi_u32 v19, s44, v77
	v_add_u32_e32 v19, v77, v19
	v_lshrrev_b32_e32 v19, s45, v19
	v_mul_lo_u32 v19, v19, s84
	v_sub_u32_e32 v19, v77, v19
	v_mad_i64_i32 v[20:21], s[42:43], v19, s90, 0
	v_lshlrev_b64 v[20:21], 1, v[20:21]
	v_add_co_u32_e32 v20, vcc, v1, v20
	v_addc_co_u32_e32 v21, vcc, v18, v21, vcc
	flat_load_ushort v19, v[20:21]
	v_mul_hi_u32 v20, s44, v232
	v_add_u32_e32 v20, v232, v20
	v_lshrrev_b32_e32 v20, s45, v20
	v_mul_lo_u32 v20, v20, s84
	v_sub_u32_e32 v20, v232, v20
	v_mad_i64_i32 v[20:21], s[42:43], v20, s90, 0
	v_lshlrev_b64 v[20:21], 1, v[20:21]
	v_add_co_u32_e32 v20, vcc, v1, v20
	v_addc_co_u32_e32 v21, vcc, v18, v21, vcc
	flat_load_ushort v20, v[20:21]
.LBB25_326:                             ;   in Loop: Header=BB25_16 Depth=1
	s_or_b64 exec, exec, s[40:41]
	s_waitcnt vmcnt(0) lgkmcnt(0)
	ds_write_b16 v117, v19 offset:17408
	ds_write_b16 v118, v20 offset:17408
.LBB25_327:                             ;   in Loop: Header=BB25_16 Depth=1
	s_mul_i32 s40, s94, s87
	s_mul_hi_u32 s41, s94, s86
	s_add_i32 s41, s41, s40
	s_mul_i32 s40, s94, s86
	s_lshl_b64 s[40:41], s[40:41], 2
	s_add_u32 s46, s77, s40
	s_addc_u32 s47, s78, s41
	v_mov_b32_e32 v1, s47
	v_add_co_u32_e32 v18, vcc, s46, v52
	v_addc_co_u32_e32 v19, vcc, v1, v53, vcc
	v_lshlrev_b32_e32 v1, 2, v38
	v_add_co_u32_e32 v18, vcc, v18, v1
	v_addc_co_u32_e32 v19, vcc, 0, v19, vcc
	v_mov_b32_e32 v26, s37
	v_cmp_gt_i32_e64 s[40:41], s64, v119
	v_mov_b32_e32 v27, s36
	buffer_store_dword v108, off, s[0:3], 0
	buffer_store_dword v108, off, s[0:3], 0 offset:4
	buffer_store_dword v108, off, s[0:3], 0 offset:8
	;; [unrolled: 1-line block ×3, first 2 shown]
	v_cndmask_b32_e64 v19, v26, v19, s[40:41]
	v_cndmask_b32_e64 v18, v27, v18, s[40:41]
	flat_load_dwordx4 v[18:21], v[18:19]
	v_mov_b32_e32 v24, s47
	v_add_co_u32_e32 v25, vcc, s46, v54
	v_addc_co_u32_e32 v24, vcc, v24, v55, vcc
	v_add_co_u32_e32 v28, vcc, v25, v1
	v_addc_co_u32_e32 v24, vcc, 0, v24, vcc
	v_cmp_gt_i32_e64 s[42:43], s64, v121
	v_cndmask_b32_e64 v25, v26, v24, s[42:43]
	v_cndmask_b32_e64 v24, v27, v28, s[42:43]
	v_cmp_gt_i32_e64 s[44:45], s64, v123
	v_add_u32_e32 v32, v109, v127
	v_add_u32_e32 v33, 0x2000, v32
	s_waitcnt vmcnt(0) lgkmcnt(0)
	ds_write_b128 v120, v[18:21]
	flat_load_dwordx4 v[18:21], v[24:25]
	v_mov_b32_e32 v24, s47
	v_add_co_u32_e32 v25, vcc, s46, v56
	v_addc_co_u32_e32 v24, vcc, v24, v57, vcc
	v_add_co_u32_e32 v28, vcc, v25, v1
	v_addc_co_u32_e32 v24, vcc, 0, v24, vcc
	v_cndmask_b32_e64 v25, v26, v24, s[44:45]
	v_cndmask_b32_e64 v24, v27, v28, s[44:45]
	s_waitcnt vmcnt(0) lgkmcnt(0)
	ds_write_b128 v122, v[18:21]
	flat_load_dwordx4 v[18:21], v[24:25]
	v_mov_b32_e32 v24, s47
	v_add_co_u32_e32 v25, vcc, s46, v58
	v_addc_co_u32_e32 v24, vcc, v24, v59, vcc
	v_add_co_u32_e32 v28, vcc, v25, v1
	v_addc_co_u32_e32 v24, vcc, 0, v24, vcc
	v_cmp_gt_i32_e64 s[46:47], s64, v125
	v_cndmask_b32_e64 v25, v26, v24, s[46:47]
	v_cndmask_b32_e64 v24, v27, v28, s[46:47]
	s_waitcnt vmcnt(0) lgkmcnt(0)
	ds_write_b128 v124, v[18:21]
	flat_load_dwordx4 v[18:21], v[24:25]
	s_waitcnt vmcnt(0) lgkmcnt(0)
	ds_write_b128 v126, v[18:21]
	s_waitcnt lgkmcnt(0)
	s_barrier
	ds_read2_b64 v[18:21], v32 offset1:4
	ds_read2_b64 v[28:31], v33 offset0:64 offset1:68
	s_waitcnt lgkmcnt(1)
	v_mfma_f32_16x16x16f16 v[24:27], v[18:19], v[14:15], 0
	s_waitcnt lgkmcnt(0)
	v_mfma_f32_16x16x16f16 v[62:65], v[28:29], v[14:15], 0
	v_mfma_f32_16x16x16f16 v[18:21], v[20:21], v[16:17], v[24:27]
	;; [unrolled: 1-line block ×3, first 2 shown]
	s_nop 6
	ds_read2_b64 v[24:27], v32 offset0:8 offset1:12
	ds_read2_b64 v[28:31], v33 offset0:72 offset1:76
	s_waitcnt lgkmcnt(1)
	v_mfma_f32_16x16x16f16 v[18:21], v[24:25], v[10:11], v[18:21]
	s_waitcnt lgkmcnt(0)
	v_mfma_f32_16x16x16f16 v[14:17], v[28:29], v[10:11], v[14:17]
	v_mfma_f32_16x16x16f16 v[18:21], v[26:27], v[12:13], v[18:21]
	ds_read2_b64 v[24:27], v33 offset0:80 offset1:84
	v_mfma_f32_16x16x16f16 v[10:13], v[30:31], v[12:13], v[14:17]
	s_nop 7
	ds_read2_b64 v[14:17], v32 offset0:16 offset1:20
	s_waitcnt lgkmcnt(0)
	v_mfma_f32_16x16x16f16 v[18:21], v[14:15], v[6:7], v[18:21]
	v_mfma_f32_16x16x16f16 v[10:13], v[24:25], v[6:7], v[10:13]
	;; [unrolled: 1-line block ×4, first 2 shown]
	s_nop 7
	ds_read2_b64 v[18:21], v33 offset0:88 offset1:92
	ds_read2_b64 v[10:13], v32 offset0:24 offset1:28
	s_waitcnt lgkmcnt(0)
	v_mfma_f32_16x16x16f16 v[14:17], v[10:11], v[2:3], v[14:17]
	s_barrier
	v_mfma_f32_16x16x16f16 v[24:27], v[18:19], v[2:3], v[6:9]
	v_mfma_f32_16x16x16f16 v[6:9], v[12:13], v[4:5], v[14:17]
                                        ; implicit-def: $vgpr13
	v_mfma_f32_16x16x16f16 v[2:5], v[20:21], v[4:5], v[24:27]
	s_nop 7
	s_nop 1
	v_cmp_nlt_f32_e64 s[50:51], |v6|, s69
	s_and_saveexec_b64 s[52:53], s[50:51]
	s_xor_b64 s[50:51], exec, s[52:53]
	s_cbranch_execz .LBB25_329
; %bb.328:                              ;   in Loop: Header=BB25_16 Depth=1
	v_add_f32_e64 v10, |v6|, |v6|
	v_mul_f32_e32 v11, 0x3fb8aa3b, v10
	v_rndne_f32_e32 v12, v11
	v_sub_f32_e32 v13, v11, v12
	v_fma_f32 v11, v10, s85, -v11
	v_fmac_f32_e32 v11, 0x32a5705f, v10
	v_add_f32_e32 v11, v13, v11
	v_cvt_i32_f32_e32 v12, v12
	v_exp_f32_e32 v11, v11
	v_cmp_ngt_f32_e32 vcc, s8, v10
	v_ldexp_f32 v11, v11, v12
	v_cndmask_b32_e32 v11, 0, v11, vcc
	v_cmp_nlt_f32_e32 vcc, s9, v10
	v_cndmask_b32_e32 v10, v228, v11, vcc
	v_add_f32_e32 v10, 1.0, v10
	v_rcp_f32_e32 v10, v10
	v_fma_f32 v13, v10, -2.0, 1.0
.LBB25_329:                             ;   in Loop: Header=BB25_16 Depth=1
	s_andn2_saveexec_b64 s[50:51], s[50:51]
; %bb.330:                              ;   in Loop: Header=BB25_16 Depth=1
	v_mul_f32_e32 v10, v6, v6
	v_mov_b32_e32 v11, 0x3ca908c9
	v_fmac_f32_e32 v11, 0xbbbac73d, v10
	v_fma_f32 v11, v10, v11, v250
	v_fma_f32 v11, v10, v11, v251
	;; [unrolled: 1-line block ×3, first 2 shown]
	v_mul_f32_e64 v11, |v6|, v11
	v_fma_f32 v13, v10, v11, |v6|
; %bb.331:                              ;   in Loop: Header=BB25_16 Depth=1
	s_or_b64 exec, exec, s[50:51]
	v_cmp_nlt_f32_e64 s[50:51], |v7|, s69
                                        ; implicit-def: $vgpr15
	s_and_saveexec_b64 s[52:53], s[50:51]
	s_xor_b64 s[50:51], exec, s[52:53]
	s_cbranch_execz .LBB25_333
; %bb.332:                              ;   in Loop: Header=BB25_16 Depth=1
	v_add_f32_e64 v10, |v7|, |v7|
	v_mul_f32_e32 v11, 0x3fb8aa3b, v10
	v_rndne_f32_e32 v12, v11
	v_sub_f32_e32 v14, v11, v12
	v_fma_f32 v11, v10, s85, -v11
	v_fmac_f32_e32 v11, 0x32a5705f, v10
	v_add_f32_e32 v11, v14, v11
	v_cvt_i32_f32_e32 v12, v12
	v_exp_f32_e32 v11, v11
	v_cmp_ngt_f32_e32 vcc, s8, v10
	v_ldexp_f32 v11, v11, v12
	v_cndmask_b32_e32 v11, 0, v11, vcc
	v_cmp_nlt_f32_e32 vcc, s9, v10
	v_cndmask_b32_e32 v10, v228, v11, vcc
	v_add_f32_e32 v10, 1.0, v10
	v_rcp_f32_e32 v10, v10
	v_fma_f32 v15, v10, -2.0, 1.0
.LBB25_333:                             ;   in Loop: Header=BB25_16 Depth=1
	s_andn2_saveexec_b64 s[50:51], s[50:51]
; %bb.334:                              ;   in Loop: Header=BB25_16 Depth=1
	v_mul_f32_e32 v10, v7, v7
	v_mov_b32_e32 v11, 0x3ca908c9
	v_fmac_f32_e32 v11, 0xbbbac73d, v10
	v_fma_f32 v11, v10, v11, v250
	v_fma_f32 v11, v10, v11, v251
	;; [unrolled: 1-line block ×3, first 2 shown]
	v_mul_f32_e64 v11, |v7|, v11
	v_fma_f32 v15, v10, v11, |v7|
; %bb.335:                              ;   in Loop: Header=BB25_16 Depth=1
	s_or_b64 exec, exec, s[50:51]
	v_cmp_nlt_f32_e64 s[50:51], |v8|, s69
                                        ; implicit-def: $vgpr16
	s_and_saveexec_b64 s[52:53], s[50:51]
	s_xor_b64 s[50:51], exec, s[52:53]
	s_cbranch_execz .LBB25_337
; %bb.336:                              ;   in Loop: Header=BB25_16 Depth=1
	v_add_f32_e64 v10, |v8|, |v8|
	v_mul_f32_e32 v11, 0x3fb8aa3b, v10
	v_rndne_f32_e32 v12, v11
	v_sub_f32_e32 v14, v11, v12
	v_fma_f32 v11, v10, s85, -v11
	v_fmac_f32_e32 v11, 0x32a5705f, v10
	v_add_f32_e32 v11, v14, v11
	v_cvt_i32_f32_e32 v12, v12
	v_exp_f32_e32 v11, v11
	v_cmp_ngt_f32_e32 vcc, s8, v10
	v_ldexp_f32 v11, v11, v12
	v_cndmask_b32_e32 v11, 0, v11, vcc
	v_cmp_nlt_f32_e32 vcc, s9, v10
	v_cndmask_b32_e32 v10, v228, v11, vcc
	v_add_f32_e32 v10, 1.0, v10
	v_rcp_f32_e32 v10, v10
	v_fma_f32 v16, v10, -2.0, 1.0
.LBB25_337:                             ;   in Loop: Header=BB25_16 Depth=1
	s_andn2_saveexec_b64 s[50:51], s[50:51]
; %bb.338:                              ;   in Loop: Header=BB25_16 Depth=1
	v_mul_f32_e32 v10, v8, v8
	v_mov_b32_e32 v11, 0x3ca908c9
	v_fmac_f32_e32 v11, 0xbbbac73d, v10
	v_fma_f32 v11, v10, v11, v250
	v_fma_f32 v11, v10, v11, v251
	v_fma_f32 v11, v10, v11, v252
	v_mul_f32_e64 v11, |v8|, v11
	v_fma_f32 v16, v10, v11, |v8|
; %bb.339:                              ;   in Loop: Header=BB25_16 Depth=1
	s_or_b64 exec, exec, s[50:51]
	v_cmp_nlt_f32_e64 s[50:51], |v9|, s69
                                        ; implicit-def: $vgpr17
	s_and_saveexec_b64 s[52:53], s[50:51]
	s_xor_b64 s[50:51], exec, s[52:53]
	s_cbranch_execz .LBB25_341
; %bb.340:                              ;   in Loop: Header=BB25_16 Depth=1
	v_add_f32_e64 v10, |v9|, |v9|
	v_mul_f32_e32 v11, 0x3fb8aa3b, v10
	v_rndne_f32_e32 v12, v11
	v_sub_f32_e32 v14, v11, v12
	v_fma_f32 v11, v10, s85, -v11
	v_fmac_f32_e32 v11, 0x32a5705f, v10
	v_add_f32_e32 v11, v14, v11
	v_cvt_i32_f32_e32 v12, v12
	v_exp_f32_e32 v11, v11
	v_cmp_ngt_f32_e32 vcc, s8, v10
	v_ldexp_f32 v11, v11, v12
	v_cndmask_b32_e32 v11, 0, v11, vcc
	v_cmp_nlt_f32_e32 vcc, s9, v10
	v_cndmask_b32_e32 v10, v228, v11, vcc
	v_add_f32_e32 v10, 1.0, v10
	v_rcp_f32_e32 v10, v10
	v_fma_f32 v17, v10, -2.0, 1.0
.LBB25_341:                             ;   in Loop: Header=BB25_16 Depth=1
	s_andn2_saveexec_b64 s[50:51], s[50:51]
; %bb.342:                              ;   in Loop: Header=BB25_16 Depth=1
	v_mul_f32_e32 v10, v9, v9
	v_mov_b32_e32 v11, 0x3ca908c9
	v_fmac_f32_e32 v11, 0xbbbac73d, v10
	v_fma_f32 v11, v10, v11, v250
	v_fma_f32 v11, v10, v11, v251
	;; [unrolled: 1-line block ×3, first 2 shown]
	v_mul_f32_e64 v11, |v9|, v11
	v_fma_f32 v17, v10, v11, |v9|
; %bb.343:                              ;   in Loop: Header=BB25_16 Depth=1
	s_or_b64 exec, exec, s[50:51]
	v_cmp_nlt_f32_e64 s[50:51], |v2|, s69
                                        ; implicit-def: $vgpr10
	s_and_saveexec_b64 s[52:53], s[50:51]
	s_xor_b64 s[50:51], exec, s[52:53]
	s_cbranch_execz .LBB25_345
; %bb.344:                              ;   in Loop: Header=BB25_16 Depth=1
	v_add_f32_e64 v10, |v2|, |v2|
	v_mul_f32_e32 v11, 0x3fb8aa3b, v10
	v_rndne_f32_e32 v12, v11
	v_sub_f32_e32 v14, v11, v12
	v_fma_f32 v11, v10, s85, -v11
	v_fmac_f32_e32 v11, 0x32a5705f, v10
	v_add_f32_e32 v11, v14, v11
	v_cvt_i32_f32_e32 v12, v12
	v_exp_f32_e32 v11, v11
	v_cmp_ngt_f32_e32 vcc, s8, v10
	v_ldexp_f32 v11, v11, v12
	v_cndmask_b32_e32 v11, 0, v11, vcc
	v_cmp_nlt_f32_e32 vcc, s9, v10
	v_cndmask_b32_e32 v10, v228, v11, vcc
	v_add_f32_e32 v10, 1.0, v10
	v_rcp_f32_e32 v10, v10
	v_fma_f32 v10, v10, -2.0, 1.0
.LBB25_345:                             ;   in Loop: Header=BB25_16 Depth=1
	s_andn2_saveexec_b64 s[50:51], s[50:51]
; %bb.346:                              ;   in Loop: Header=BB25_16 Depth=1
	v_mul_f32_e32 v10, v2, v2
	v_mov_b32_e32 v11, 0x3ca908c9
	v_fmac_f32_e32 v11, 0xbbbac73d, v10
	v_fma_f32 v11, v10, v11, v250
	v_fma_f32 v11, v10, v11, v251
	;; [unrolled: 1-line block ×3, first 2 shown]
	v_mul_f32_e64 v11, |v2|, v11
	v_fma_f32 v10, v10, v11, |v2|
; %bb.347:                              ;   in Loop: Header=BB25_16 Depth=1
	s_or_b64 exec, exec, s[50:51]
	v_cmp_nlt_f32_e64 s[50:51], |v3|, s69
                                        ; implicit-def: $vgpr11
	s_and_saveexec_b64 s[52:53], s[50:51]
	s_xor_b64 s[50:51], exec, s[52:53]
	s_cbranch_execz .LBB25_349
; %bb.348:                              ;   in Loop: Header=BB25_16 Depth=1
	v_add_f32_e64 v11, |v3|, |v3|
	v_mul_f32_e32 v12, 0x3fb8aa3b, v11
	v_rndne_f32_e32 v14, v12
	v_sub_f32_e32 v18, v12, v14
	v_fma_f32 v12, v11, s85, -v12
	v_fmac_f32_e32 v12, 0x32a5705f, v11
	v_add_f32_e32 v12, v18, v12
	v_cvt_i32_f32_e32 v14, v14
	v_exp_f32_e32 v12, v12
	v_cmp_ngt_f32_e32 vcc, s8, v11
	v_ldexp_f32 v12, v12, v14
	v_cndmask_b32_e32 v12, 0, v12, vcc
	v_cmp_nlt_f32_e32 vcc, s9, v11
	v_cndmask_b32_e32 v11, v228, v12, vcc
	v_add_f32_e32 v11, 1.0, v11
	v_rcp_f32_e32 v11, v11
	v_fma_f32 v11, v11, -2.0, 1.0
.LBB25_349:                             ;   in Loop: Header=BB25_16 Depth=1
	s_andn2_saveexec_b64 s[50:51], s[50:51]
; %bb.350:                              ;   in Loop: Header=BB25_16 Depth=1
	v_mul_f32_e32 v11, v3, v3
	v_mov_b32_e32 v12, 0x3ca908c9
	v_fmac_f32_e32 v12, 0xbbbac73d, v11
	v_fma_f32 v12, v11, v12, v250
	v_fma_f32 v12, v11, v12, v251
	;; [unrolled: 1-line block ×3, first 2 shown]
	v_mul_f32_e64 v12, |v3|, v12
	v_fma_f32 v11, v11, v12, |v3|
; %bb.351:                              ;   in Loop: Header=BB25_16 Depth=1
	s_or_b64 exec, exec, s[50:51]
	v_cmp_nlt_f32_e64 s[50:51], |v4|, s69
                                        ; implicit-def: $vgpr12
	s_and_saveexec_b64 s[52:53], s[50:51]
	s_xor_b64 s[50:51], exec, s[52:53]
	s_cbranch_execz .LBB25_353
; %bb.352:                              ;   in Loop: Header=BB25_16 Depth=1
	v_add_f32_e64 v12, |v4|, |v4|
	v_mul_f32_e32 v14, 0x3fb8aa3b, v12
	v_rndne_f32_e32 v18, v14
	v_sub_f32_e32 v19, v14, v18
	v_fma_f32 v14, v12, s85, -v14
	v_fmac_f32_e32 v14, 0x32a5705f, v12
	v_add_f32_e32 v14, v19, v14
	v_cvt_i32_f32_e32 v18, v18
	v_exp_f32_e32 v14, v14
	v_cmp_ngt_f32_e32 vcc, s8, v12
	v_ldexp_f32 v14, v14, v18
	v_cndmask_b32_e32 v14, 0, v14, vcc
	v_cmp_nlt_f32_e32 vcc, s9, v12
	v_cndmask_b32_e32 v12, v228, v14, vcc
	v_add_f32_e32 v12, 1.0, v12
	v_rcp_f32_e32 v12, v12
	v_fma_f32 v12, v12, -2.0, 1.0
.LBB25_353:                             ;   in Loop: Header=BB25_16 Depth=1
	s_andn2_saveexec_b64 s[50:51], s[50:51]
; %bb.354:                              ;   in Loop: Header=BB25_16 Depth=1
	v_mul_f32_e32 v12, v4, v4
	v_mov_b32_e32 v14, 0x3ca908c9
	v_fmac_f32_e32 v14, 0xbbbac73d, v12
	v_fma_f32 v14, v12, v14, v250
	v_fma_f32 v14, v12, v14, v251
	v_fma_f32 v14, v12, v14, v252
	v_mul_f32_e64 v14, |v4|, v14
	v_fma_f32 v12, v12, v14, |v4|
; %bb.355:                              ;   in Loop: Header=BB25_16 Depth=1
	s_or_b64 exec, exec, s[50:51]
	v_cmp_nlt_f32_e64 s[50:51], |v5|, s69
                                        ; implicit-def: $vgpr18
	s_and_saveexec_b64 s[52:53], s[50:51]
	s_xor_b64 s[50:51], exec, s[52:53]
	s_cbranch_execz .LBB25_357
; %bb.356:                              ;   in Loop: Header=BB25_16 Depth=1
	v_add_f32_e64 v14, |v5|, |v5|
	v_mul_f32_e32 v18, 0x3fb8aa3b, v14
	v_rndne_f32_e32 v19, v18
	v_sub_f32_e32 v20, v18, v19
	v_fma_f32 v18, v14, s85, -v18
	v_fmac_f32_e32 v18, 0x32a5705f, v14
	v_add_f32_e32 v18, v20, v18
	v_cvt_i32_f32_e32 v19, v19
	v_exp_f32_e32 v18, v18
	v_cmp_ngt_f32_e32 vcc, s8, v14
	v_ldexp_f32 v18, v18, v19
	v_cndmask_b32_e32 v18, 0, v18, vcc
	v_cmp_nlt_f32_e32 vcc, s9, v14
	v_cndmask_b32_e32 v14, v228, v18, vcc
	v_add_f32_e32 v14, 1.0, v14
	v_rcp_f32_e32 v14, v14
	v_fma_f32 v18, v14, -2.0, 1.0
.LBB25_357:                             ;   in Loop: Header=BB25_16 Depth=1
	s_andn2_saveexec_b64 s[50:51], s[50:51]
; %bb.358:                              ;   in Loop: Header=BB25_16 Depth=1
	v_mul_f32_e32 v14, v5, v5
	v_mov_b32_e32 v18, 0x3ca908c9
	v_fmac_f32_e32 v18, 0xbbbac73d, v14
	v_fma_f32 v18, v14, v18, v250
	v_fma_f32 v18, v14, v18, v251
	;; [unrolled: 1-line block ×3, first 2 shown]
	v_mul_f32_e64 v18, |v5|, v18
	v_fma_f32 v18, v14, v18, |v5|
; %bb.359:                              ;   in Loop: Header=BB25_16 Depth=1
	s_or_b64 exec, exec, s[50:51]
	v_bfi_b32 v2, s68, v10, v2
	v_mul_f32_e32 v10, s97, v2
	v_bfi_b32 v2, s68, v11, v3
	v_mul_f32_e32 v11, s97, v2
	;; [unrolled: 2-line block ×8, first 2 shown]
	s_and_b64 vcc, exec, s[48:49]
	s_cbranch_vccz .LBB25_451
; %bb.360:                              ;   in Loop: Header=BB25_16 Depth=1
	v_add_u32_e32 v2, 0x4400, v129
	ds_read2_b32 v[2:3], v2 offset1:1
	ds_read_b32 v6, v131 offset:17408
	ds_read_b32 v7, v133 offset:17408
	s_waitcnt lgkmcnt(2)
	v_cvt_f32_f16_e32 v4, v2
	v_cvt_f32_f16_sdwa v5, v2 dst_sel:DWORD dst_unused:UNUSED_PAD src0_sel:WORD_1
	v_cvt_f32_f16_e32 v2, v3
	v_cvt_f32_f16_sdwa v3, v3 dst_sel:DWORD dst_unused:UNUSED_PAD src0_sel:WORD_1
	s_waitcnt lgkmcnt(1)
	v_cvt_f32_f16_sdwa v19, v6 dst_sel:DWORD dst_unused:UNUSED_PAD src0_sel:WORD_1
	s_waitcnt lgkmcnt(0)
	v_cvt_f32_f16_sdwa v21, v7 dst_sel:DWORD dst_unused:UNUSED_PAD src0_sel:WORD_1
	v_cvt_f32_f16_e32 v20, v7
	v_cvt_f32_f16_e32 v18, v6
	v_pk_fma_f32 v[8:9], v[60:61], v[2:3], v[16:17] op_sel_hi:[0,1,1]
	v_pk_fma_f32 v[6:7], v[60:61], v[4:5], v[14:15] op_sel_hi:[0,1,1]
	;; [unrolled: 1-line block ×4, first 2 shown]
	s_cbranch_execnz .LBB25_362
.LBB25_361:                             ;   in Loop: Header=BB25_16 Depth=1
	v_pk_mov_b32 v[2:3], v[10:11], v[10:11] op_sel:[0,1]
	v_pk_mov_b32 v[6:7], v[14:15], v[14:15] op_sel:[0,1]
	;; [unrolled: 1-line block ×4, first 2 shown]
.LBB25_362:                             ;   in Loop: Header=BB25_16 Depth=1
	v_add_f32_e32 v10, 0x40051340, v6
	v_max_f32_e32 v11, v22, v22
	v_cmp_gt_u32_e64 s[60:61], s64, v128
	v_max_f32_e32 v10, v11, v10
	v_cndmask_b32_e64 v10, v22, v10, s[60:61]
	v_add_f32_e32 v11, 0x40051340, v7
	v_max_f32_e32 v12, v10, v10
	v_cmp_gt_u32_e64 s[62:63], s64, v181
	v_max_f32_e32 v11, v12, v11
	v_cndmask_b32_e64 v10, v10, v11, s[62:63]
	v_add_f32_e32 v11, 0x40051340, v8
	v_max_f32_e32 v12, v10, v10
	v_cmp_gt_u32_e64 s[56:57], s64, v182
	v_max_f32_e32 v11, v12, v11
	v_cndmask_b32_e64 v10, v10, v11, s[56:57]
	v_add_f32_e32 v11, 0x40051340, v9
	v_max_f32_e32 v12, v10, v10
	v_cmp_gt_u32_e64 s[54:55], s64, v183
	v_max_f32_e32 v11, v12, v11
	v_cndmask_b32_e64 v10, v10, v11, s[54:55]
	v_add_f32_e32 v11, 0x40051340, v2
	v_max_f32_e32 v12, v10, v10
	v_cmp_gt_u32_e64 s[52:53], s64, v130
	v_max_f32_e32 v11, v12, v11
	v_cndmask_b32_e64 v10, v10, v11, s[52:53]
	v_add_f32_e32 v11, 0x40051340, v3
	v_max_f32_e32 v12, v10, v10
	v_cmp_gt_u32_e64 s[50:51], s64, v184
	v_max_f32_e32 v11, v12, v11
	v_cndmask_b32_e64 v10, v10, v11, s[50:51]
	v_add_f32_e32 v11, 0x40051340, v4
	v_max_f32_e32 v12, v10, v10
	v_cmp_gt_u32_e64 s[48:49], s64, v132
	v_max_f32_e32 v11, v12, v11
	v_cndmask_b32_e64 v10, v10, v11, s[48:49]
	v_add_f32_e32 v11, 0x40051340, v5
	v_max_f32_e32 v12, v10, v10
	v_cmp_gt_u32_e32 vcc, s64, v185
	v_max_f32_e32 v11, v12, v11
	v_cndmask_b32_e32 v10, v10, v11, vcc
	v_and_b32_e32 v11, 64, v231
	v_add_u32_e32 v12, 64, v11
	v_xor_b32_e32 v11, 32, v231
	v_cmp_lt_i32_e64 s[64:65], v11, v12
	v_cndmask_b32_e64 v11, v231, v11, s[64:65]
	v_lshlrev_b32_e32 v11, 2, v11
	ds_bpermute_b32 v13, v11, v10
	v_max_f32_e32 v10, v10, v10
	v_cndmask_b32_e64 v8, v8, v8, s[62:63]
	v_cndmask_b32_e64 v9, v9, v9, s[62:63]
	;; [unrolled: 1-line block ×3, first 2 shown]
	s_waitcnt lgkmcnt(0)
	v_max_f32_e32 v13, v13, v13
	v_max_f32_e32 v10, v10, v13
	v_xor_b32_e32 v13, 16, v231
	v_cmp_lt_i32_e64 s[64:65], v13, v12
	v_cndmask_b32_e64 v12, v231, v13, s[64:65]
	v_lshlrev_b32_e32 v21, 2, v12
	ds_bpermute_b32 v12, v21, v10
	v_cndmask_b32_e64 v5, v5, v5, s[52:53]
	v_cndmask_b32_e64 v4, v4, v4, s[52:53]
	buffer_store_dword v108, off, s[0:3], 0
	buffer_store_dword v108, off, s[0:3], 0 offset:4
	buffer_store_dword v108, off, s[0:3], 0 offset:8
	buffer_store_dword v108, off, s[0:3], 0 offset:12
	s_waitcnt lgkmcnt(0)
	v_max_f32_e32 v12, v12, v12
	v_max_f32_e32 v10, v10, v12
	v_sub_f32_e32 v6, v6, v10
	v_mul_f32_e32 v12, 0x3fb8aa3b, v6
	v_fma_f32 v13, v6, s85, -v12
	v_rndne_f32_e32 v14, v12
	v_fmac_f32_e32 v13, 0x32a5705f, v6
	v_sub_f32_e32 v12, v12, v14
	v_add_f32_e32 v12, v12, v13
	v_exp_f32_e32 v12, v12
	v_cvt_i32_f32_e32 v13, v14
	v_cmp_ngt_f32_e64 s[64:65], s8, v6
	v_sub_f32_e32 v2, v2, v10
	v_sub_f32_e32 v3, v3, v10
	v_ldexp_f32 v12, v12, v13
	v_cndmask_b32_e64 v12, 0, v12, s[64:65]
	v_cmp_nlt_f32_e64 s[64:65], s9, v6
	v_cndmask_b32_e64 v6, v228, v12, s[64:65]
	v_cndmask_b32_e64 v28, 0, v6, s[60:61]
	v_sub_f32_e32 v6, v7, v10
	v_mul_f32_e32 v7, 0x3fb8aa3b, v6
	v_fma_f32 v12, v6, s85, -v7
	v_rndne_f32_e32 v13, v7
	v_fmac_f32_e32 v12, 0x32a5705f, v6
	v_sub_f32_e32 v7, v7, v13
	v_add_f32_e32 v7, v7, v12
	v_exp_f32_e32 v7, v7
	v_cvt_i32_f32_e32 v12, v13
	v_cmp_ngt_f32_e64 s[60:61], s8, v6
	v_ldexp_f32 v7, v7, v12
	v_cndmask_b32_e64 v7, 0, v7, s[60:61]
	v_cmp_nlt_f32_e64 s[60:61], s9, v6
	v_cndmask_b32_e64 v6, v228, v7, s[60:61]
	v_mov_b32_e32 v7, s95
	v_add_f32_e32 v12, v6, v28
	v_cndmask_b32_e64 v25, v7, v6, s[62:63]
	v_sub_f32_e32 v6, v8, v10
	v_mul_f32_e32 v8, 0x3fb8aa3b, v6
	v_cndmask_b32_e64 v7, v28, v12, s[62:63]
	v_fma_f32 v12, v6, s85, -v8
	v_rndne_f32_e32 v13, v8
	v_fmac_f32_e32 v12, 0x32a5705f, v6
	v_sub_f32_e32 v8, v8, v13
	v_add_f32_e32 v8, v8, v12
	v_exp_f32_e32 v8, v8
	v_cvt_i32_f32_e32 v12, v13
	v_cmp_ngt_f32_e64 s[60:61], s8, v6
	v_ldexp_f32 v8, v8, v12
	v_cndmask_b32_e64 v8, 0, v8, s[60:61]
	v_cmp_nlt_f32_e64 s[60:61], s9, v6
	v_cndmask_b32_e64 v8, v228, v8, s[60:61]
	v_add_f32_e32 v12, v7, v8
	v_mov_b32_e32 v6, s95
	v_cndmask_b32_e64 v27, v6, v8, s[56:57]
	v_cndmask_b32_e64 v6, v7, v12, s[56:57]
	v_sub_f32_e32 v7, v9, v10
	v_mul_f32_e32 v8, 0x3fb8aa3b, v7
	v_fma_f32 v9, v7, s85, -v8
	v_rndne_f32_e32 v12, v8
	v_fmac_f32_e32 v9, 0x32a5705f, v7
	v_sub_f32_e32 v8, v8, v12
	v_add_f32_e32 v8, v8, v9
	v_exp_f32_e32 v8, v8
	v_cvt_i32_f32_e32 v9, v12
	v_cmp_ngt_f32_e64 s[56:57], s8, v7
	v_ldexp_f32 v8, v8, v9
	v_cndmask_b32_e64 v8, 0, v8, s[56:57]
	v_cmp_nlt_f32_e64 s[56:57], s9, v7
	v_cndmask_b32_e64 v8, v228, v8, s[56:57]
	v_mov_b32_e32 v7, s95
	v_add_f32_e32 v9, v6, v8
	v_cndmask_b32_e64 v29, v7, v8, s[54:55]
	v_mul_f32_e32 v7, 0x3fb8aa3b, v2
	v_cndmask_b32_e64 v6, v6, v9, s[54:55]
	v_fma_f32 v8, v2, s85, -v7
	v_rndne_f32_e32 v9, v7
	v_fmac_f32_e32 v8, 0x32a5705f, v2
	v_sub_f32_e32 v7, v7, v9
	v_add_f32_e32 v7, v7, v8
	v_exp_f32_e32 v7, v7
	v_cvt_i32_f32_e32 v8, v9
	v_cmp_ngt_f32_e64 s[54:55], s8, v2
	v_ldexp_f32 v7, v7, v8
	v_cndmask_b32_e64 v7, 0, v7, s[54:55]
	v_cmp_nlt_f32_e64 s[54:55], s9, v2
	v_cndmask_b32_e64 v7, v228, v7, s[54:55]
	v_add_f32_e32 v8, v7, v6
	v_mov_b32_e32 v2, s95
	v_cndmask_b32_e64 v30, v2, v7, s[52:53]
	v_cndmask_b32_e64 v2, v6, v8, s[52:53]
	v_mul_f32_e32 v6, 0x3fb8aa3b, v3
	v_fma_f32 v7, v3, s85, -v6
	v_rndne_f32_e32 v8, v6
	v_fmac_f32_e32 v7, 0x32a5705f, v3
	v_sub_f32_e32 v6, v6, v8
	v_add_f32_e32 v6, v6, v7
	v_exp_f32_e32 v6, v6
	v_cvt_i32_f32_e32 v7, v8
	v_cmp_ngt_f32_e64 s[52:53], s8, v3
	v_ldexp_f32 v6, v6, v7
	v_cndmask_b32_e64 v6, 0, v6, s[52:53]
	v_cmp_nlt_f32_e64 s[52:53], s9, v3
	v_cndmask_b32_e64 v6, v228, v6, s[52:53]
	v_add_f32_e32 v7, v6, v2
	v_mov_b32_e32 v3, s95
	v_cndmask_b32_e64 v31, v3, v6, s[50:51]
	v_cndmask_b32_e64 v3, v2, v7, s[50:51]
	v_sub_f32_e32 v2, v4, v10
	v_mul_f32_e32 v4, 0x3fb8aa3b, v2
	v_fma_f32 v6, v2, s85, -v4
	v_rndne_f32_e32 v7, v4
	v_fmac_f32_e32 v6, 0x32a5705f, v2
	v_sub_f32_e32 v4, v4, v7
	v_add_f32_e32 v4, v4, v6
	v_exp_f32_e32 v4, v4
	v_cvt_i32_f32_e32 v6, v7
	v_cmp_ngt_f32_e64 s[50:51], s8, v2
	v_ldexp_f32 v4, v4, v6
	v_cndmask_b32_e64 v4, 0, v4, s[50:51]
	v_cmp_nlt_f32_e64 s[50:51], s9, v2
	v_cndmask_b32_e64 v4, v228, v4, s[50:51]
	v_add_f32_e32 v6, v4, v3
	v_mov_b32_e32 v2, s95
	v_cndmask_b32_e64 v32, v2, v4, s[48:49]
	v_cndmask_b32_e64 v2, v3, v6, s[48:49]
	v_sub_f32_e32 v3, v5, v10
	v_mul_f32_e32 v4, 0x3fb8aa3b, v3
	v_fma_f32 v5, v3, s85, -v4
	v_rndne_f32_e32 v6, v4
	v_fmac_f32_e32 v5, 0x32a5705f, v3
	v_sub_f32_e32 v4, v4, v6
	v_add_f32_e32 v4, v4, v5
	v_exp_f32_e32 v4, v4
	v_cvt_i32_f32_e32 v5, v6
	v_cmp_ngt_f32_e64 s[48:49], s8, v3
	v_ldexp_f32 v4, v4, v5
	v_cndmask_b32_e64 v4, 0, v4, s[48:49]
	v_cmp_nlt_f32_e64 s[48:49], s9, v3
	v_cndmask_b32_e64 v4, v228, v4, s[48:49]
	v_add_f32_e32 v5, v4, v2
	v_mov_b32_e32 v3, s95
	v_cndmask_b32_e32 v24, v2, v5, vcc
	v_sub_f32_e32 v2, v22, v10
	v_cndmask_b32_e32 v3, v3, v4, vcc
	v_mul_f32_e32 v4, 0x3fb8aa3b, v2
	v_fma_f32 v5, v2, s85, -v4
	v_rndne_f32_e32 v6, v4
	v_fmac_f32_e32 v5, 0x32a5705f, v2
	v_sub_f32_e32 v4, v4, v6
	v_add_f32_e32 v4, v4, v5
	v_exp_f32_e32 v4, v4
	v_cvt_i32_f32_e32 v5, v6
	v_cmp_ngt_f32_e32 vcc, s8, v2
	s_mul_i32 s48, s94, s81
	s_mul_hi_u32 s49, s94, s80
	v_ldexp_f32 v4, v4, v5
	v_cndmask_b32_e32 v4, 0, v4, vcc
	v_cmp_nlt_f32_e32 vcc, s9, v2
	v_cndmask_b32_e32 v4, v228, v4, vcc
	v_cmp_le_f32_e32 vcc, s70, v2
	v_cndmask_b32_e32 v2, 0, v4, vcc
	v_fmac_f32_e32 v24, v23, v2
	v_cvt_f16_f32_e32 v2, v2
	v_cvt_f16_f32_e32 v4, v25
	;; [unrolled: 1-line block ×4, first 2 shown]
	v_pk_mul_f16 v26, v2, v223 op_sel_hi:[0,1]
	v_pk_mul_f16 v6, v2, v222 op_sel_hi:[0,1]
	;; [unrolled: 1-line block ×16, first 2 shown]
	v_cvt_f16_f32_e32 v2, v28
	v_cvt_f16_f32_e32 v3, v3
	s_add_i32 s49, s49, s48
	s_mul_i32 s48, s94, s80
	v_pack_b32_f16 v4, v2, v4
	v_cvt_f16_f32_e32 v2, v27
	s_lshl_b64 s[48:49], s[48:49], 2
	s_add_u32 s48, s75, s48
	s_addc_u32 s49, s76, s49
	v_pack_b32_f16 v5, v2, v5
	v_cvt_f16_f32_e32 v2, v30
	v_mov_b32_e32 v27, s49
	v_mov_b32_e32 v30, s37
	;; [unrolled: 1-line block ×3, first 2 shown]
	v_pack_b32_f16 v2, v2, v25
	v_cvt_f16_f32_e32 v25, v32
	s_cmp_eq_u64 s[30:31], 0
	v_pack_b32_f16 v3, v25, v3
	v_add_co_u32_e32 v25, vcc, s48, v44
	v_addc_co_u32_e32 v27, vcc, v27, v45, vcc
	v_add_co_u32_e32 v25, vcc, v25, v1
	v_addc_co_u32_e32 v27, vcc, 0, v27, vcc
	v_cndmask_b32_e64 v29, v30, v27, s[40:41]
	v_mov_b32_e32 v27, s36
	v_cndmask_b32_e64 v28, v27, v25, s[40:41]
	v_add_co_u32_e32 v25, vcc, s48, v46
	v_addc_co_u32_e32 v31, vcc, v31, v47, vcc
	v_add_co_u32_e32 v25, vcc, v25, v1
	v_addc_co_u32_e32 v31, vcc, 0, v31, vcc
	v_cndmask_b32_e64 v33, v30, v31, s[42:43]
	v_cndmask_b32_e64 v32, v27, v25, s[42:43]
	v_add_co_u32_e32 v25, vcc, s48, v48
	v_mov_b32_e32 v31, s49
	v_addc_co_u32_e32 v31, vcc, v31, v49, vcc
	v_add_co_u32_e32 v25, vcc, v25, v1
	v_addc_co_u32_e32 v31, vcc, 0, v31, vcc
	v_cndmask_b32_e64 v61, v30, v31, s[44:45]
	v_cndmask_b32_e64 v60, v27, v25, s[44:45]
	v_add_co_u32_e32 v25, vcc, s48, v50
	v_mov_b32_e32 v31, s49
	v_addc_co_u32_e32 v31, vcc, v31, v51, vcc
	v_add_co_u32_e32 v1, vcc, v25, v1
	v_addc_co_u32_e32 v25, vcc, 0, v31, vcc
	v_cndmask_b32_e64 v63, v30, v25, s[46:47]
	flat_load_dwordx4 v[28:31], v[28:29]
	v_cndmask_b32_e64 v62, v27, v1, s[46:47]
	v_add_u32_e32 v1, v134, v150
	v_add_u32_e32 v25, v134, v151
	v_readlane_b32 s42, v254, 56
	v_readlane_b32 s43, v254, 57
	s_cselect_b64 s[40:41], -1, 0
	s_xor_b64 s[42:43], s[42:43], -1
	s_or_b64 s[40:41], s[42:43], s[40:41]
	s_waitcnt vmcnt(0) lgkmcnt(0)
	ds_write_b128 v120, v[28:31]
	flat_load_dwordx4 v[28:31], v[32:33]
	s_waitcnt vmcnt(0) lgkmcnt(0)
	ds_write_b128 v122, v[28:31]
	flat_load_dwordx4 v[28:31], v[60:61]
	;; [unrolled: 3-line block ×3, first 2 shown]
	s_waitcnt vmcnt(0) lgkmcnt(0)
	ds_write_b128 v126, v[28:31]
	s_waitcnt lgkmcnt(0)
	s_barrier
	ds_read_u16 v1, v1 offset:272
	ds_read_u16 v27, v153 offset:544
	v_cvt_f32_f16_e32 v28, v26
	v_cvt_f32_f16_sdwa v29, v26 dst_sel:DWORD dst_unused:UNUSED_PAD src0_sel:WORD_1
	v_cvt_f32_f16_e32 v30, v6
	v_cvt_f32_f16_sdwa v31, v6 dst_sel:DWORD dst_unused:UNUSED_PAD src0_sel:WORD_1
	ds_read_u16 v6, v25
	ds_read_u16 v26, v25 offset:32
	s_waitcnt lgkmcnt(1)
	v_perm_b32 v33, v6, v27, s71
	ds_read_u16 v6, v152
	ds_read_u16 v27, v152 offset:32
	s_waitcnt lgkmcnt(1)
	v_perm_b32 v32, v1, v6, s71
	s_nop 1
	v_mfma_f32_16x16x16f16 v[28:31], v[32:33], v[4:5], v[28:31]
	ds_read_u16 v1, v152 offset:8704
	s_nop 7
	s_nop 1
	v_cvt_f16_f32_e32 v6, v28
	v_cvt_f16_f32_e32 v28, v29
	;; [unrolled: 1-line block ×4, first 2 shown]
	v_add_u32_e32 v31, v135, v150
	ds_read_u16 v31, v31 offset:272
	ds_read_u16 v32, v154 offset:544
	;; [unrolled: 1-line block ×3, first 2 shown]
	v_cvt_f32_f16_e32 v61, v28
	v_cvt_f32_f16_e32 v62, v29
	s_waitcnt lgkmcnt(2)
	v_perm_b32 v28, v31, v1, s71
	v_cvt_f32_f16_e32 v60, v6
	s_waitcnt lgkmcnt(0)
	v_perm_b32 v29, v33, v32, s71
	v_cvt_f32_f16_e32 v63, v30
	s_nop 1
	v_mfma_f32_16x16x16f16 v[28:31], v[28:29], v[2:3], v[60:63]
	s_nop 7
	s_nop 2
	v_cvt_f16_f32_e32 v1, v28
	v_cvt_f16_f32_e32 v6, v29
	;; [unrolled: 1-line block ×4, first 2 shown]
	v_cvt_f32_f16_e32 v30, v7
	v_pack_b32_f16 v6, v1, v6
	v_cvt_f32_f16_sdwa v31, v7 dst_sel:DWORD dst_unused:UNUSED_PAD src0_sel:WORD_1
	v_pack_b32_f16 v1, v28, v29
	v_add_u32_e32 v28, v136, v150
	ds_read_u16 v32, v28 offset:272
	ds_read_u16 v33, v155 offset:544
	v_cvt_f32_f16_e32 v28, v8
	v_cvt_f32_f16_sdwa v29, v8 dst_sel:DWORD dst_unused:UNUSED_PAD src0_sel:WORD_1
	s_waitcnt lgkmcnt(1)
	v_perm_b32 v32, v32, v27, s71
	s_waitcnt lgkmcnt(0)
	v_perm_b32 v33, v26, v33, s71
	s_nop 1
	v_mfma_f32_16x16x16f16 v[26:29], v[32:33], v[4:5], v[28:31]
	s_nop 6
	ds_read_u16 v30, v156 offset:8704
	s_nop 2
	v_cvt_f16_f32_e32 v7, v26
	v_add_u32_e32 v26, v137, v150
	ds_read_u16 v32, v26 offset:272
	ds_read_u16 v31, v157 offset:544
	v_add_u32_e32 v26, v136, v151
	ds_read_u16 v33, v26 offset:8704
	v_cvt_f16_f32_e32 v8, v27
	v_cvt_f16_f32_e32 v28, v28
	v_cvt_f16_f32_e32 v29, v29
	s_waitcnt lgkmcnt(2)
	v_perm_b32 v30, v32, v30, s71
	s_waitcnt lgkmcnt(0)
	v_perm_b32 v31, v33, v31, s71
	v_cvt_f32_f16_e32 v26, v7
	v_cvt_f32_f16_e32 v27, v8
	v_cvt_f32_f16_e32 v28, v28
	v_cvt_f32_f16_e32 v29, v29
	s_nop 1
	v_mfma_f32_16x16x16f16 v[26:29], v[30:31], v[2:3], v[26:29]
	ds_read_u16 v30, v152 offset:64
	s_nop 7
	s_nop 1
	v_cvt_f16_f32_e32 v7, v26
	v_cvt_f16_f32_e32 v8, v27
	v_cvt_f16_f32_e32 v26, v28
	v_cvt_f16_f32_e32 v27, v29
	v_cvt_f32_f16_e32 v28, v9
	v_pack_b32_f16 v8, v7, v8
	v_cvt_f32_f16_sdwa v29, v9 dst_sel:DWORD dst_unused:UNUSED_PAD src0_sel:WORD_1
	v_pack_b32_f16 v7, v26, v27
	v_add_u32_e32 v26, v138, v150
	ds_read_u16 v32, v26 offset:272
	ds_read_u16 v31, v158 offset:544
	ds_read_u16 v33, v25 offset:64
	v_cvt_f32_f16_e32 v26, v12
	v_cvt_f32_f16_sdwa v27, v12 dst_sel:DWORD dst_unused:UNUSED_PAD src0_sel:WORD_1
	s_waitcnt lgkmcnt(2)
	v_perm_b32 v30, v32, v30, s71
	s_waitcnt lgkmcnt(0)
	v_perm_b32 v31, v33, v31, s71
	s_nop 1
	v_mfma_f32_16x16x16f16 v[26:29], v[30:31], v[4:5], v[26:29]
	ds_read_u16 v30, v159 offset:8704
	s_nop 7
	s_nop 1
	v_cvt_f16_f32_e32 v9, v26
	v_add_u32_e32 v26, v139, v150
	ds_read_u16 v32, v26 offset:272
	ds_read_u16 v31, v160 offset:544
	v_add_u32_e32 v26, v138, v151
	ds_read_u16 v33, v26 offset:8704
	v_cvt_f16_f32_e32 v12, v27
	v_cvt_f16_f32_e32 v28, v28
	v_cvt_f16_f32_e32 v29, v29
	s_waitcnt lgkmcnt(2)
	v_perm_b32 v30, v32, v30, s71
	s_waitcnt lgkmcnt(0)
	v_perm_b32 v31, v33, v31, s71
	v_cvt_f32_f16_e32 v26, v9
	v_cvt_f32_f16_e32 v27, v12
	v_cvt_f32_f16_e32 v28, v28
	v_cvt_f32_f16_e32 v29, v29
	s_nop 1
	v_mfma_f32_16x16x16f16 v[26:29], v[30:31], v[2:3], v[26:29]
	ds_read_u16 v30, v152 offset:96
	s_nop 7
	s_nop 1
	v_cvt_f16_f32_e32 v9, v26
	v_cvt_f16_f32_e32 v12, v27
	v_cvt_f16_f32_e32 v26, v28
	v_cvt_f16_f32_e32 v27, v29
	v_cvt_f32_f16_e32 v28, v13
	v_pack_b32_f16 v12, v9, v12
	v_cvt_f32_f16_sdwa v29, v13 dst_sel:DWORD dst_unused:UNUSED_PAD src0_sel:WORD_1
	v_pack_b32_f16 v9, v26, v27
	v_add_u32_e32 v26, v140, v150
	ds_read_u16 v32, v26 offset:272
	ds_read_u16 v31, v161 offset:544
	ds_read_u16 v33, v25 offset:96
	v_cvt_f32_f16_e32 v26, v14
	v_cvt_f32_f16_sdwa v27, v14 dst_sel:DWORD dst_unused:UNUSED_PAD src0_sel:WORD_1
	s_waitcnt lgkmcnt(2)
	v_perm_b32 v30, v32, v30, s71
	s_waitcnt lgkmcnt(0)
	v_perm_b32 v31, v33, v31, s71
	s_nop 1
	v_mfma_f32_16x16x16f16 v[26:29], v[30:31], v[4:5], v[26:29]
	ds_read_u16 v30, v162 offset:8704
	s_nop 7
	;; [unrolled: 45-line block ×5, first 2 shown]
	s_nop 1
	v_cvt_f16_f32_e32 v19, v26
	v_add_u32_e32 v26, v147, v150
	ds_read_u16 v32, v26 offset:272
	ds_read_u16 v31, v172 offset:544
	v_add_u32_e32 v26, v146, v151
	ds_read_u16 v33, v26 offset:8704
	v_cvt_f16_f32_e32 v20, v27
	v_cvt_f16_f32_e32 v28, v28
	;; [unrolled: 1-line block ×3, first 2 shown]
	s_waitcnt lgkmcnt(2)
	v_perm_b32 v30, v32, v30, s71
	s_waitcnt lgkmcnt(0)
	v_perm_b32 v31, v33, v31, s71
	v_cvt_f32_f16_e32 v26, v19
	v_cvt_f32_f16_e32 v27, v20
	;; [unrolled: 1-line block ×4, first 2 shown]
	s_nop 1
	v_mfma_f32_16x16x16f16 v[26:29], v[30:31], v[2:3], v[26:29]
	ds_read_u16 v30, v152 offset:224
	s_nop 7
	s_nop 1
	v_cvt_f16_f32_e32 v19, v26
	v_cvt_f16_f32_e32 v20, v27
	;; [unrolled: 1-line block ×4, first 2 shown]
	v_cvt_f32_f16_e32 v28, v22
	v_pack_b32_f16 v20, v19, v20
	v_cvt_f32_f16_sdwa v29, v22 dst_sel:DWORD dst_unused:UNUSED_PAD src0_sel:WORD_1
	v_pack_b32_f16 v19, v26, v27
	v_add_u32_e32 v26, v148, v150
	ds_read_u16 v31, v26 offset:272
	ds_read_u16 v32, v173 offset:544
	;; [unrolled: 1-line block ×3, first 2 shown]
	v_cvt_f32_f16_e32 v26, v23
	v_cvt_f32_f16_sdwa v27, v23 dst_sel:DWORD dst_unused:UNUSED_PAD src0_sel:WORD_1
	s_waitcnt lgkmcnt(2)
	v_perm_b32 v22, v31, v30, s71
	s_waitcnt lgkmcnt(0)
	v_perm_b32 v23, v25, v32, s71
	ds_read_u16 v25, v174 offset:8704
	s_nop 0
	v_mfma_f32_16x16x16f16 v[26:29], v[22:23], v[4:5], v[26:29]
	s_nop 7
	s_nop 2
	v_cvt_f16_f32_e32 v4, v26
	v_add_u32_e32 v26, v149, v150
	ds_read_u16 v30, v26 offset:272
	ds_read_u16 v31, v175 offset:544
	v_add_u32_e32 v26, v148, v151
	ds_read_u16 v32, v26 offset:8704
	v_cvt_f16_f32_e32 v5, v27
	v_cvt_f16_f32_e32 v22, v28
	;; [unrolled: 1-line block ×3, first 2 shown]
	v_cvt_f32_f16_e32 v26, v4
	v_cvt_f32_f16_e32 v27, v5
	s_waitcnt lgkmcnt(0)
	v_perm_b32 v5, v32, v31, s71
	v_perm_b32 v4, v30, v25, s71
	v_cvt_f32_f16_e32 v28, v22
	v_cvt_f32_f16_e32 v29, v23
	s_barrier
	s_nop 0
	v_mfma_f32_16x16x16f16 v[2:5], v[4:5], v[2:3], v[26:29]
	s_nop 7
	s_nop 2
	v_cvt_f16_f32_e32 v2, v2
	v_cvt_f16_f32_e32 v3, v3
	;; [unrolled: 1-line block ×4, first 2 shown]
	v_pack_b32_f16 v2, v2, v3
	v_pack_b32_f16 v3, v4, v5
	ds_bpermute_b32 v4, v11, v24
	s_waitcnt lgkmcnt(0)
	v_add_f32_e32 v4, v24, v4
	ds_bpermute_b32 v5, v21, v4
	s_waitcnt lgkmcnt(0)
	v_add_f32_e32 v11, v4, v5
	s_and_saveexec_b64 s[42:43], s[40:41]
	s_xor_b64 s[40:41], exec, s[42:43]
	s_andn2_saveexec_b64 s[40:41], s[40:41]
	s_cbranch_execz .LBB25_364
; %bb.363:                              ;   in Loop: Header=BB25_16 Depth=1
	global_load_dword v5, v108, s[30:31]
	v_max_f32_e32 v22, v10, v10
	s_waitcnt vmcnt(0)
	v_max_f32_e32 v4, v5, v5
	v_max_f32_e32 v4, v22, v4
	v_sub_f32_e32 v10, v10, v4
	v_mul_f32_e32 v22, 0x3fb8aa3b, v10
	v_fma_f32 v23, v10, s85, -v22
	v_rndne_f32_e32 v24, v22
	v_fmac_f32_e32 v23, 0x32a5705f, v10
	v_sub_f32_e32 v22, v22, v24
	v_add_f32_e32 v22, v22, v23
	v_exp_f32_e32 v22, v22
	v_cvt_i32_f32_e32 v23, v24
	v_cmp_ngt_f32_e32 vcc, s8, v10
	v_sub_f32_e32 v5, v5, v4
	v_ldexp_f32 v22, v22, v23
	v_cndmask_b32_e32 v22, 0, v22, vcc
	v_cmp_nlt_f32_e32 vcc, s9, v10
	v_cndmask_b32_e32 v22, v228, v22, vcc
	v_cmp_le_f32_e32 vcc, s70, v10
	v_cndmask_b32_e32 v10, 0, v22, vcc
	v_cvt_f16_f32_e32 v22, v10
	v_cmp_ngt_f32_e32 vcc, s8, v5
	v_pk_mul_f16 v6, v22, v6 op_sel_hi:[0,1]
	v_pk_mul_f16 v1, v22, v1 op_sel_hi:[0,1]
	;; [unrolled: 1-line block ×16, first 2 shown]
	v_mul_f32_e32 v22, 0x3fb8aa3b, v5
	v_fma_f32 v23, v5, s85, -v22
	v_rndne_f32_e32 v24, v22
	v_fmac_f32_e32 v23, 0x32a5705f, v5
	v_sub_f32_e32 v22, v22, v24
	v_add_f32_e32 v22, v22, v23
	v_exp_f32_e32 v22, v22
	v_cvt_i32_f32_e32 v23, v24
	v_ldexp_f32 v22, v22, v23
	v_cndmask_b32_e32 v22, 0, v22, vcc
	v_cmp_nlt_f32_e32 vcc, s9, v5
	v_cndmask_b32_e32 v5, v228, v22, vcc
	v_fmac_f32_e32 v5, v11, v10
	v_pk_mov_b32 v[10:11], v[4:5], v[4:5] op_sel:[0,1]
.LBB25_364:                             ;   in Loop: Header=BB25_16 Depth=1
	s_or_b64 exec, exec, s[40:41]
	s_mov_b64 s[30:31], exec
	v_readlane_b32 s40, v254, 60
	v_readlane_b32 s41, v254, 61
	s_and_b64 s[40:41], s[30:31], s[40:41]
	s_mov_b64 exec, s[40:41]
	s_cbranch_execz .LBB25_366
; %bb.365:                              ;   in Loop: Header=BB25_16 Depth=1
	v_add_u32_e32 v4, 0, v176
	ds_write2_b32 v4, v10, v11 offset0:64 offset1:65
.LBB25_366:                             ;   in Loop: Header=BB25_16 Depth=1
	s_or_b64 exec, exec, s[30:31]
	s_waitcnt lgkmcnt(0)
	s_barrier
	s_mov_b64 s[30:31], exec
	v_readlane_b32 s40, v254, 58
	v_readlane_b32 s41, v254, 59
	s_and_b64 s[40:41], s[30:31], s[40:41]
	s_xor_b64 s[30:31], s[40:41], s[30:31]
	s_mov_b64 exec, s[40:41]
	s_cbranch_execz .LBB25_368
; %bb.367:                              ;   in Loop: Header=BB25_16 Depth=1
	s_barrier
	s_waitcnt lgkmcnt(0)
                                        ; implicit-def: $vgpr21
.LBB25_368:                             ;   in Loop: Header=BB25_16 Depth=1
	s_andn2_saveexec_b64 s[30:31], s[30:31]
	s_cbranch_execz .LBB25_372
; %bb.369:                              ;   in Loop: Header=BB25_16 Depth=1
	v_add_u32_e32 v10, 0, v177
	ds_read_b64 v[4:5], v10 offset:256
	s_waitcnt lgkmcnt(0)
	s_barrier
	ds_bpermute_b32 v11, v21, v4
	v_max_f32_e32 v22, v4, v4
	s_waitcnt lgkmcnt(0)
	v_max_f32_e32 v11, v11, v11
	v_max_f32_e32 v11, v22, v11
	v_sub_f32_e32 v4, v4, v11
	v_mul_f32_e32 v11, 0x3fb8aa3b, v4
	v_fma_f32 v22, v4, s85, -v11
	v_rndne_f32_e32 v23, v11
	v_fmac_f32_e32 v22, 0x32a5705f, v4
	v_sub_f32_e32 v11, v11, v23
	v_add_f32_e32 v11, v11, v22
	v_cvt_i32_f32_e32 v23, v23
	v_exp_f32_e32 v11, v11
	v_cmp_ngt_f32_e32 vcc, s8, v4
	v_ldexp_f32 v11, v11, v23
	v_cndmask_b32_e32 v11, 0, v11, vcc
	v_cmp_nlt_f32_e32 vcc, s9, v4
	v_cndmask_b32_e32 v4, v228, v11, vcc
	v_mul_f32_e32 v5, v5, v4
	ds_bpermute_b32 v11, v21, v5
	s_mov_b64 s[40:41], exec
	v_readlane_b32 s42, v254, 62
	v_readlane_b32 s43, v254, 63
	s_and_b64 s[42:43], s[40:41], s[42:43]
	s_mov_b64 exec, s[42:43]
	s_cbranch_execz .LBB25_371
; %bb.370:                              ;   in Loop: Header=BB25_16 Depth=1
	s_waitcnt lgkmcnt(0)
	v_add_f32_e32 v5, v5, v11
	ds_write_b64 v10, v[4:5] offset:256
.LBB25_371:                             ;   in Loop: Header=BB25_16 Depth=1
	s_or_b64 exec, exec, s[40:41]
.LBB25_372:                             ;   in Loop: Header=BB25_16 Depth=1
	s_or_b64 exec, exec, s[30:31]
	ds_write2_b32 v178, v6, v1 offset1:1
	ds_write2_b32 v178, v8, v7 offset0:8 offset1:9
	ds_write2_b32 v178, v12, v9 offset0:16 offset1:17
	ds_write2_b32 v178, v14, v13 offset0:24 offset1:25
	ds_write2_b32 v178, v16, v15 offset0:32 offset1:33
	ds_write2_b32 v178, v18, v17 offset0:40 offset1:41
	ds_write2_b32 v178, v20, v19 offset0:48 offset1:49
	ds_write2_b32 v178, v2, v3 offset0:56 offset1:57
	s_waitcnt lgkmcnt(0)
	s_barrier
	s_mov_b64 s[30:31], exec
	v_readlane_b32 s40, v254, 56
	v_readlane_b32 s41, v254, 57
	s_and_b64 s[40:41], s[30:31], s[40:41]
	s_mov_b64 exec, s[40:41]
	s_cbranch_execz .LBB25_14
; %bb.373:                              ;   in Loop: Header=BB25_16 Depth=1
	v_add_u32_e32 v2, s58, v179
	v_cmp_gt_i32_e32 vcc, s84, v2
	v_mov_b32_e32 v1, 0x47
	s_and_saveexec_b64 s[40:41], vcc
	s_cbranch_execz .LBB25_375
; %bb.374:                              ;   in Loop: Header=BB25_16 Depth=1
	v_add_u32_e32 v1, 0, v186
	ds_read2_b32 v[4:5], v1 offset0:64 offset1:65
	ds_read2st64_b32 v[6:7], v187 offset1:17
	ds_read_b32 v8, v1 offset:4608
	v_readlane_b32 s42, v255, 1
	v_mad_u64_u32 v[2:3], s[42:43], s42, v2, v[34:35]
	s_waitcnt lgkmcnt(1)
	v_cvt_f32_f16_sdwa v11, v6 dst_sel:DWORD dst_unused:UNUSED_PAD src0_sel:WORD_1
	v_cvt_f32_f16_e32 v10, v6
	v_cvt_f32_f16_sdwa v13, v7 dst_sel:DWORD dst_unused:UNUSED_PAD src0_sel:WORD_1
	v_cvt_f32_f16_e32 v12, v7
	v_ashrrev_i32_e32 v3, 31, v2
	v_lshlrev_b64 v[2:3], 3, v[2:3]
	v_pk_fma_f32 v[10:11], v[4:5], v[10:11], 0 op_sel_hi:[0,1,0]
	v_add_co_u32_e32 v2, vcc, s67, v2
	v_mov_b32_e32 v1, s91
	s_waitcnt lgkmcnt(0)
	v_pk_fma_f32 v[6:7], v[8:9], v[12:13], v[10:11] op_sel_hi:[0,1,1]
	v_addc_co_u32_e32 v3, vcc, v1, v3, vcc
	v_div_scale_f32 v1, s[42:43], v5, v5, v7
	v_rcp_f32_e32 v4, v1
	v_fma_f32 v8, -v1, v4, 1.0
	v_fmac_f32_e32 v4, v8, v4
	v_div_scale_f32 v8, vcc, v7, v5, v7
	v_mul_f32_e32 v9, v8, v4
	v_fma_f32 v10, -v1, v9, v8
	v_fmac_f32_e32 v9, v10, v4
	v_fma_f32 v1, -v1, v9, v8
	v_div_fmas_f32 v1, v1, v4, v9
	v_div_fixup_f32 v7, v1, v5, v7
	v_div_scale_f32 v1, s[42:43], v5, v5, v6
	v_rcp_f32_e32 v4, v1
	v_fma_f32 v8, -v1, v4, 1.0
	v_fmac_f32_e32 v4, v8, v4
	v_div_scale_f32 v8, vcc, v6, v5, v6
	v_mul_f32_e32 v9, v8, v4
	v_fma_f32 v10, -v1, v9, v8
	v_fmac_f32_e32 v9, v10, v4
	v_fma_f32 v1, -v1, v9, v8
	v_div_fmas_f32 v1, v1, v4, v9
	v_div_fixup_f32 v6, v1, v5, v6
	v_mov_b32_e32 v1, 0
	global_store_dwordx2 v[2:3], v[6:7], off
.LBB25_375:                             ;   in Loop: Header=BB25_16 Depth=1
	s_or_b64 exec, exec, s[40:41]
	s_movk_i32 s40, 0x47
	v_cmp_gt_i32_e32 vcc, s40, v1
	s_mov_b64 s[40:41], -1
	s_and_saveexec_b64 s[42:43], vcc
; %bb.376:                              ;   in Loop: Header=BB25_16 Depth=1
	v_cmp_eq_u32_e32 vcc, 0, v1
	s_orn2_b64 s[40:41], vcc, exec
; %bb.377:                              ;   in Loop: Header=BB25_16 Depth=1
	s_or_b64 exec, exec, s[42:43]
	s_and_b64 exec, exec, s[40:41]
	s_cbranch_execz .LBB25_14
; %bb.378:                              ;   in Loop: Header=BB25_16 Depth=1
	v_add_u32_e32 v2, s58, v188
	v_cmp_gt_i32_e32 vcc, s84, v2
	v_mov_b32_e32 v1, 0x47
	s_and_saveexec_b64 s[40:41], vcc
	s_cbranch_execz .LBB25_380
; %bb.379:                              ;   in Loop: Header=BB25_16 Depth=1
	v_add_u32_e32 v1, 0, v189
	ds_read2_b32 v[4:5], v1 offset0:64 offset1:65
	ds_read2st64_b32 v[6:7], v221 offset1:17
	ds_read_b32 v8, v1 offset:4608
	v_readlane_b32 s42, v255, 1
	v_mad_u64_u32 v[2:3], s[42:43], s42, v2, v[34:35]
	s_waitcnt lgkmcnt(1)
	v_cvt_f32_f16_sdwa v11, v6 dst_sel:DWORD dst_unused:UNUSED_PAD src0_sel:WORD_1
	v_cvt_f32_f16_e32 v10, v6
	v_cvt_f32_f16_sdwa v13, v7 dst_sel:DWORD dst_unused:UNUSED_PAD src0_sel:WORD_1
	v_cvt_f32_f16_e32 v12, v7
	v_ashrrev_i32_e32 v3, 31, v2
	v_lshlrev_b64 v[2:3], 3, v[2:3]
	v_pk_fma_f32 v[10:11], v[4:5], v[10:11], 0 op_sel_hi:[0,1,0]
	v_add_co_u32_e32 v2, vcc, s67, v2
	v_mov_b32_e32 v1, s91
	s_waitcnt lgkmcnt(0)
	v_pk_fma_f32 v[6:7], v[8:9], v[12:13], v[10:11] op_sel_hi:[0,1,1]
	v_addc_co_u32_e32 v3, vcc, v1, v3, vcc
	v_div_scale_f32 v1, s[42:43], v5, v5, v7
	v_rcp_f32_e32 v4, v1
	v_fma_f32 v8, -v1, v4, 1.0
	v_fmac_f32_e32 v4, v8, v4
	v_div_scale_f32 v8, vcc, v7, v5, v7
	v_mul_f32_e32 v9, v8, v4
	v_fma_f32 v10, -v1, v9, v8
	v_fmac_f32_e32 v9, v10, v4
	v_fma_f32 v1, -v1, v9, v8
	v_div_fmas_f32 v1, v1, v4, v9
	v_div_fixup_f32 v7, v1, v5, v7
	v_div_scale_f32 v1, s[42:43], v5, v5, v6
	v_rcp_f32_e32 v4, v1
	v_fma_f32 v8, -v1, v4, 1.0
	v_fmac_f32_e32 v4, v8, v4
	v_div_scale_f32 v8, vcc, v6, v5, v6
	v_mul_f32_e32 v9, v8, v4
	v_fma_f32 v10, -v1, v9, v8
	v_fmac_f32_e32 v9, v10, v4
	v_fma_f32 v1, -v1, v9, v8
	v_div_fmas_f32 v1, v1, v4, v9
	v_div_fixup_f32 v6, v1, v5, v6
	v_mov_b32_e32 v1, 0
	global_store_dwordx2 v[2:3], v[6:7], off
.LBB25_380:                             ;   in Loop: Header=BB25_16 Depth=1
	s_or_b64 exec, exec, s[40:41]
	s_movk_i32 s40, 0x47
	v_cmp_gt_i32_e32 vcc, s40, v1
	s_mov_b64 s[40:41], -1
	s_and_saveexec_b64 s[42:43], vcc
; %bb.381:                              ;   in Loop: Header=BB25_16 Depth=1
	v_cmp_eq_u32_e32 vcc, 0, v1
	s_orn2_b64 s[40:41], vcc, exec
; %bb.382:                              ;   in Loop: Header=BB25_16 Depth=1
	s_or_b64 exec, exec, s[42:43]
	s_and_b64 exec, exec, s[40:41]
	;; [unrolled: 63-line block ×3, first 2 shown]
	s_cbranch_execz .LBB25_14
; %bb.388:                              ;   in Loop: Header=BB25_16 Depth=1
	v_add_u32_e32 v2, s58, v194
	v_cmp_gt_i32_e32 vcc, s84, v2
	v_mov_b32_e32 v1, 0x47
	s_and_saveexec_b64 s[40:41], vcc
	s_cbranch_execz .LBB25_390
; %bb.389:                              ;   in Loop: Header=BB25_16 Depth=1
	buffer_load_dword v1, off, s[0:3], 0 offset:16 ; 4-byte Folded Reload
	buffer_load_dword v3, off, s[0:3], 0 offset:20 ; 4-byte Folded Reload
	v_readlane_b32 s42, v255, 1
	s_waitcnt vmcnt(1)
	v_add_u32_e32 v1, 0, v1
	ds_read2_b32 v[4:5], v1 offset0:64 offset1:65
	s_waitcnt vmcnt(0)
	ds_read2st64_b32 v[6:7], v3 offset1:17
	ds_read_b32 v8, v1 offset:4608
	v_mad_u64_u32 v[2:3], s[42:43], s42, v2, v[34:35]
	v_ashrrev_i32_e32 v3, 31, v2
	s_waitcnt lgkmcnt(1)
	v_cvt_f32_f16_sdwa v11, v6 dst_sel:DWORD dst_unused:UNUSED_PAD src0_sel:WORD_1
	v_cvt_f32_f16_e32 v10, v6
	v_cvt_f32_f16_sdwa v13, v7 dst_sel:DWORD dst_unused:UNUSED_PAD src0_sel:WORD_1
	v_cvt_f32_f16_e32 v12, v7
	v_lshlrev_b64 v[2:3], 3, v[2:3]
	v_pk_fma_f32 v[10:11], v[4:5], v[10:11], 0 op_sel_hi:[0,1,0]
	v_add_co_u32_e32 v2, vcc, s67, v2
	v_mov_b32_e32 v1, s91
	s_waitcnt lgkmcnt(0)
	v_pk_fma_f32 v[6:7], v[8:9], v[12:13], v[10:11] op_sel_hi:[0,1,1]
	v_addc_co_u32_e32 v3, vcc, v1, v3, vcc
	v_div_scale_f32 v1, s[42:43], v5, v5, v7
	v_rcp_f32_e32 v4, v1
	v_fma_f32 v8, -v1, v4, 1.0
	v_fmac_f32_e32 v4, v8, v4
	v_div_scale_f32 v8, vcc, v7, v5, v7
	v_mul_f32_e32 v9, v8, v4
	v_fma_f32 v10, -v1, v9, v8
	v_fmac_f32_e32 v9, v10, v4
	v_fma_f32 v1, -v1, v9, v8
	v_div_fmas_f32 v1, v1, v4, v9
	v_div_fixup_f32 v7, v1, v5, v7
	v_div_scale_f32 v1, s[42:43], v5, v5, v6
	v_rcp_f32_e32 v4, v1
	v_fma_f32 v8, -v1, v4, 1.0
	v_fmac_f32_e32 v4, v8, v4
	v_div_scale_f32 v8, vcc, v6, v5, v6
	v_mul_f32_e32 v9, v8, v4
	v_fma_f32 v10, -v1, v9, v8
	v_fmac_f32_e32 v9, v10, v4
	v_fma_f32 v1, -v1, v9, v8
	v_div_fmas_f32 v1, v1, v4, v9
	v_div_fixup_f32 v6, v1, v5, v6
	v_mov_b32_e32 v1, 0
	global_store_dwordx2 v[2:3], v[6:7], off
.LBB25_390:                             ;   in Loop: Header=BB25_16 Depth=1
	s_or_b64 exec, exec, s[40:41]
	s_movk_i32 s40, 0x47
	v_cmp_gt_i32_e32 vcc, s40, v1
	s_mov_b64 s[40:41], -1
	s_and_saveexec_b64 s[42:43], vcc
; %bb.391:                              ;   in Loop: Header=BB25_16 Depth=1
	v_cmp_eq_u32_e32 vcc, 0, v1
	s_orn2_b64 s[40:41], vcc, exec
; %bb.392:                              ;   in Loop: Header=BB25_16 Depth=1
	s_or_b64 exec, exec, s[42:43]
	s_and_b64 exec, exec, s[40:41]
	s_cbranch_execz .LBB25_14
; %bb.393:                              ;   in Loop: Header=BB25_16 Depth=1
	v_add_u32_e32 v2, s58, v230
	v_cmp_gt_i32_e32 vcc, s84, v2
	v_mov_b32_e32 v1, 0x47
	s_and_saveexec_b64 s[40:41], vcc
	s_cbranch_execz .LBB25_395
; %bb.394:                              ;   in Loop: Header=BB25_16 Depth=1
	buffer_load_dword v1, off, s[0:3], 0 offset:24 ; 4-byte Folded Reload
	buffer_load_dword v3, off, s[0:3], 0 offset:28 ; 4-byte Folded Reload
	v_readlane_b32 s42, v255, 1
	s_waitcnt vmcnt(1)
	v_add_u32_e32 v1, 0, v1
	ds_read2_b32 v[4:5], v1 offset0:64 offset1:65
	s_waitcnt vmcnt(0)
	ds_read2st64_b32 v[6:7], v3 offset1:17
	ds_read_b32 v8, v1 offset:4608
	v_mad_u64_u32 v[2:3], s[42:43], s42, v2, v[34:35]
	v_ashrrev_i32_e32 v3, 31, v2
	s_waitcnt lgkmcnt(1)
	v_cvt_f32_f16_sdwa v11, v6 dst_sel:DWORD dst_unused:UNUSED_PAD src0_sel:WORD_1
	v_cvt_f32_f16_e32 v10, v6
	v_cvt_f32_f16_sdwa v13, v7 dst_sel:DWORD dst_unused:UNUSED_PAD src0_sel:WORD_1
	v_cvt_f32_f16_e32 v12, v7
	v_lshlrev_b64 v[2:3], 3, v[2:3]
	v_pk_fma_f32 v[10:11], v[4:5], v[10:11], 0 op_sel_hi:[0,1,0]
	v_add_co_u32_e32 v2, vcc, s67, v2
	v_mov_b32_e32 v1, s91
	s_waitcnt lgkmcnt(0)
	v_pk_fma_f32 v[6:7], v[8:9], v[12:13], v[10:11] op_sel_hi:[0,1,1]
	v_addc_co_u32_e32 v3, vcc, v1, v3, vcc
	v_div_scale_f32 v1, s[42:43], v5, v5, v7
	v_rcp_f32_e32 v4, v1
	v_fma_f32 v8, -v1, v4, 1.0
	v_fmac_f32_e32 v4, v8, v4
	v_div_scale_f32 v8, vcc, v7, v5, v7
	v_mul_f32_e32 v9, v8, v4
	v_fma_f32 v10, -v1, v9, v8
	v_fmac_f32_e32 v9, v10, v4
	v_fma_f32 v1, -v1, v9, v8
	v_div_fmas_f32 v1, v1, v4, v9
	v_div_fixup_f32 v7, v1, v5, v7
	v_div_scale_f32 v1, s[42:43], v5, v5, v6
	v_rcp_f32_e32 v4, v1
	v_fma_f32 v8, -v1, v4, 1.0
	v_fmac_f32_e32 v4, v8, v4
	v_div_scale_f32 v8, vcc, v6, v5, v6
	v_mul_f32_e32 v9, v8, v4
	v_fma_f32 v10, -v1, v9, v8
	v_fmac_f32_e32 v9, v10, v4
	v_fma_f32 v1, -v1, v9, v8
	v_div_fmas_f32 v1, v1, v4, v9
	v_div_fixup_f32 v6, v1, v5, v6
	v_mov_b32_e32 v1, 0
	global_store_dwordx2 v[2:3], v[6:7], off
.LBB25_395:                             ;   in Loop: Header=BB25_16 Depth=1
	s_or_b64 exec, exec, s[40:41]
	s_movk_i32 s40, 0x47
	v_cmp_gt_i32_e32 vcc, s40, v1
	s_mov_b64 s[40:41], -1
	s_and_saveexec_b64 s[42:43], vcc
; %bb.396:                              ;   in Loop: Header=BB25_16 Depth=1
	v_cmp_eq_u32_e32 vcc, 0, v1
	s_orn2_b64 s[40:41], vcc, exec
; %bb.397:                              ;   in Loop: Header=BB25_16 Depth=1
	s_or_b64 exec, exec, s[42:43]
	s_and_b64 exec, exec, s[40:41]
	s_cbranch_execz .LBB25_14
; %bb.398:                              ;   in Loop: Header=BB25_16 Depth=1
	v_add_u32_e32 v2, s58, v200
	v_cmp_gt_i32_e32 vcc, s84, v2
	v_mov_b32_e32 v1, 0x47
	s_and_saveexec_b64 s[40:41], vcc
	s_cbranch_execz .LBB25_400
; %bb.399:                              ;   in Loop: Header=BB25_16 Depth=1
	buffer_load_dword v1, off, s[0:3], 0 offset:32 ; 4-byte Folded Reload
	buffer_load_dword v3, off, s[0:3], 0 offset:36 ; 4-byte Folded Reload
	v_readlane_b32 s42, v255, 1
	s_waitcnt vmcnt(1)
	v_add_u32_e32 v1, 0, v1
	ds_read2_b32 v[4:5], v1 offset0:64 offset1:65
	s_waitcnt vmcnt(0)
	ds_read2st64_b32 v[6:7], v3 offset1:17
	ds_read_b32 v8, v1 offset:4608
	v_mad_u64_u32 v[2:3], s[42:43], s42, v2, v[34:35]
	v_ashrrev_i32_e32 v3, 31, v2
	s_waitcnt lgkmcnt(1)
	v_cvt_f32_f16_sdwa v11, v6 dst_sel:DWORD dst_unused:UNUSED_PAD src0_sel:WORD_1
	v_cvt_f32_f16_e32 v10, v6
	v_cvt_f32_f16_sdwa v13, v7 dst_sel:DWORD dst_unused:UNUSED_PAD src0_sel:WORD_1
	v_cvt_f32_f16_e32 v12, v7
	v_lshlrev_b64 v[2:3], 3, v[2:3]
	v_pk_fma_f32 v[10:11], v[4:5], v[10:11], 0 op_sel_hi:[0,1,0]
	v_add_co_u32_e32 v2, vcc, s67, v2
	v_mov_b32_e32 v1, s91
	s_waitcnt lgkmcnt(0)
	v_pk_fma_f32 v[6:7], v[8:9], v[12:13], v[10:11] op_sel_hi:[0,1,1]
	v_addc_co_u32_e32 v3, vcc, v1, v3, vcc
	v_div_scale_f32 v1, s[42:43], v5, v5, v7
	v_rcp_f32_e32 v4, v1
	v_fma_f32 v8, -v1, v4, 1.0
	v_fmac_f32_e32 v4, v8, v4
	v_div_scale_f32 v8, vcc, v7, v5, v7
	v_mul_f32_e32 v9, v8, v4
	v_fma_f32 v10, -v1, v9, v8
	v_fmac_f32_e32 v9, v10, v4
	v_fma_f32 v1, -v1, v9, v8
	v_div_fmas_f32 v1, v1, v4, v9
	v_div_fixup_f32 v7, v1, v5, v7
	v_div_scale_f32 v1, s[42:43], v5, v5, v6
	v_rcp_f32_e32 v4, v1
	v_fma_f32 v8, -v1, v4, 1.0
	v_fmac_f32_e32 v4, v8, v4
	v_div_scale_f32 v8, vcc, v6, v5, v6
	v_mul_f32_e32 v9, v8, v4
	v_fma_f32 v10, -v1, v9, v8
	v_fmac_f32_e32 v9, v10, v4
	v_fma_f32 v1, -v1, v9, v8
	v_div_fmas_f32 v1, v1, v4, v9
	v_div_fixup_f32 v6, v1, v5, v6
	v_mov_b32_e32 v1, 0
	global_store_dwordx2 v[2:3], v[6:7], off
.LBB25_400:                             ;   in Loop: Header=BB25_16 Depth=1
	s_or_b64 exec, exec, s[40:41]
	s_movk_i32 s40, 0x47
	v_cmp_gt_i32_e32 vcc, s40, v1
	s_mov_b64 s[40:41], -1
	s_and_saveexec_b64 s[42:43], vcc
; %bb.401:                              ;   in Loop: Header=BB25_16 Depth=1
	v_cmp_eq_u32_e32 vcc, 0, v1
	s_orn2_b64 s[40:41], vcc, exec
; %bb.402:                              ;   in Loop: Header=BB25_16 Depth=1
	s_or_b64 exec, exec, s[42:43]
	s_and_b64 exec, exec, s[40:41]
	s_cbranch_execz .LBB25_14
; %bb.403:                              ;   in Loop: Header=BB25_16 Depth=1
	v_add_u32_e32 v2, s58, v203
	v_cmp_gt_i32_e32 vcc, s84, v2
	v_mov_b32_e32 v1, 0x47
	s_and_saveexec_b64 s[40:41], vcc
	s_cbranch_execz .LBB25_405
; %bb.404:                              ;   in Loop: Header=BB25_16 Depth=1
	buffer_load_dword v1, off, s[0:3], 0 offset:40 ; 4-byte Folded Reload
	buffer_load_dword v3, off, s[0:3], 0 offset:44 ; 4-byte Folded Reload
	v_readlane_b32 s42, v255, 1
	s_waitcnt vmcnt(1)
	v_add_u32_e32 v1, 0, v1
	ds_read2_b32 v[4:5], v1 offset0:64 offset1:65
	s_waitcnt vmcnt(0)
	ds_read2st64_b32 v[6:7], v3 offset1:17
	ds_read_b32 v8, v1 offset:4608
	v_mad_u64_u32 v[2:3], s[42:43], s42, v2, v[34:35]
	v_ashrrev_i32_e32 v3, 31, v2
	s_waitcnt lgkmcnt(1)
	v_cvt_f32_f16_sdwa v11, v6 dst_sel:DWORD dst_unused:UNUSED_PAD src0_sel:WORD_1
	v_cvt_f32_f16_e32 v10, v6
	v_cvt_f32_f16_sdwa v13, v7 dst_sel:DWORD dst_unused:UNUSED_PAD src0_sel:WORD_1
	v_cvt_f32_f16_e32 v12, v7
	v_lshlrev_b64 v[2:3], 3, v[2:3]
	v_pk_fma_f32 v[10:11], v[4:5], v[10:11], 0 op_sel_hi:[0,1,0]
	v_add_co_u32_e32 v2, vcc, s67, v2
	v_mov_b32_e32 v1, s91
	s_waitcnt lgkmcnt(0)
	v_pk_fma_f32 v[6:7], v[8:9], v[12:13], v[10:11] op_sel_hi:[0,1,1]
	v_addc_co_u32_e32 v3, vcc, v1, v3, vcc
	v_div_scale_f32 v1, s[42:43], v5, v5, v7
	v_rcp_f32_e32 v4, v1
	v_fma_f32 v8, -v1, v4, 1.0
	v_fmac_f32_e32 v4, v8, v4
	v_div_scale_f32 v8, vcc, v7, v5, v7
	v_mul_f32_e32 v9, v8, v4
	v_fma_f32 v10, -v1, v9, v8
	v_fmac_f32_e32 v9, v10, v4
	v_fma_f32 v1, -v1, v9, v8
	v_div_fmas_f32 v1, v1, v4, v9
	v_div_fixup_f32 v7, v1, v5, v7
	v_div_scale_f32 v1, s[42:43], v5, v5, v6
	v_rcp_f32_e32 v4, v1
	v_fma_f32 v8, -v1, v4, 1.0
	v_fmac_f32_e32 v4, v8, v4
	v_div_scale_f32 v8, vcc, v6, v5, v6
	v_mul_f32_e32 v9, v8, v4
	v_fma_f32 v10, -v1, v9, v8
	v_fmac_f32_e32 v9, v10, v4
	v_fma_f32 v1, -v1, v9, v8
	v_div_fmas_f32 v1, v1, v4, v9
	v_div_fixup_f32 v6, v1, v5, v6
	v_mov_b32_e32 v1, 0
	global_store_dwordx2 v[2:3], v[6:7], off
.LBB25_405:                             ;   in Loop: Header=BB25_16 Depth=1
	s_or_b64 exec, exec, s[40:41]
	s_movk_i32 s40, 0x47
	v_cmp_gt_i32_e32 vcc, s40, v1
	s_mov_b64 s[40:41], -1
	s_and_saveexec_b64 s[42:43], vcc
; %bb.406:                              ;   in Loop: Header=BB25_16 Depth=1
	v_cmp_eq_u32_e32 vcc, 0, v1
	s_orn2_b64 s[40:41], vcc, exec
; %bb.407:                              ;   in Loop: Header=BB25_16 Depth=1
	s_or_b64 exec, exec, s[42:43]
	s_and_b64 exec, exec, s[40:41]
	s_cbranch_execz .LBB25_14
; %bb.408:                              ;   in Loop: Header=BB25_16 Depth=1
	v_add_u32_e32 v2, s58, v224
	v_cmp_gt_i32_e32 vcc, s84, v2
	v_mov_b32_e32 v1, 0x47
	s_and_saveexec_b64 s[40:41], vcc
	s_cbranch_execz .LBB25_410
; %bb.409:                              ;   in Loop: Header=BB25_16 Depth=1
	buffer_load_dword v1, off, s[0:3], 0 offset:48 ; 4-byte Folded Reload
	buffer_load_dword v3, off, s[0:3], 0 offset:52 ; 4-byte Folded Reload
	v_readlane_b32 s42, v255, 1
	s_waitcnt vmcnt(1)
	v_add_u32_e32 v1, 0, v1
	ds_read2_b32 v[4:5], v1 offset0:64 offset1:65
	s_waitcnt vmcnt(0)
	ds_read2st64_b32 v[6:7], v3 offset1:17
	ds_read_b32 v8, v1 offset:4608
	v_mad_u64_u32 v[2:3], s[42:43], s42, v2, v[34:35]
	v_ashrrev_i32_e32 v3, 31, v2
	s_waitcnt lgkmcnt(1)
	v_cvt_f32_f16_sdwa v11, v6 dst_sel:DWORD dst_unused:UNUSED_PAD src0_sel:WORD_1
	v_cvt_f32_f16_e32 v10, v6
	v_cvt_f32_f16_sdwa v13, v7 dst_sel:DWORD dst_unused:UNUSED_PAD src0_sel:WORD_1
	v_cvt_f32_f16_e32 v12, v7
	v_lshlrev_b64 v[2:3], 3, v[2:3]
	v_pk_fma_f32 v[10:11], v[4:5], v[10:11], 0 op_sel_hi:[0,1,0]
	v_add_co_u32_e32 v2, vcc, s67, v2
	v_mov_b32_e32 v1, s91
	s_waitcnt lgkmcnt(0)
	v_pk_fma_f32 v[6:7], v[8:9], v[12:13], v[10:11] op_sel_hi:[0,1,1]
	v_addc_co_u32_e32 v3, vcc, v1, v3, vcc
	v_div_scale_f32 v1, s[42:43], v5, v5, v7
	v_rcp_f32_e32 v4, v1
	v_fma_f32 v8, -v1, v4, 1.0
	v_fmac_f32_e32 v4, v8, v4
	v_div_scale_f32 v8, vcc, v7, v5, v7
	v_mul_f32_e32 v9, v8, v4
	v_fma_f32 v10, -v1, v9, v8
	v_fmac_f32_e32 v9, v10, v4
	v_fma_f32 v1, -v1, v9, v8
	v_div_fmas_f32 v1, v1, v4, v9
	v_div_fixup_f32 v7, v1, v5, v7
	v_div_scale_f32 v1, s[42:43], v5, v5, v6
	v_rcp_f32_e32 v4, v1
	v_fma_f32 v8, -v1, v4, 1.0
	v_fmac_f32_e32 v4, v8, v4
	v_div_scale_f32 v8, vcc, v6, v5, v6
	v_mul_f32_e32 v9, v8, v4
	v_fma_f32 v10, -v1, v9, v8
	v_fmac_f32_e32 v9, v10, v4
	v_fma_f32 v1, -v1, v9, v8
	v_div_fmas_f32 v1, v1, v4, v9
	v_div_fixup_f32 v6, v1, v5, v6
	v_mov_b32_e32 v1, 0
	global_store_dwordx2 v[2:3], v[6:7], off
.LBB25_410:                             ;   in Loop: Header=BB25_16 Depth=1
	s_or_b64 exec, exec, s[40:41]
	s_movk_i32 s40, 0x47
	v_cmp_gt_i32_e32 vcc, s40, v1
	s_mov_b64 s[40:41], -1
	s_and_saveexec_b64 s[42:43], vcc
; %bb.411:                              ;   in Loop: Header=BB25_16 Depth=1
	v_cmp_eq_u32_e32 vcc, 0, v1
	s_orn2_b64 s[40:41], vcc, exec
; %bb.412:                              ;   in Loop: Header=BB25_16 Depth=1
	s_or_b64 exec, exec, s[42:43]
	s_and_b64 exec, exec, s[40:41]
	s_cbranch_execz .LBB25_14
; %bb.413:                              ;   in Loop: Header=BB25_16 Depth=1
	v_add_u32_e32 v1, 16, v179
	v_add_u32_e32 v2, s58, v1
	v_cmp_gt_i32_e32 vcc, s84, v2
	v_mov_b32_e32 v1, 0x47
	s_and_saveexec_b64 s[40:41], vcc
	s_cbranch_execz .LBB25_415
; %bb.414:                              ;   in Loop: Header=BB25_16 Depth=1
	buffer_load_dword v1, off, s[0:3], 0 offset:56 ; 4-byte Folded Reload
	buffer_load_dword v3, off, s[0:3], 0 offset:60 ; 4-byte Folded Reload
	v_readlane_b32 s42, v255, 1
	s_waitcnt vmcnt(1)
	v_add_u32_e32 v1, 0, v1
	ds_read2_b32 v[4:5], v1 offset0:64 offset1:65
	s_waitcnt vmcnt(0)
	ds_read2st64_b32 v[6:7], v3 offset1:17
	ds_read_b32 v8, v1 offset:4608
	v_mad_u64_u32 v[2:3], s[42:43], s42, v2, v[34:35]
	v_ashrrev_i32_e32 v3, 31, v2
	s_waitcnt lgkmcnt(1)
	v_cvt_f32_f16_sdwa v11, v6 dst_sel:DWORD dst_unused:UNUSED_PAD src0_sel:WORD_1
	v_cvt_f32_f16_e32 v10, v6
	v_cvt_f32_f16_sdwa v13, v7 dst_sel:DWORD dst_unused:UNUSED_PAD src0_sel:WORD_1
	v_cvt_f32_f16_e32 v12, v7
	v_lshlrev_b64 v[2:3], 3, v[2:3]
	v_pk_fma_f32 v[10:11], v[4:5], v[10:11], 0 op_sel_hi:[0,1,0]
	v_add_co_u32_e32 v2, vcc, s67, v2
	v_mov_b32_e32 v1, s91
	s_waitcnt lgkmcnt(0)
	v_pk_fma_f32 v[6:7], v[8:9], v[12:13], v[10:11] op_sel_hi:[0,1,1]
	v_addc_co_u32_e32 v3, vcc, v1, v3, vcc
	v_div_scale_f32 v1, s[42:43], v5, v5, v7
	v_rcp_f32_e32 v4, v1
	v_fma_f32 v8, -v1, v4, 1.0
	v_fmac_f32_e32 v4, v8, v4
	v_div_scale_f32 v8, vcc, v7, v5, v7
	v_mul_f32_e32 v9, v8, v4
	v_fma_f32 v10, -v1, v9, v8
	v_fmac_f32_e32 v9, v10, v4
	v_fma_f32 v1, -v1, v9, v8
	v_div_fmas_f32 v1, v1, v4, v9
	v_div_fixup_f32 v7, v1, v5, v7
	v_div_scale_f32 v1, s[42:43], v5, v5, v6
	v_rcp_f32_e32 v4, v1
	v_fma_f32 v8, -v1, v4, 1.0
	v_fmac_f32_e32 v4, v8, v4
	v_div_scale_f32 v8, vcc, v6, v5, v6
	v_mul_f32_e32 v9, v8, v4
	v_fma_f32 v10, -v1, v9, v8
	v_fmac_f32_e32 v9, v10, v4
	v_fma_f32 v1, -v1, v9, v8
	v_div_fmas_f32 v1, v1, v4, v9
	v_div_fixup_f32 v6, v1, v5, v6
	v_mov_b32_e32 v1, 0
	global_store_dwordx2 v[2:3], v[6:7], off
.LBB25_415:                             ;   in Loop: Header=BB25_16 Depth=1
	s_or_b64 exec, exec, s[40:41]
	s_movk_i32 s40, 0x47
	v_cmp_gt_i32_e32 vcc, s40, v1
	s_mov_b64 s[40:41], -1
	s_and_saveexec_b64 s[42:43], vcc
; %bb.416:                              ;   in Loop: Header=BB25_16 Depth=1
	v_cmp_eq_u32_e32 vcc, 0, v1
	s_orn2_b64 s[40:41], vcc, exec
; %bb.417:                              ;   in Loop: Header=BB25_16 Depth=1
	s_or_b64 exec, exec, s[42:43]
	s_and_b64 exec, exec, s[40:41]
	s_cbranch_execz .LBB25_14
; %bb.418:                              ;   in Loop: Header=BB25_16 Depth=1
	v_add_u32_e32 v2, s58, v212
	v_cmp_gt_i32_e32 vcc, s84, v2
	v_mov_b32_e32 v1, 0x47
	s_and_saveexec_b64 s[40:41], vcc
	s_cbranch_execz .LBB25_420
; %bb.419:                              ;   in Loop: Header=BB25_16 Depth=1
	buffer_load_dword v1, off, s[0:3], 0 offset:64 ; 4-byte Folded Reload
	buffer_load_dword v3, off, s[0:3], 0 offset:68 ; 4-byte Folded Reload
	v_readlane_b32 s42, v255, 1
	s_waitcnt vmcnt(1)
	v_add_u32_e32 v1, 0, v1
	ds_read2_b32 v[4:5], v1 offset0:64 offset1:65
	s_waitcnt vmcnt(0)
	ds_read2st64_b32 v[6:7], v3 offset1:17
	ds_read_b32 v8, v1 offset:4608
	v_mad_u64_u32 v[2:3], s[42:43], s42, v2, v[34:35]
	v_ashrrev_i32_e32 v3, 31, v2
	s_waitcnt lgkmcnt(1)
	v_cvt_f32_f16_sdwa v11, v6 dst_sel:DWORD dst_unused:UNUSED_PAD src0_sel:WORD_1
	v_cvt_f32_f16_e32 v10, v6
	v_cvt_f32_f16_sdwa v13, v7 dst_sel:DWORD dst_unused:UNUSED_PAD src0_sel:WORD_1
	v_cvt_f32_f16_e32 v12, v7
	v_lshlrev_b64 v[2:3], 3, v[2:3]
	v_pk_fma_f32 v[10:11], v[4:5], v[10:11], 0 op_sel_hi:[0,1,0]
	v_add_co_u32_e32 v2, vcc, s67, v2
	v_mov_b32_e32 v1, s91
	s_waitcnt lgkmcnt(0)
	v_pk_fma_f32 v[6:7], v[8:9], v[12:13], v[10:11] op_sel_hi:[0,1,1]
	v_addc_co_u32_e32 v3, vcc, v1, v3, vcc
	v_div_scale_f32 v1, s[42:43], v5, v5, v7
	v_rcp_f32_e32 v4, v1
	v_fma_f32 v8, -v1, v4, 1.0
	v_fmac_f32_e32 v4, v8, v4
	v_div_scale_f32 v8, vcc, v7, v5, v7
	v_mul_f32_e32 v9, v8, v4
	v_fma_f32 v10, -v1, v9, v8
	v_fmac_f32_e32 v9, v10, v4
	v_fma_f32 v1, -v1, v9, v8
	v_div_fmas_f32 v1, v1, v4, v9
	v_div_fixup_f32 v7, v1, v5, v7
	v_div_scale_f32 v1, s[42:43], v5, v5, v6
	v_rcp_f32_e32 v4, v1
	v_fma_f32 v8, -v1, v4, 1.0
	v_fmac_f32_e32 v4, v8, v4
	v_div_scale_f32 v8, vcc, v6, v5, v6
	v_mul_f32_e32 v9, v8, v4
	v_fma_f32 v10, -v1, v9, v8
	v_fmac_f32_e32 v9, v10, v4
	v_fma_f32 v1, -v1, v9, v8
	v_div_fmas_f32 v1, v1, v4, v9
	v_div_fixup_f32 v6, v1, v5, v6
	v_mov_b32_e32 v1, 0
	global_store_dwordx2 v[2:3], v[6:7], off
.LBB25_420:                             ;   in Loop: Header=BB25_16 Depth=1
	s_or_b64 exec, exec, s[40:41]
	s_movk_i32 s40, 0x47
	v_cmp_gt_i32_e32 vcc, s40, v1
	s_mov_b64 s[40:41], -1
	s_and_saveexec_b64 s[42:43], vcc
; %bb.421:                              ;   in Loop: Header=BB25_16 Depth=1
	v_cmp_eq_u32_e32 vcc, 0, v1
	s_orn2_b64 s[40:41], vcc, exec
; %bb.422:                              ;   in Loop: Header=BB25_16 Depth=1
	s_or_b64 exec, exec, s[42:43]
	s_and_b64 exec, exec, s[40:41]
	s_cbranch_execz .LBB25_14
; %bb.423:                              ;   in Loop: Header=BB25_16 Depth=1
	v_add_u32_e32 v2, s58, v215
	v_cmp_gt_i32_e32 vcc, s84, v2
	v_mov_b32_e32 v1, 0x47
	s_and_saveexec_b64 s[40:41], vcc
	s_cbranch_execz .LBB25_425
; %bb.424:                              ;   in Loop: Header=BB25_16 Depth=1
	buffer_load_dword v1, off, s[0:3], 0 offset:72 ; 4-byte Folded Reload
	buffer_load_dword v3, off, s[0:3], 0 offset:76 ; 4-byte Folded Reload
	v_readlane_b32 s42, v255, 1
	s_waitcnt vmcnt(1)
	v_add_u32_e32 v1, 0, v1
	ds_read2_b32 v[4:5], v1 offset0:64 offset1:65
	s_waitcnt vmcnt(0)
	ds_read2st64_b32 v[6:7], v3 offset1:17
	ds_read_b32 v8, v1 offset:4608
	v_mad_u64_u32 v[2:3], s[42:43], s42, v2, v[34:35]
	v_ashrrev_i32_e32 v3, 31, v2
	s_waitcnt lgkmcnt(1)
	v_cvt_f32_f16_sdwa v11, v6 dst_sel:DWORD dst_unused:UNUSED_PAD src0_sel:WORD_1
	v_cvt_f32_f16_e32 v10, v6
	v_cvt_f32_f16_sdwa v13, v7 dst_sel:DWORD dst_unused:UNUSED_PAD src0_sel:WORD_1
	v_cvt_f32_f16_e32 v12, v7
	v_lshlrev_b64 v[2:3], 3, v[2:3]
	v_pk_fma_f32 v[10:11], v[4:5], v[10:11], 0 op_sel_hi:[0,1,0]
	v_add_co_u32_e32 v2, vcc, s67, v2
	v_mov_b32_e32 v1, s91
	s_waitcnt lgkmcnt(0)
	v_pk_fma_f32 v[6:7], v[8:9], v[12:13], v[10:11] op_sel_hi:[0,1,1]
	v_addc_co_u32_e32 v3, vcc, v1, v3, vcc
	v_div_scale_f32 v1, s[42:43], v5, v5, v7
	v_rcp_f32_e32 v4, v1
	v_fma_f32 v8, -v1, v4, 1.0
	v_fmac_f32_e32 v4, v8, v4
	v_div_scale_f32 v8, vcc, v7, v5, v7
	v_mul_f32_e32 v9, v8, v4
	v_fma_f32 v10, -v1, v9, v8
	v_fmac_f32_e32 v9, v10, v4
	v_fma_f32 v1, -v1, v9, v8
	v_div_fmas_f32 v1, v1, v4, v9
	v_div_fixup_f32 v7, v1, v5, v7
	v_div_scale_f32 v1, s[42:43], v5, v5, v6
	v_rcp_f32_e32 v4, v1
	v_fma_f32 v8, -v1, v4, 1.0
	v_fmac_f32_e32 v4, v8, v4
	v_div_scale_f32 v8, vcc, v6, v5, v6
	v_mul_f32_e32 v9, v8, v4
	v_fma_f32 v10, -v1, v9, v8
	v_fmac_f32_e32 v9, v10, v4
	v_fma_f32 v1, -v1, v9, v8
	v_div_fmas_f32 v1, v1, v4, v9
	v_div_fixup_f32 v6, v1, v5, v6
	v_mov_b32_e32 v1, 0
	global_store_dwordx2 v[2:3], v[6:7], off
.LBB25_425:                             ;   in Loop: Header=BB25_16 Depth=1
	s_or_b64 exec, exec, s[40:41]
	s_movk_i32 s40, 0x47
	v_cmp_gt_i32_e32 vcc, s40, v1
	s_mov_b64 s[40:41], -1
	s_and_saveexec_b64 s[42:43], vcc
; %bb.426:                              ;   in Loop: Header=BB25_16 Depth=1
	v_cmp_eq_u32_e32 vcc, 0, v1
	s_orn2_b64 s[40:41], vcc, exec
; %bb.427:                              ;   in Loop: Header=BB25_16 Depth=1
	s_or_b64 exec, exec, s[42:43]
	s_and_b64 exec, exec, s[40:41]
	s_cbranch_execz .LBB25_14
; %bb.428:                              ;   in Loop: Header=BB25_16 Depth=1
	v_add_u32_e32 v1, 22, v179
	v_add_u32_e32 v2, s58, v1
	v_cmp_gt_i32_e32 vcc, s84, v2
	v_mov_b32_e32 v1, 0x47
	s_and_saveexec_b64 s[40:41], vcc
	s_cbranch_execz .LBB25_430
; %bb.429:                              ;   in Loop: Header=BB25_16 Depth=1
	buffer_load_dword v1, off, s[0:3], 0 offset:80 ; 4-byte Folded Reload
	buffer_load_dword v3, off, s[0:3], 0 offset:84 ; 4-byte Folded Reload
	v_readlane_b32 s42, v255, 1
	s_waitcnt vmcnt(1)
	v_add_u32_e32 v1, 0, v1
	ds_read2_b32 v[4:5], v1 offset0:64 offset1:65
	s_waitcnt vmcnt(0)
	ds_read2st64_b32 v[6:7], v3 offset1:17
	ds_read_b32 v8, v1 offset:4608
	v_mad_u64_u32 v[2:3], s[42:43], s42, v2, v[34:35]
	v_ashrrev_i32_e32 v3, 31, v2
	s_waitcnt lgkmcnt(1)
	v_cvt_f32_f16_sdwa v11, v6 dst_sel:DWORD dst_unused:UNUSED_PAD src0_sel:WORD_1
	v_cvt_f32_f16_e32 v10, v6
	v_cvt_f32_f16_sdwa v13, v7 dst_sel:DWORD dst_unused:UNUSED_PAD src0_sel:WORD_1
	v_cvt_f32_f16_e32 v12, v7
	v_lshlrev_b64 v[2:3], 3, v[2:3]
	v_pk_fma_f32 v[10:11], v[4:5], v[10:11], 0 op_sel_hi:[0,1,0]
	v_add_co_u32_e32 v2, vcc, s67, v2
	v_mov_b32_e32 v1, s91
	s_waitcnt lgkmcnt(0)
	v_pk_fma_f32 v[6:7], v[8:9], v[12:13], v[10:11] op_sel_hi:[0,1,1]
	v_addc_co_u32_e32 v3, vcc, v1, v3, vcc
	v_div_scale_f32 v1, s[42:43], v5, v5, v7
	v_rcp_f32_e32 v4, v1
	v_fma_f32 v8, -v1, v4, 1.0
	v_fmac_f32_e32 v4, v8, v4
	v_div_scale_f32 v8, vcc, v7, v5, v7
	v_mul_f32_e32 v9, v8, v4
	v_fma_f32 v10, -v1, v9, v8
	v_fmac_f32_e32 v9, v10, v4
	v_fma_f32 v1, -v1, v9, v8
	v_div_fmas_f32 v1, v1, v4, v9
	v_div_fixup_f32 v7, v1, v5, v7
	v_div_scale_f32 v1, s[42:43], v5, v5, v6
	v_rcp_f32_e32 v4, v1
	v_fma_f32 v8, -v1, v4, 1.0
	v_fmac_f32_e32 v4, v8, v4
	v_div_scale_f32 v8, vcc, v6, v5, v6
	v_mul_f32_e32 v9, v8, v4
	v_fma_f32 v10, -v1, v9, v8
	v_fmac_f32_e32 v9, v10, v4
	v_fma_f32 v1, -v1, v9, v8
	v_div_fmas_f32 v1, v1, v4, v9
	v_div_fixup_f32 v6, v1, v5, v6
	v_mov_b32_e32 v1, 0
	global_store_dwordx2 v[2:3], v[6:7], off
.LBB25_430:                             ;   in Loop: Header=BB25_16 Depth=1
	s_or_b64 exec, exec, s[40:41]
	s_movk_i32 s40, 0x47
	v_cmp_gt_i32_e32 vcc, s40, v1
	s_mov_b64 s[40:41], -1
	s_and_saveexec_b64 s[42:43], vcc
; %bb.431:                              ;   in Loop: Header=BB25_16 Depth=1
	v_cmp_eq_u32_e32 vcc, 0, v1
	s_orn2_b64 s[40:41], vcc, exec
; %bb.432:                              ;   in Loop: Header=BB25_16 Depth=1
	s_or_b64 exec, exec, s[42:43]
	s_and_b64 exec, exec, s[40:41]
	s_cbranch_execz .LBB25_14
; %bb.433:                              ;   in Loop: Header=BB25_16 Depth=1
	v_add_u32_e32 v1, 24, v179
	v_add_u32_e32 v2, s58, v1
	v_cmp_gt_i32_e32 vcc, s84, v2
	v_mov_b32_e32 v1, 0x47
	s_and_saveexec_b64 s[40:41], vcc
	s_cbranch_execz .LBB25_435
; %bb.434:                              ;   in Loop: Header=BB25_16 Depth=1
	buffer_load_dword v1, off, s[0:3], 0 offset:88 ; 4-byte Folded Reload
	buffer_load_dword v3, off, s[0:3], 0 offset:92 ; 4-byte Folded Reload
	v_readlane_b32 s42, v255, 1
	s_waitcnt vmcnt(1)
	v_add_u32_e32 v1, 0, v1
	ds_read2_b32 v[4:5], v1 offset0:64 offset1:65
	s_waitcnt vmcnt(0)
	ds_read2st64_b32 v[6:7], v3 offset1:17
	ds_read_b32 v8, v1 offset:4608
	v_mad_u64_u32 v[2:3], s[42:43], s42, v2, v[34:35]
	v_ashrrev_i32_e32 v3, 31, v2
	s_waitcnt lgkmcnt(1)
	v_cvt_f32_f16_sdwa v11, v6 dst_sel:DWORD dst_unused:UNUSED_PAD src0_sel:WORD_1
	v_cvt_f32_f16_e32 v10, v6
	v_cvt_f32_f16_sdwa v13, v7 dst_sel:DWORD dst_unused:UNUSED_PAD src0_sel:WORD_1
	v_cvt_f32_f16_e32 v12, v7
	v_lshlrev_b64 v[2:3], 3, v[2:3]
	v_pk_fma_f32 v[10:11], v[4:5], v[10:11], 0 op_sel_hi:[0,1,0]
	v_add_co_u32_e32 v2, vcc, s67, v2
	v_mov_b32_e32 v1, s91
	s_waitcnt lgkmcnt(0)
	v_pk_fma_f32 v[6:7], v[8:9], v[12:13], v[10:11] op_sel_hi:[0,1,1]
	v_addc_co_u32_e32 v3, vcc, v1, v3, vcc
	v_div_scale_f32 v1, s[42:43], v5, v5, v7
	v_rcp_f32_e32 v4, v1
	v_fma_f32 v8, -v1, v4, 1.0
	v_fmac_f32_e32 v4, v8, v4
	v_div_scale_f32 v8, vcc, v7, v5, v7
	v_mul_f32_e32 v9, v8, v4
	v_fma_f32 v10, -v1, v9, v8
	v_fmac_f32_e32 v9, v10, v4
	v_fma_f32 v1, -v1, v9, v8
	v_div_fmas_f32 v1, v1, v4, v9
	v_div_fixup_f32 v7, v1, v5, v7
	v_div_scale_f32 v1, s[42:43], v5, v5, v6
	v_rcp_f32_e32 v4, v1
	v_fma_f32 v8, -v1, v4, 1.0
	v_fmac_f32_e32 v4, v8, v4
	v_div_scale_f32 v8, vcc, v6, v5, v6
	v_mul_f32_e32 v9, v8, v4
	v_fma_f32 v10, -v1, v9, v8
	v_fmac_f32_e32 v9, v10, v4
	v_fma_f32 v1, -v1, v9, v8
	v_div_fmas_f32 v1, v1, v4, v9
	v_div_fixup_f32 v6, v1, v5, v6
	v_mov_b32_e32 v1, 0
	global_store_dwordx2 v[2:3], v[6:7], off
.LBB25_435:                             ;   in Loop: Header=BB25_16 Depth=1
	s_or_b64 exec, exec, s[40:41]
	s_movk_i32 s40, 0x47
	v_cmp_gt_i32_e32 vcc, s40, v1
	s_mov_b64 s[40:41], -1
	s_and_saveexec_b64 s[42:43], vcc
; %bb.436:                              ;   in Loop: Header=BB25_16 Depth=1
	v_cmp_eq_u32_e32 vcc, 0, v1
	s_orn2_b64 s[40:41], vcc, exec
; %bb.437:                              ;   in Loop: Header=BB25_16 Depth=1
	s_or_b64 exec, exec, s[42:43]
	s_and_b64 exec, exec, s[40:41]
	s_cbranch_execz .LBB25_14
; %bb.438:                              ;   in Loop: Header=BB25_16 Depth=1
	v_add_u32_e32 v1, 26, v179
	v_add_u32_e32 v2, s58, v1
	v_cmp_gt_i32_e32 vcc, s84, v2
	v_mov_b32_e32 v1, 0x47
	s_and_saveexec_b64 s[40:41], vcc
	s_cbranch_execz .LBB25_440
; %bb.439:                              ;   in Loop: Header=BB25_16 Depth=1
	buffer_load_dword v1, off, s[0:3], 0 offset:96 ; 4-byte Folded Reload
	buffer_load_dword v3, off, s[0:3], 0 offset:100 ; 4-byte Folded Reload
	v_readlane_b32 s42, v255, 1
	s_waitcnt vmcnt(1)
	v_add_u32_e32 v1, 0, v1
	ds_read2_b32 v[4:5], v1 offset0:64 offset1:65
	s_waitcnt vmcnt(0)
	ds_read2st64_b32 v[6:7], v3 offset1:17
	ds_read_b32 v8, v1 offset:4608
	v_mad_u64_u32 v[2:3], s[42:43], s42, v2, v[34:35]
	v_ashrrev_i32_e32 v3, 31, v2
	s_waitcnt lgkmcnt(1)
	v_cvt_f32_f16_sdwa v11, v6 dst_sel:DWORD dst_unused:UNUSED_PAD src0_sel:WORD_1
	v_cvt_f32_f16_e32 v10, v6
	v_cvt_f32_f16_sdwa v13, v7 dst_sel:DWORD dst_unused:UNUSED_PAD src0_sel:WORD_1
	v_cvt_f32_f16_e32 v12, v7
	v_lshlrev_b64 v[2:3], 3, v[2:3]
	v_pk_fma_f32 v[10:11], v[4:5], v[10:11], 0 op_sel_hi:[0,1,0]
	v_add_co_u32_e32 v2, vcc, s67, v2
	v_mov_b32_e32 v1, s91
	s_waitcnt lgkmcnt(0)
	v_pk_fma_f32 v[6:7], v[8:9], v[12:13], v[10:11] op_sel_hi:[0,1,1]
	v_addc_co_u32_e32 v3, vcc, v1, v3, vcc
	v_div_scale_f32 v1, s[42:43], v5, v5, v7
	v_rcp_f32_e32 v4, v1
	v_fma_f32 v8, -v1, v4, 1.0
	v_fmac_f32_e32 v4, v8, v4
	v_div_scale_f32 v8, vcc, v7, v5, v7
	v_mul_f32_e32 v9, v8, v4
	v_fma_f32 v10, -v1, v9, v8
	v_fmac_f32_e32 v9, v10, v4
	v_fma_f32 v1, -v1, v9, v8
	v_div_fmas_f32 v1, v1, v4, v9
	v_div_fixup_f32 v7, v1, v5, v7
	v_div_scale_f32 v1, s[42:43], v5, v5, v6
	v_rcp_f32_e32 v4, v1
	v_fma_f32 v8, -v1, v4, 1.0
	v_fmac_f32_e32 v4, v8, v4
	v_div_scale_f32 v8, vcc, v6, v5, v6
	v_mul_f32_e32 v9, v8, v4
	v_fma_f32 v10, -v1, v9, v8
	v_fmac_f32_e32 v9, v10, v4
	v_fma_f32 v1, -v1, v9, v8
	v_div_fmas_f32 v1, v1, v4, v9
	v_div_fixup_f32 v6, v1, v5, v6
	v_mov_b32_e32 v1, 0
	global_store_dwordx2 v[2:3], v[6:7], off
.LBB25_440:                             ;   in Loop: Header=BB25_16 Depth=1
	s_or_b64 exec, exec, s[40:41]
	s_movk_i32 s40, 0x47
	v_cmp_gt_i32_e32 vcc, s40, v1
	s_mov_b64 s[40:41], -1
	s_and_saveexec_b64 s[42:43], vcc
; %bb.441:                              ;   in Loop: Header=BB25_16 Depth=1
	v_cmp_eq_u32_e32 vcc, 0, v1
	s_orn2_b64 s[40:41], vcc, exec
; %bb.442:                              ;   in Loop: Header=BB25_16 Depth=1
	s_or_b64 exec, exec, s[42:43]
	s_and_b64 exec, exec, s[40:41]
	s_cbranch_execz .LBB25_14
; %bb.443:                              ;   in Loop: Header=BB25_16 Depth=1
	v_add_u32_e32 v1, 28, v179
	v_add_u32_e32 v2, s58, v1
	v_cmp_gt_i32_e32 vcc, s84, v2
	v_mov_b32_e32 v1, 0x47
	s_and_saveexec_b64 s[40:41], vcc
	s_cbranch_execz .LBB25_445
; %bb.444:                              ;   in Loop: Header=BB25_16 Depth=1
	buffer_load_dword v1, off, s[0:3], 0 offset:104 ; 4-byte Folded Reload
	buffer_load_dword v3, off, s[0:3], 0 offset:108 ; 4-byte Folded Reload
	v_readlane_b32 s42, v255, 1
	s_waitcnt vmcnt(1)
	v_add_u32_e32 v1, 0, v1
	ds_read2_b32 v[4:5], v1 offset0:64 offset1:65
	s_waitcnt vmcnt(0)
	ds_read2st64_b32 v[6:7], v3 offset1:17
	ds_read_b32 v8, v1 offset:4608
	v_mad_u64_u32 v[2:3], s[42:43], s42, v2, v[34:35]
	v_ashrrev_i32_e32 v3, 31, v2
	s_waitcnt lgkmcnt(1)
	v_cvt_f32_f16_sdwa v11, v6 dst_sel:DWORD dst_unused:UNUSED_PAD src0_sel:WORD_1
	v_cvt_f32_f16_e32 v10, v6
	v_cvt_f32_f16_sdwa v13, v7 dst_sel:DWORD dst_unused:UNUSED_PAD src0_sel:WORD_1
	v_cvt_f32_f16_e32 v12, v7
	v_lshlrev_b64 v[2:3], 3, v[2:3]
	v_pk_fma_f32 v[10:11], v[4:5], v[10:11], 0 op_sel_hi:[0,1,0]
	v_add_co_u32_e32 v2, vcc, s67, v2
	v_mov_b32_e32 v1, s91
	s_waitcnt lgkmcnt(0)
	v_pk_fma_f32 v[6:7], v[8:9], v[12:13], v[10:11] op_sel_hi:[0,1,1]
	v_addc_co_u32_e32 v3, vcc, v1, v3, vcc
	v_div_scale_f32 v1, s[42:43], v5, v5, v7
	v_rcp_f32_e32 v4, v1
	v_fma_f32 v8, -v1, v4, 1.0
	v_fmac_f32_e32 v4, v8, v4
	v_div_scale_f32 v8, vcc, v7, v5, v7
	v_mul_f32_e32 v9, v8, v4
	v_fma_f32 v10, -v1, v9, v8
	v_fmac_f32_e32 v9, v10, v4
	v_fma_f32 v1, -v1, v9, v8
	v_div_fmas_f32 v1, v1, v4, v9
	v_div_fixup_f32 v7, v1, v5, v7
	v_div_scale_f32 v1, s[42:43], v5, v5, v6
	v_rcp_f32_e32 v4, v1
	v_fma_f32 v8, -v1, v4, 1.0
	v_fmac_f32_e32 v4, v8, v4
	v_div_scale_f32 v8, vcc, v6, v5, v6
	v_mul_f32_e32 v9, v8, v4
	v_fma_f32 v10, -v1, v9, v8
	v_fmac_f32_e32 v9, v10, v4
	v_fma_f32 v1, -v1, v9, v8
	v_div_fmas_f32 v1, v1, v4, v9
	v_div_fixup_f32 v6, v1, v5, v6
	v_mov_b32_e32 v1, 0
	global_store_dwordx2 v[2:3], v[6:7], off
.LBB25_445:                             ;   in Loop: Header=BB25_16 Depth=1
	s_or_b64 exec, exec, s[40:41]
	s_movk_i32 s40, 0x47
	v_cmp_gt_i32_e32 vcc, s40, v1
	s_mov_b64 s[40:41], -1
	s_and_saveexec_b64 s[42:43], vcc
; %bb.446:                              ;   in Loop: Header=BB25_16 Depth=1
	v_cmp_eq_u32_e32 vcc, 0, v1
	s_orn2_b64 s[40:41], vcc, exec
; %bb.447:                              ;   in Loop: Header=BB25_16 Depth=1
	s_or_b64 exec, exec, s[42:43]
	s_and_b64 exec, exec, s[40:41]
	s_cbranch_execz .LBB25_14
; %bb.448:                              ;   in Loop: Header=BB25_16 Depth=1
	v_add_u32_e32 v1, 30, v179
	v_add_u32_e32 v1, s58, v1
	v_cmp_gt_i32_e32 vcc, s84, v1
	s_and_b64 exec, exec, vcc
	s_cbranch_execz .LBB25_14
; %bb.449:                              ;   in Loop: Header=BB25_16 Depth=1
	buffer_load_dword v2, off, s[0:3], 0 offset:112 ; 4-byte Folded Reload
	buffer_load_dword v4, off, s[0:3], 0 offset:116 ; 4-byte Folded Reload
	v_readlane_b32 s40, v255, 1
	v_mad_u64_u32 v[8:9], s[40:41], s40, v1, v[34:35]
	v_ashrrev_i32_e32 v9, 31, v8
	v_lshlrev_b64 v[8:9], 3, v[8:9]
	v_add_co_u32_e32 v8, vcc, s67, v8
	v_mov_b32_e32 v1, s91
	v_addc_co_u32_e32 v9, vcc, v1, v9, vcc
	s_waitcnt vmcnt(1)
	v_add_u32_e32 v6, 0, v2
	ds_read2_b32 v[2:3], v6 offset0:64 offset1:65
	s_waitcnt vmcnt(0)
	ds_read2st64_b32 v[4:5], v4 offset1:17
	ds_read_b32 v6, v6 offset:4608
	s_waitcnt lgkmcnt(1)
	v_cvt_f32_f16_sdwa v11, v4 dst_sel:DWORD dst_unused:UNUSED_PAD src0_sel:WORD_1
	v_cvt_f32_f16_e32 v10, v4
	v_cvt_f32_f16_sdwa v13, v5 dst_sel:DWORD dst_unused:UNUSED_PAD src0_sel:WORD_1
	v_cvt_f32_f16_e32 v12, v5
	v_pk_fma_f32 v[10:11], v[2:3], v[10:11], 0 op_sel_hi:[0,1,0]
	s_waitcnt lgkmcnt(0)
	v_pk_fma_f32 v[4:5], v[6:7], v[12:13], v[10:11] op_sel_hi:[0,1,1]
	v_div_scale_f32 v1, s[40:41], v3, v3, v5
	v_rcp_f32_e32 v2, v1
	v_fma_f32 v6, -v1, v2, 1.0
	v_fmac_f32_e32 v2, v6, v2
	v_div_scale_f32 v6, vcc, v5, v3, v5
	v_mul_f32_e32 v7, v6, v2
	v_fma_f32 v10, -v1, v7, v6
	v_fmac_f32_e32 v7, v10, v2
	v_fma_f32 v1, -v1, v7, v6
	v_div_fmas_f32 v1, v1, v2, v7
	v_div_fixup_f32 v5, v1, v3, v5
	v_div_scale_f32 v1, s[40:41], v3, v3, v4
	v_rcp_f32_e32 v2, v1
	v_fma_f32 v6, -v1, v2, 1.0
	v_fmac_f32_e32 v2, v6, v2
	v_div_scale_f32 v6, vcc, v4, v3, v4
	v_mul_f32_e32 v7, v6, v2
	v_fma_f32 v10, -v1, v7, v6
	v_fmac_f32_e32 v7, v10, v2
	v_fma_f32 v1, -v1, v7, v6
	v_div_fmas_f32 v1, v1, v2, v7
	v_div_fixup_f32 v4, v1, v3, v4
	global_store_dwordx2 v[8:9], v[4:5], off
	s_branch .LBB25_14
.LBB25_450:                             ;   in Loop: Header=BB25_16 Depth=1
                                        ; implicit-def: $vgpr6_vgpr7_vgpr8_vgpr9
                                        ; implicit-def: $vgpr2_vgpr3_vgpr4_vgpr5
	s_branch .LBB25_147
.LBB25_451:                             ;   in Loop: Header=BB25_16 Depth=1
                                        ; implicit-def: $vgpr6_vgpr7_vgpr8_vgpr9
                                        ; implicit-def: $vgpr2_vgpr3_vgpr4_vgpr5
	s_branch .LBB25_361
.LBB25_452:
	v_readlane_b32 s36, v254, 48
	v_readlane_b32 s68, v255, 0
	;; [unrolled: 1-line block ×8, first 2 shown]
	s_andn2_b64 vcc, exec, s[30:31]
	s_cbranch_vccnz .LBB25_12
.LBB25_453:
	v_readlane_b32 s10, v254, 7
	s_abs_i32 s4, s10
	v_cvt_f32_u32_e32 v1, s4
	s_sub_i32 s7, 0, s4
	s_abs_i32 s6, s98
	s_xor_b32 s5, s98, s10
	v_rcp_iflag_f32_e32 v1, v1
	s_ashr_i32 s5, s5, 31
	v_readlane_b32 s12, v254, 6
	v_readlane_b32 s13, v254, 3
	v_mul_f32_e32 v1, 0x4f7ffffe, v1
	v_cvt_u32_f32_e32 v1, v1
	v_readlane_b32 s16, v254, 26
	v_readlane_b32 s22, v254, 32
	;; [unrolled: 1-line block ×3, first 2 shown]
	v_readfirstlane_b32 s8, v1
	s_mul_i32 s7, s7, s8
	s_mul_hi_u32 s7, s8, s7
	s_add_i32 s8, s8, s7
	s_mul_hi_u32 s7, s6, s8
	s_mul_i32 s8, s7, s4
	s_sub_i32 s6, s6, s8
	s_add_i32 s9, s7, 1
	s_sub_i32 s8, s6, s4
	s_cmp_ge_u32 s6, s4
	s_cselect_b32 s7, s9, s7
	s_cselect_b32 s6, s8, s6
	s_add_i32 s8, s7, 1
	s_cmp_ge_u32 s6, s4
	s_cselect_b32 s4, s8, s7
	s_abs_i32 s6, s12
	v_cvt_f32_u32_e32 v1, s6
	s_xor_b32 s4, s4, s5
	s_sub_i32 s8, s4, s5
	s_sub_i32 s7, 0, s6
	v_rcp_iflag_f32_e32 v1, v1
	s_mul_i32 s4, s8, s10
	s_sub_i32 s4, s98, s4
	s_abs_i32 s9, s4
	v_mul_f32_e32 v1, 0x4f7ffffe, v1
	v_cvt_u32_f32_e32 v1, v1
	s_xor_b32 s5, s4, s12
	s_ashr_i32 s5, s5, 31
	s_mov_b64 s[34:35], 0
	v_readfirstlane_b32 s10, v1
	s_mul_i32 s7, s7, s10
	s_mul_hi_u32 s7, s10, s7
	s_add_i32 s10, s10, s7
	s_mul_hi_u32 s7, s9, s10
	s_mul_i32 s10, s7, s6
	s_sub_i32 s9, s9, s10
	s_add_i32 s11, s7, 1
	s_sub_i32 s10, s9, s6
	s_cmp_ge_u32 s9, s6
	s_cselect_b32 s7, s11, s7
	s_cselect_b32 s9, s10, s9
	s_add_i32 s10, s7, 1
	s_cmp_ge_u32 s9, s6
	s_cselect_b32 s6, s10, s7
	s_abs_i32 s7, s13
	v_cvt_f32_u32_e32 v1, s7
	s_xor_b32 s6, s6, s5
	s_sub_i32 s10, 0, s7
	s_sub_i32 s9, s6, s5
	v_rcp_iflag_f32_e32 v1, v1
	s_mul_i32 s5, s9, s12
	s_sub_i32 s5, s4, s5
	s_abs_i32 s6, s5
	v_mul_f32_e32 v1, 0x4f7ffffe, v1
	v_cvt_u32_f32_e32 v1, v1
	s_xor_b32 s4, s5, s13
	s_ashr_i32 s4, s4, 31
	v_readlane_b32 s17, v254, 27
	v_readfirstlane_b32 s11, v1
	s_mul_i32 s10, s10, s11
	s_mul_hi_u32 s10, s11, s10
	s_add_i32 s11, s11, s10
	s_mul_hi_u32 s10, s6, s11
	s_mul_i32 s11, s10, s7
	s_sub_i32 s6, s6, s11
	s_add_i32 s12, s10, 1
	s_sub_i32 s11, s6, s7
	s_cmp_ge_u32 s6, s7
	s_cselect_b32 s10, s12, s10
	s_cselect_b32 s6, s11, s6
	s_add_i32 s11, s10, 1
	s_cmp_ge_u32 s6, s7
	s_cselect_b32 s6, s11, s10
	s_xor_b32 s6, s6, s4
	s_sub_i32 s4, s6, s4
	s_mul_i32 s6, s4, s13
	s_sub_i32 s5, s5, s6
	s_abs_i32 s14, s5
	s_ashr_i32 s12, s8, 31
	s_mul_hi_u32 s13, s14, s47
	s_cmp_eq_u64 s[22:23], 0
	v_readlane_b32 s18, v254, 28
	v_readlane_b32 s19, v254, 29
	;; [unrolled: 1-line block ×12, first 2 shown]
	s_cbranch_scc1 .LBB25_455
; %bb.454:
	s_abs_i32 s6, s40
	v_cvt_f32_u32_e32 v1, s6
	s_sub_i32 s10, 0, s6
	s_abs_i32 s7, s8
	v_readlane_b32 s16, v254, 16
	v_rcp_iflag_f32_e32 v1, v1
	v_readlane_b32 s17, v254, 17
	v_mul_f32_e32 v1, 0x4f7ffffe, v1
	v_cvt_u32_f32_e32 v1, v1
	v_readfirstlane_b32 s11, v1
	s_mul_i32 s10, s10, s11
	s_mul_hi_u32 s10, s11, s10
	s_add_i32 s11, s11, s10
	s_mul_hi_u32 s10, s7, s11
	s_mul_i32 s10, s10, s6
	s_sub_i32 s7, s7, s10
	s_sub_i32 s10, s7, s6
	s_cmp_ge_u32 s7, s6
	s_cselect_b32 s7, s10, s7
	s_sub_i32 s10, s7, s6
	s_cmp_ge_u32 s7, s6
	s_cselect_b32 s6, s10, s7
	s_xor_b32 s6, s6, s12
	s_sub_i32 s6, s6, s12
	s_ashr_i32 s7, s6, 31
	s_mul_i32 s10, s6, s17
	s_mul_hi_u32 s11, s6, s16
	s_add_i32 s10, s11, s10
	s_mul_i32 s7, s7, s16
	s_add_i32 s10, s10, s7
	s_mul_i32 s6, s6, s16
	s_add_u32 s34, s22, s6
	s_addc_u32 s35, s23, s10
.LBB25_455:
	s_ashr_i32 s16, s5, 31
	v_readlane_b32 s5, v254, 2
	s_mul_i32 s15, s9, s5
	s_add_i32 s15, s15, s4
	v_cmp_le_f32_e64 s[4:5], s37, 0
	s_and_b64 vcc, exec, s[4:5]
	v_mov_b32_e32 v32, 1.0
	s_cbranch_vccnz .LBB25_457
; %bb.456:
	s_sub_i32 s4, s15, s96
	s_lshl_b32 s4, s4, 1
	s_add_i32 s6, s15, 1
	s_or_b32 s7, s4, 1
	s_cmp_lt_u32 s15, s96
	s_cselect_b64 vcc, -1, 0
	s_and_b64 s[4:5], vcc, exec
	v_mov_b32_e32 v1, s39
	v_mov_b32_e32 v2, s38
	s_cselect_b32 s4, s6, s7
	v_cndmask_b32_e32 v18, v1, v2, vcc
	v_cvt_f32_i32_e32 v1, s4
	v_cmp_neq_f32_e32 vcc, 1.0, v18
	s_mov_b32 s4, 0x3f2aaaab
	s_movk_i32 s6, 0x204
	v_cndmask_b32_e32 v19, 1.0, v1, vcc
	v_cmp_eq_f32_e32 vcc, 0, v19
	v_cndmask_b32_e64 v20, |v18|, 1.0, vcc
	v_frexp_mant_f32_e32 v1, v20
	v_cmp_gt_f32_e64 s[4:5], s4, v1
	v_cndmask_b32_e64 v2, 1.0, 2.0, s[4:5]
	v_mul_f32_e32 v1, v1, v2
	v_add_f32_e32 v2, 1.0, v1
	v_rcp_f32_e32 v10, v2
	v_add_f32_e32 v3, -1.0, v2
	v_sub_f32_e32 v5, v1, v3
	v_add_f32_e32 v3, -1.0, v1
	v_mul_f32_e32 v1, v3, v10
	v_mul_f32_e32 v4, v2, v1
	v_fma_f32 v6, v1, v2, -v4
	v_fmac_f32_e32 v6, v1, v5
	v_add_f32_e32 v2, v4, v6
	v_sub_f32_e32 v5, v3, v2
	v_pk_add_f32 v[8:9], v[2:3], v[4:5] neg_lo:[0,1] neg_hi:[0,1]
	v_mov_b32_e32 v7, v2
	v_pk_add_f32 v[2:3], v[8:9], v[6:7] neg_lo:[0,1] neg_hi:[0,1]
	v_add_f32_e32 v2, v2, v3
	v_add_f32_e32 v2, v5, v2
	v_mul_f32_e32 v3, v10, v2
	v_add_f32_e32 v2, v1, v3
	v_sub_f32_e32 v1, v2, v1
	v_sub_f32_e32 v1, v3, v1
	v_mul_f32_e32 v3, v2, v2
	v_fma_f32 v5, v2, v2, -v3
	v_add_f32_e32 v4, v1, v1
	v_fmac_f32_e32 v5, v2, v4
	v_add_f32_e32 v4, v3, v5
	v_mov_b32_e32 v6, 0x3e91f4c4
	v_fmac_f32_e32 v6, 0x3e76c4e1, v4
	v_mov_b32_e32 v7, 0x3ecccdef
	v_fmac_f32_e32 v7, v4, v6
	v_sub_f32_e32 v3, v4, v3
	v_sub_f32_e32 v12, v5, v3
	v_mul_f32_e32 v3, v4, v7
	v_fma_f32 v5, v4, v7, -v3
	v_fmac_f32_e32 v5, v12, v7
	v_add_f32_e32 v6, v3, v5
	v_add_f32_e32 v7, 0x3f2aaaaa, v6
	v_sub_f32_e32 v3, v6, v3
	v_sub_f32_e32 v3, v5, v3
	v_add_f32_e32 v5, 0xbf2aaaaa, v7
	v_add_f32_e32 v3, 0x31739010, v3
	v_sub_f32_e32 v5, v6, v5
	v_pk_mul_f32 v[8:9], v[2:3], v[4:5]
	v_fma_f32 v6, v4, v2, -v8
	v_pk_add_f32 v[10:11], v[2:3], v[4:5]
	v_fmac_f32_e32 v6, v4, v1
	v_mov_b32_e32 v9, v11
	v_fmac_f32_e32 v6, v12, v2
	v_pk_add_f32 v[4:5], v[8:9], v[6:7]
	v_sub_f32_e32 v3, v4, v8
	v_sub_f32_e32 v3, v6, v3
	;; [unrolled: 1-line block ×3, first 2 shown]
	v_add_f32_e32 v9, v11, v6
	v_mov_b32_e32 v6, v5
	v_pk_mul_f32 v[6:7], v[4:5], v[6:7]
	v_cvt_f64_f32_e32 v[10:11], v20
	v_frexp_exp_i32_f64_e32 v7, v[10:11]
	v_subbrev_co_u32_e64 v7, s[4:5], 0, v7, s[4:5]
	v_cvt_f32_i32_e32 v7, v7
	v_fma_f32 v8, v4, v5, -v6
	v_fmac_f32_e32 v8, v4, v9
	s_mov_b32 s4, 0x3f317218
	v_mul_f32_e32 v4, 0x3f317218, v7
	v_fmac_f32_e32 v8, v3, v5
	v_fma_f32 v10, v7, s4, -v4
	v_fmac_f32_e32 v10, 0xb102e308, v7
	v_ldexp_f32 v11, v2, 1
	v_add_f32_e32 v5, v6, v8
	v_pk_add_f32 v[2:3], v[4:5], v[10:11]
	v_mov_b32_e32 v12, v5
	v_mov_b32_e32 v13, v3
	;; [unrolled: 1-line block ×3, first 2 shown]
	v_pk_add_f32 v[6:7], v[12:13], v[6:7] neg_lo:[0,1] neg_hi:[0,1]
	v_mov_b32_e32 v9, v5
	v_ldexp_f32 v1, v1, 1
	v_pk_add_f32 v[6:7], v[8:9], v[6:7] neg_lo:[0,1] neg_hi:[0,1]
	v_add_f32_e32 v1, v1, v6
	v_add_f32_e32 v5, v1, v7
	v_pk_add_f32 v[6:7], v[2:3], v[4:5] neg_lo:[0,1] neg_hi:[0,1]
	v_pk_add_f32 v[8:9], v[2:3], v[4:5]
	v_mov_b32_e32 v12, v6
	v_mov_b32_e32 v13, v9
	;; [unrolled: 1-line block ×3, first 2 shown]
	v_pk_add_f32 v[12:13], v[10:11], v[12:13]
	v_mov_b32_e32 v4, v13
	v_pk_add_f32 v[14:15], v[4:5], v[2:3] neg_lo:[0,1] neg_hi:[0,1]
	v_mov_b32_e32 v1, v14
	v_mov_b32_e32 v12, v9
	;; [unrolled: 1-line block ×4, first 2 shown]
	v_pk_add_f32 v[6:7], v[10:11], v[6:7] neg_lo:[0,1] neg_hi:[0,1]
	v_pk_add_f32 v[16:17], v[8:9], v[0:1] neg_lo:[0,1] neg_hi:[0,1]
	;; [unrolled: 1-line block ×3, first 2 shown]
	v_mov_b32_e32 v10, v5
	v_pk_add_f32 v[2:3], v[10:11], v[2:3] neg_lo:[0,1] neg_hi:[0,1]
	v_mov_b32_e32 v16, v6
	v_pk_add_f32 v[8:9], v[16:17], v[2:3]
	v_mov_b32_e32 v10, v9
	v_pk_add_f32 v[10:11], v[8:9], v[10:11]
	v_pk_add_f32 v[4:5], v[4:5], v[10:11]
	v_mov_b32_e32 v7, v13
	v_mov_b32_e32 v9, v4
	v_pk_add_f32 v[12:13], v[8:9], v[6:7] neg_lo:[0,1] neg_hi:[0,1]
	v_mov_b32_e32 v3, v10
	v_sub_f32_e32 v1, v8, v12
	v_pk_add_f32 v[2:3], v[2:3], v[12:13] neg_lo:[0,1] neg_hi:[0,1]
	v_sub_f32_e32 v1, v6, v1
	v_add_f32_e32 v1, v2, v1
	v_add_f32_e32 v1, v1, v3
	;; [unrolled: 1-line block ×3, first 2 shown]
	v_sub_f32_e32 v3, v2, v4
	v_sub_f32_e32 v1, v1, v3
	v_mul_f32_e32 v3, v19, v2
	v_fma_f32 v2, v19, v2, -v3
	v_fmac_f32_e32 v2, v19, v1
	v_add_f32_e32 v1, v3, v2
	v_cmp_class_f32_e64 s[4:5], v3, s6
	v_sub_f32_e32 v4, v1, v3
	v_cndmask_b32_e64 v1, v1, v3, s[4:5]
	s_mov_b32 s10, 0x42b17218
	v_mov_b32_e32 v3, 0x37000000
	v_cmp_eq_f32_e64 s[4:5], s10, v1
	v_cndmask_b32_e64 v3, 0, v3, s[4:5]
	v_sub_f32_e32 v2, v2, v4
	v_sub_f32_e32 v4, v1, v3
	s_mov_b32 s4, 0x3fb8aa3b
	v_mul_f32_e32 v5, 0x3fb8aa3b, v4
	v_fma_f32 v6, v4, s4, -v5
	v_rndne_f32_e32 v7, v5
	v_fmac_f32_e32 v6, 0x32a5705f, v4
	v_sub_f32_e32 v5, v5, v7
	v_add_f32_e32 v5, v5, v6
	v_exp_f32_e32 v5, v5
	v_cvt_i32_f32_e32 v6, v7
	s_mov_b32 s7, 0x7f800000
	v_cmp_neq_f32_e64 s[4:5], |v1|, s7
	v_cndmask_b32_e64 v1, 0, v2, s[4:5]
	s_mov_b32 s4, 0xc2ce8ed0
	v_ldexp_f32 v2, v5, v6
	v_cmp_ngt_f32_e64 s[4:5], s4, v4
	v_add_f32_e32 v1, v3, v1
	v_cndmask_b32_e64 v2, 0, v2, s[4:5]
	v_mov_b32_e32 v3, 0x7f800000
	v_cmp_nlt_f32_e64 s[4:5], s10, v4
	v_cndmask_b32_e64 v2, v3, v2, s[4:5]
	v_fma_f32 v1, v2, v1, v2
	v_cmp_class_f32_e64 s[4:5], v2, s6
	v_trunc_f32_e32 v4, v19
	v_cndmask_b32_e64 v1, v1, v2, s[4:5]
	v_cndmask_b32_e64 v2, v18, 1.0, vcc
	v_cmp_eq_f32_e32 vcc, v4, v19
	v_mul_f32_e32 v4, 0.5, v19
	v_trunc_f32_e32 v6, v4
	v_cmp_neq_f32_e64 s[4:5], v6, v4
	s_and_b64 s[4:5], vcc, s[4:5]
	v_cndmask_b32_e64 v4, 1.0, v2, s[4:5]
	s_brev_b32 s17, -2
	v_mov_b32_e32 v5, 0x7fc00000
	v_bfi_b32 v1, s17, v1, v4
	v_cndmask_b32_e32 v4, v5, v1, vcc
	v_cmp_gt_f32_e32 vcc, 0, v2
	v_cndmask_b32_e32 v1, v1, v4, vcc
	v_cmp_eq_f32_e32 vcc, s7, v20
	v_cmp_eq_f32_e64 s[6:7], 0, v2
	v_cmp_gt_f32_e64 s[10:11], 0, v19
	s_xor_b64 s[10:11], s[10:11], s[6:7]
	v_cndmask_b32_e64 v3, v3, 0, s[10:11]
	v_cndmask_b32_e64 v4, 0, v2, s[4:5]
	v_bfi_b32 v3, s17, v3, v4
	s_or_b64 vcc, vcc, s[6:7]
	v_cndmask_b32_e32 v1, v1, v3, vcc
	v_cmp_o_f32_e32 vcc, v2, v2
	v_cndmask_b32_e32 v32, v5, v1, vcc
.LBB25_457:
	s_mul_i32 s5, s13, s33
	v_readlane_b32 s4, v254, 25
	s_sub_i32 s5, s14, s5
	s_xor_b32 s4, s16, s4
	s_add_i32 s6, s13, 1
	s_sub_i32 s7, s5, s33
	s_cmp_ge_u32 s5, s33
	s_cselect_b32 s6, s6, s13
	s_cselect_b32 s5, s7, s5
	s_add_i32 s7, s6, 1
	s_cmp_ge_u32 s5, s33
	s_cselect_b32 s5, s7, s6
	s_xor_b32 s5, s5, s4
	v_readlane_b32 s16, v254, 26
	s_sub_i32 s4, s5, s4
	v_readlane_b32 s26, v254, 36
	v_readlane_b32 s27, v254, 37
	;; [unrolled: 1-line block ×7, first 2 shown]
	s_cmp_eq_u64 s[26:27], 0
	v_mov_b32_e32 v16, s79
	v_readlane_b32 s22, v254, 32
	v_readlane_b32 s23, v254, 33
	v_readlane_b32 s24, v254, 34
	v_readlane_b32 s25, v254, 35
	v_readlane_b32 s28, v254, 38
	v_readlane_b32 s29, v254, 39
	v_readlane_b32 s30, v254, 40
	v_readlane_b32 s31, v254, 41
	s_cbranch_scc1 .LBB25_459
; %bb.458:
	v_readlane_b32 s5, v254, 0
	s_mul_i32 s5, s8, s5
	s_add_i32 s6, s4, s5
	s_ashr_i32 s7, s6, 31
	s_lshl_b64 s[6:7], s[6:7], 2
	s_add_u32 s6, s26, s6
	s_addc_u32 s7, s27, s7
	v_mov_b32_e32 v1, 0
	global_load_dword v1, v1, s[6:7]
	s_waitcnt vmcnt(0)
	v_ashrrev_i32_e32 v2, 31, v1
	v_lshrrev_b32_e32 v2, 26, v2
	v_add_u32_e32 v1, v1, v2
	v_ashrrev_i32_e32 v1, 6, v1
	v_min_i32_e32 v16, s79, v1
.LBB25_459:
	v_readlane_b32 s10, v254, 8
	v_readlane_b32 s11, v254, 9
	s_mul_i32 s5, s8, s11
	s_ashr_i32 s6, s5, 31
	s_add_u32 s5, s16, s5
	s_mul_i32 s15, s15, s10
	s_addc_u32 s7, s17, s6
	s_ashr_i32 s10, s15, 31
	s_add_u32 s6, s5, s15
	s_addc_u32 s7, s7, s10
	s_lshl_b32 s10, s4, 5
	v_add_u32_e32 v93, s10, v96
	v_and_b32_e32 v34, 0x3ff, v0
	v_cmp_le_i32_e32 vcc, s84, v93
	s_and_saveexec_b64 s[4:5], vcc
	s_xor_b64 s[4:5], exec, s[4:5]
	s_cbranch_execz .LBB25_461
; %bb.460:
	s_movk_i32 s11, 0x44
	v_mad_u32_u24 v0, v96, s11, v34
	v_lshl_add_u32 v0, v0, 2, 0
	v_mov_b32_e32 v1, 0
	ds_write_b32 v0, v1
.LBB25_461:
	s_andn2_saveexec_b64 s[4:5], s[4:5]
	s_cbranch_execz .LBB25_463
; %bb.462:
	v_readlane_b32 s11, v254, 18
	v_mad_u64_u32 v[0:1], s[14:15], v93, s11, v[34:35]
	v_ashrrev_i32_e32 v1, 31, v0
	v_lshlrev_b64 v[0:1], 3, v[0:1]
	v_mov_b32_e32 v2, s7
	v_add_co_u32_e32 v0, vcc, s6, v0
	v_addc_co_u32_e32 v1, vcc, v2, v1, vcc
	global_load_dwordx2 v[0:1], v[0:1], off
	s_movk_i32 s11, 0x44
	v_mad_u32_u24 v2, v96, s11, v34
	s_waitcnt vmcnt(0)
	v_cvt_f16_f32_e32 v0, v0
	v_cvt_f16_f32_e32 v1, v1
	v_pack_b32_f16 v0, v0, v1
	v_pk_mul_f16 v0, v100, v0
	v_lshl_add_u32 v1, v2, 2, 0
	ds_write_b32 v1, v0
.LBB25_463:
	s_or_b64 exec, exec, s[4:5]
	v_add_u32_e32 v94, s10, v107
	v_cmp_le_i32_e32 vcc, s84, v94
	s_and_saveexec_b64 s[4:5], vcc
	s_xor_b64 s[4:5], exec, s[4:5]
	s_cbranch_execz .LBB25_465
; %bb.464:
	s_movk_i32 s11, 0x44
	v_mad_u32_u24 v0, v107, s11, v34
	v_lshl_add_u32 v0, v0, 2, 0
	v_mov_b32_e32 v1, 0
	ds_write_b32 v0, v1
                                        ; implicit-def: $vgpr107
.LBB25_465:
	s_andn2_saveexec_b64 s[4:5], s[4:5]
	s_cbranch_execz .LBB25_467
; %bb.466:
	v_readlane_b32 s11, v254, 18
	v_mad_u64_u32 v[0:1], s[14:15], v94, s11, v[34:35]
	v_ashrrev_i32_e32 v1, 31, v0
	v_lshlrev_b64 v[0:1], 3, v[0:1]
	v_mov_b32_e32 v2, s7
	v_add_co_u32_e32 v0, vcc, s6, v0
	v_addc_co_u32_e32 v1, vcc, v2, v1, vcc
	global_load_dwordx2 v[0:1], v[0:1], off
	s_movk_i32 s11, 0x44
	v_mad_u32_u24 v2, v107, s11, v34
	s_waitcnt vmcnt(0)
	v_cvt_f16_f32_e32 v0, v0
	v_cvt_f16_f32_e32 v1, v1
	v_pack_b32_f16 v0, v0, v1
	v_pk_mul_f16 v0, v100, v0
	v_lshl_add_u32 v1, v2, 2, 0
	ds_write_b32 v1, v0
.LBB25_467:
	s_or_b64 exec, exec, s[4:5]
	v_add_u32_e32 v95, s10, v106
	v_cmp_le_i32_e32 vcc, s84, v95
	s_and_saveexec_b64 s[4:5], vcc
	s_xor_b64 s[4:5], exec, s[4:5]
	s_cbranch_execz .LBB25_469
; %bb.468:
	s_movk_i32 s11, 0x44
	v_mad_u32_u24 v0, v106, s11, v34
	v_lshl_add_u32 v0, v0, 2, 0
	v_mov_b32_e32 v1, 0
	ds_write_b32 v0, v1
                                        ; implicit-def: $vgpr106
.LBB25_469:
	s_andn2_saveexec_b64 s[4:5], s[4:5]
	s_cbranch_execz .LBB25_471
; %bb.470:
	v_readlane_b32 s11, v254, 18
	v_mad_u64_u32 v[0:1], s[14:15], v95, s11, v[34:35]
	v_ashrrev_i32_e32 v1, 31, v0
	v_lshlrev_b64 v[0:1], 3, v[0:1]
	v_mov_b32_e32 v2, s7
	v_add_co_u32_e32 v0, vcc, s6, v0
	v_addc_co_u32_e32 v1, vcc, v2, v1, vcc
	global_load_dwordx2 v[0:1], v[0:1], off
	s_movk_i32 s11, 0x44
	v_mad_u32_u24 v2, v106, s11, v34
	s_waitcnt vmcnt(0)
	v_cvt_f16_f32_e32 v0, v0
	v_cvt_f16_f32_e32 v1, v1
	v_pack_b32_f16 v0, v0, v1
	v_pk_mul_f16 v0, v100, v0
	v_lshl_add_u32 v1, v2, 2, 0
	ds_write_b32 v1, v0
.LBB25_471:
	s_or_b64 exec, exec, s[4:5]
	v_add_u32_e32 v106, s10, v105
	v_cmp_le_i32_e32 vcc, s84, v106
	s_and_saveexec_b64 s[4:5], vcc
	s_xor_b64 s[4:5], exec, s[4:5]
	s_cbranch_execz .LBB25_473
; %bb.472:
	s_movk_i32 s11, 0x44
	v_mad_u32_u24 v0, v105, s11, v34
	v_lshl_add_u32 v0, v0, 2, 0
	v_mov_b32_e32 v1, 0
	ds_write_b32 v0, v1
                                        ; implicit-def: $vgpr105
.LBB25_473:
	s_andn2_saveexec_b64 s[4:5], s[4:5]
	s_cbranch_execz .LBB25_475
; %bb.474:
	v_readlane_b32 s11, v254, 18
	v_mad_u64_u32 v[0:1], s[14:15], v106, s11, v[34:35]
	v_ashrrev_i32_e32 v1, 31, v0
	v_lshlrev_b64 v[0:1], 3, v[0:1]
	v_mov_b32_e32 v2, s7
	v_add_co_u32_e32 v0, vcc, s6, v0
	v_addc_co_u32_e32 v1, vcc, v2, v1, vcc
	global_load_dwordx2 v[0:1], v[0:1], off
	s_movk_i32 s11, 0x44
	v_mad_u32_u24 v2, v105, s11, v34
	s_waitcnt vmcnt(0)
	v_cvt_f16_f32_e32 v0, v0
	v_cvt_f16_f32_e32 v1, v1
	v_pack_b32_f16 v0, v0, v1
	v_pk_mul_f16 v0, v100, v0
	v_lshl_add_u32 v1, v2, 2, 0
	ds_write_b32 v1, v0
.LBB25_475:
	s_or_b64 exec, exec, s[4:5]
	v_add_u32_e32 v105, s10, v104
	v_cmp_le_i32_e32 vcc, s84, v105
	s_and_saveexec_b64 s[4:5], vcc
	s_xor_b64 s[4:5], exec, s[4:5]
	s_cbranch_execz .LBB25_477
; %bb.476:
	s_movk_i32 s11, 0x44
	v_mad_u32_u24 v0, v104, s11, v34
	v_lshl_add_u32 v0, v0, 2, 0
	v_mov_b32_e32 v1, 0
	ds_write_b32 v0, v1
                                        ; implicit-def: $vgpr104
.LBB25_477:
	s_andn2_saveexec_b64 s[4:5], s[4:5]
	s_cbranch_execz .LBB25_479
; %bb.478:
	v_readlane_b32 s11, v254, 18
	v_mad_u64_u32 v[0:1], s[14:15], v105, s11, v[34:35]
	v_ashrrev_i32_e32 v1, 31, v0
	v_lshlrev_b64 v[0:1], 3, v[0:1]
	v_mov_b32_e32 v2, s7
	v_add_co_u32_e32 v0, vcc, s6, v0
	v_addc_co_u32_e32 v1, vcc, v2, v1, vcc
	global_load_dwordx2 v[0:1], v[0:1], off
	s_movk_i32 s11, 0x44
	v_mad_u32_u24 v2, v104, s11, v34
	s_waitcnt vmcnt(0)
	v_cvt_f16_f32_e32 v0, v0
	v_cvt_f16_f32_e32 v1, v1
	v_pack_b32_f16 v0, v0, v1
	v_pk_mul_f16 v0, v100, v0
	v_lshl_add_u32 v1, v2, 2, 0
	ds_write_b32 v1, v0
.LBB25_479:
	s_or_b64 exec, exec, s[4:5]
	v_add_u32_e32 v104, s10, v103
	v_cmp_le_i32_e32 vcc, s84, v104
	s_and_saveexec_b64 s[4:5], vcc
	s_xor_b64 s[4:5], exec, s[4:5]
	s_cbranch_execz .LBB25_481
; %bb.480:
	s_movk_i32 s11, 0x44
	v_mad_u32_u24 v0, v103, s11, v34
	v_lshl_add_u32 v0, v0, 2, 0
	v_mov_b32_e32 v1, 0
	ds_write_b32 v0, v1
                                        ; implicit-def: $vgpr103
.LBB25_481:
	s_andn2_saveexec_b64 s[4:5], s[4:5]
	s_cbranch_execz .LBB25_483
; %bb.482:
	v_readlane_b32 s11, v254, 18
	v_mad_u64_u32 v[0:1], s[14:15], v104, s11, v[34:35]
	v_ashrrev_i32_e32 v1, 31, v0
	v_lshlrev_b64 v[0:1], 3, v[0:1]
	v_mov_b32_e32 v2, s7
	v_add_co_u32_e32 v0, vcc, s6, v0
	v_addc_co_u32_e32 v1, vcc, v2, v1, vcc
	global_load_dwordx2 v[0:1], v[0:1], off
	s_movk_i32 s11, 0x44
	v_mad_u32_u24 v2, v103, s11, v34
	s_waitcnt vmcnt(0)
	v_cvt_f16_f32_e32 v0, v0
	v_cvt_f16_f32_e32 v1, v1
	v_pack_b32_f16 v0, v0, v1
	v_pk_mul_f16 v0, v100, v0
	v_lshl_add_u32 v1, v2, 2, 0
	ds_write_b32 v1, v0
.LBB25_483:
	s_or_b64 exec, exec, s[4:5]
	v_add_u32_e32 v103, s10, v102
	v_cmp_le_i32_e32 vcc, s84, v103
	s_and_saveexec_b64 s[4:5], vcc
	s_xor_b64 s[4:5], exec, s[4:5]
	s_cbranch_execz .LBB25_485
; %bb.484:
	s_movk_i32 s11, 0x44
	v_mad_u32_u24 v0, v102, s11, v34
	v_lshl_add_u32 v0, v0, 2, 0
	v_mov_b32_e32 v1, 0
	ds_write_b32 v0, v1
                                        ; implicit-def: $vgpr102
.LBB25_485:
	s_andn2_saveexec_b64 s[4:5], s[4:5]
	s_cbranch_execz .LBB25_487
; %bb.486:
	v_readlane_b32 s11, v254, 18
	v_mad_u64_u32 v[0:1], s[14:15], v103, s11, v[34:35]
	v_ashrrev_i32_e32 v1, 31, v0
	v_lshlrev_b64 v[0:1], 3, v[0:1]
	v_mov_b32_e32 v2, s7
	v_add_co_u32_e32 v0, vcc, s6, v0
	v_addc_co_u32_e32 v1, vcc, v2, v1, vcc
	global_load_dwordx2 v[0:1], v[0:1], off
	s_movk_i32 s11, 0x44
	v_mad_u32_u24 v2, v102, s11, v34
	s_waitcnt vmcnt(0)
	v_cvt_f16_f32_e32 v0, v0
	v_cvt_f16_f32_e32 v1, v1
	v_pack_b32_f16 v0, v0, v1
	v_pk_mul_f16 v0, v100, v0
	v_lshl_add_u32 v1, v2, 2, 0
	ds_write_b32 v1, v0
.LBB25_487:
	s_or_b64 exec, exec, s[4:5]
	v_add_u32_e32 v102, s10, v101
	v_cmp_le_i32_e32 vcc, s84, v102
	s_and_saveexec_b64 s[4:5], vcc
	s_xor_b64 s[4:5], exec, s[4:5]
	s_cbranch_execz .LBB25_489
; %bb.488:
	s_movk_i32 s10, 0x44
	v_mad_u32_u24 v0, v101, s10, v34
	v_lshl_add_u32 v0, v0, 2, 0
	v_mov_b32_e32 v1, 0
	ds_write_b32 v0, v1
                                        ; implicit-def: $vgpr100
                                        ; implicit-def: $vgpr101
.LBB25_489:
	s_andn2_saveexec_b64 s[4:5], s[4:5]
	s_cbranch_execz .LBB25_491
; %bb.490:
	v_readlane_b32 s10, v254, 18
	v_mad_u64_u32 v[0:1], s[10:11], v102, s10, v[34:35]
	v_ashrrev_i32_e32 v1, 31, v0
	v_lshlrev_b64 v[0:1], 3, v[0:1]
	v_mov_b32_e32 v2, s7
	v_add_co_u32_e32 v0, vcc, s6, v0
	v_addc_co_u32_e32 v1, vcc, v2, v1, vcc
	global_load_dwordx2 v[0:1], v[0:1], off
	s_movk_i32 s6, 0x44
	v_mad_u32_u24 v2, v101, s6, v34
	s_waitcnt vmcnt(0)
	v_cvt_f16_f32_e32 v0, v0
	v_cvt_f16_f32_e32 v1, v1
	v_pack_b32_f16 v0, v0, v1
	v_pk_mul_f16 v0, v100, v0
	v_lshl_add_u32 v1, v2, 2, 0
	ds_write_b32 v1, v0
.LBB25_491:
	s_or_b64 exec, exec, s[4:5]
	v_readlane_b32 s6, v254, 14
	v_readlane_b32 s7, v254, 15
	s_mul_i32 s4, s8, s7
	s_mul_hi_u32 s5, s8, s6
	s_add_i32 s4, s5, s4
	s_mul_i32 s5, s12, s6
	s_add_i32 s4, s4, s5
	s_mul_i32 s5, s8, s6
	s_add_u32 s5, s20, s5
	s_addc_u32 s4, s21, s4
	v_readlane_b32 s20, v254, 21
	v_readlane_b32 s23, v254, 24
	s_mul_i32 s6, s9, s23
	s_ashr_i32 s7, s6, 31
	v_readlane_b32 s21, v254, 22
	s_add_u32 s33, s5, s6
	s_addc_u32 s46, s4, s7
	s_mul_i32 s4, s8, s21
	s_mul_hi_u32 s5, s8, s20
	s_add_i32 s4, s5, s4
	s_mul_i32 s12, s12, s20
	v_readlane_b32 s6, v254, 19
	s_add_i32 s4, s4, s12
	s_mul_i32 s8, s8, s20
	v_readlane_b32 s7, v254, 20
	s_add_u32 s5, s18, s8
	s_mul_i32 s9, s9, s7
	s_addc_u32 s4, s19, s4
	s_ashr_i32 s6, s9, 31
	s_add_u32 s8, s5, s9
	v_lshrrev_b32_e32 v1, 3, v34
	s_addc_u32 s9, s4, s6
	v_and_b32_e32 v17, 0x1ff0, v98
	s_movk_i32 s4, 0x110
	v_and_b32_e32 v70, 15, v34
	v_and_b32_e32 v71, 0x7e, v1
	v_mad_u32_u24 v0, v17, s4, 0
	v_mul_u32_u24_e32 v100, 0x110, v70
	v_lshlrev_b32_e32 v101, 2, v71
	v_add3_u32 v0, v0, v100, v101
	s_waitcnt lgkmcnt(0)
	s_barrier
	ds_read2_b64 v[12:15], v0 offset1:4
	ds_read2_b64 v[8:11], v0 offset0:8 offset1:12
	ds_read2_b64 v[4:7], v0 offset0:16 offset1:20
	;; [unrolled: 1-line block ×3, first 2 shown]
	v_add_u32_e32 v109, -1, v16
	v_cmp_ge_i32_e32 vcc, s48, v109
	s_mov_b32 s47, 0
	s_and_b64 vcc, exec, vcc
	v_mov_b32_e32 v89, 0
	v_or_b32_e32 v92, v17, v70
	v_lshlrev_b32_e32 v108, 1, v34
	v_mbcnt_lo_u32_b32 v74, -1, 0
	v_lshrrev_b32_e32 v107, 4, v34
	v_lshlrev_b32_e32 v35, 2, v34
	v_lshrrev_b32_e32 v88, 2, v34
	v_and_b32_e32 v73, 8, v98
	v_lshlrev_b32_e32 v72, 1, v70
	v_readlane_b32 s22, v254, 23
	s_waitcnt lgkmcnt(0)
	s_barrier
	s_cbranch_vccnz .LBB25_536
; %bb.492:
	v_mbcnt_hi_u32_b32 v33, -1, v74
	v_mov_b32_e32 v16, s35
	v_add_co_u32_e32 v111, vcc, s34, v108
	v_and_b32_e32 v36, 64, v33
	v_addc_co_u32_e32 v112, vcc, 0, v16, vcc
	v_add_u32_e32 v36, 64, v36
	v_xor_b32_e32 v37, 32, v33
	v_cmp_lt_i32_e32 vcc, v37, v36
	v_cndmask_b32_e32 v37, v33, v37, vcc
	v_lshlrev_b32_e32 v121, 2, v37
	v_xor_b32_e32 v37, 16, v33
	v_cmp_lt_i32_e32 vcc, v37, v36
	v_cndmask_b32_e32 v33, v33, v37, vcc
	s_cmp_lg_u64 s[34:35], 0
	v_lshlrev_b32_e32 v122, 2, v33
	v_lshl_add_u32 v33, v96, 2, v107
	s_cselect_b64 s[36:37], -1, 0
	v_mul_lo_u32 v54, s86, v33
	s_lshl_b32 s15, s86, 4
	v_add_u32_e32 v58, s15, v54
	v_readlane_b32 s10, v254, 10
	v_mul_u32_u24_e32 v18, 0x90, v96
	v_and_b32_e32 v56, 60, v35
	v_add_u32_e32 v60, s15, v58
	v_mul_hi_u32 v16, s10, v93
	v_add3_u32 v113, 0, v18, v108
	v_mul_hi_u32 v18, s10, v94
	v_mul_hi_u32 v20, s10, v95
	v_mul_hi_u32 v22, s10, v106
	v_mul_hi_u32 v24, s10, v105
	v_mul_hi_u32 v26, s10, v104
	v_mul_hi_u32 v28, s10, v103
	v_mul_hi_u32 v30, s10, v102
	v_mul_u32_u24_e32 v36, 0x110, v33
	v_lshlrev_b32_e32 v37, 2, v56
	v_add_u32_e32 v62, s15, v60
	s_add_i32 s15, 0, 0x60
	v_readlane_b32 s11, v254, 11
	v_add_u32_e32 v16, v93, v16
	s_movk_i32 s14, 0x90
	v_add_u32_e32 v18, v94, v18
	v_add_u32_e32 v20, v95, v20
	v_add_u32_e32 v22, v106, v22
	v_add_u32_e32 v24, v105, v24
	v_add_u32_e32 v26, v104, v26
	v_add_u32_e32 v28, v103, v28
	v_add_u32_e32 v30, v102, v30
	v_add3_u32 v123, 0, v36, v37
	v_lshrrev_b32_e32 v37, 2, v34
	v_mov_b32_e32 v43, s15
	s_add_i32 s15, 0, 0x80
	v_lshrrev_b32_e32 v16, s11, v16
	v_lshrrev_b32_e32 v18, s11, v18
	;; [unrolled: 1-line block ×8, first 2 shown]
	v_and_b32_e32 v36, 16, v97
	v_and_b32_e32 v38, 0xfc, v37
	v_mad_u32_u24 v40, v92, s14, 0
	v_mul_lo_u32 v64, s80, v33
	s_lshl_b32 s14, s80, 4
	v_mov_b32_e32 v45, s15
	s_add_i32 s15, 0, 0xa0
	v_mul_lo_u32 v16, v16, s84
	v_mul_lo_u32 v18, v18, s84
	;; [unrolled: 1-line block ×8, first 2 shown]
	v_mul_u32_u24_e32 v78, 0x110, v36
	v_add_u32_e32 v39, v36, v38
	v_add_u16_e32 v36, v36, v38
	v_add_u32_e32 v66, s14, v64
	v_mov_b32_e32 v47, s15
	s_add_i32 s15, 0, 0xc0
	v_sub_u32_e32 v16, v93, v16
	v_sub_u32_e32 v18, v94, v18
	;; [unrolled: 1-line block ×8, first 2 shown]
	v_lshrrev_b16_e32 v36, 1, v36
	v_add_u32_e32 v68, s14, v66
	v_mov_b32_e32 v49, s15
	s_add_i32 s15, 0, 0xe0
	v_mad_i64_i32 v[16:17], s[6:7], v16, s90, 0
	v_mad_i64_i32 v[18:19], s[6:7], v18, s90, 0
	;; [unrolled: 1-line block ×8, first 2 shown]
	v_lshl_add_u32 v79, v36, 2, v40
	v_lshl_add_u32 v36, v39, 1, v40
	v_add_u32_e32 v76, s14, v68
	s_movk_i32 s14, 0x220
	v_mov_b32_e32 v51, s15
	v_cmp_gt_u32_e64 s[6:7], 64, v33
	v_cmp_gt_u32_e64 s[30:31], 48, v33
	;; [unrolled: 1-line block ×4, first 2 shown]
	v_add_u32_e32 v127, 64, v36
	v_add_u32_e32 v128, 0x44, v36
	v_mul_u32_u24_e32 v33, 0x220, v73
	v_mad_u32_u24 v36, v73, s14, 0
	v_mad_u32_u24 v43, v73, s14, v43
	;; [unrolled: 1-line block ×6, first 2 shown]
	v_cmp_gt_u32_e64 s[14:15], 64, v39
	v_cmp_gt_u32_e64 s[16:17], 63, v39
	;; [unrolled: 1-line block ×8, first 2 shown]
	v_mul_u32_u24_e32 v39, 0x88, v38
	v_add3_u32 v40, 0, 32, v33
	v_add3_u32 v33, 0, 64, v33
	v_or_b32_e32 v53, v39, v70
	v_or_b32_e32 v37, 3, v37
	v_add_u32_e32 v129, v36, v72
	v_add_u32_e32 v41, 0x2200, v40
	;; [unrolled: 1-line block ×8, first 2 shown]
	v_mul_u32_u24_e32 v139, 0x110, v37
	v_lshlrev_b32_e32 v37, 1, v53
	s_mov_b64 s[40:41], src_private_base
	v_ashrrev_i32_e32 v55, 31, v54
	v_ashrrev_i32_e32 v59, 31, v58
	;; [unrolled: 1-line block ×4, first 2 shown]
	v_add3_u32 v75, 0, v100, v101
	v_ashrrev_i32_e32 v65, 31, v64
	v_ashrrev_i32_e32 v67, 31, v66
	;; [unrolled: 1-line block ×4, first 2 shown]
	v_add_u32_e32 v130, 0x2200, v129
	v_add_u32_e32 v131, 32, v129
	;; [unrolled: 1-line block ×15, first 2 shown]
	v_mul_u32_u24_e32 v138, 0x110, v38
	v_add_u32_e32 v140, v36, v37
	v_lshlrev_b32_e32 v36, 1, v39
	v_cmp_lt_u32_e64 s[4:5], 63, v34
	v_mov_b32_e32 v110, 0
	v_add_u32_e32 v114, 0x240, v113
	v_add_u32_e32 v115, 0x480, v113
	;; [unrolled: 1-line block ×7, first 2 shown]
	s_mov_b32 s40, 0
	v_add_u32_e32 v124, 0x1100, v123
	v_add_u32_e32 v125, 0x2200, v123
	;; [unrolled: 1-line block ×26, first 2 shown]
	v_mov_b32_e32 v36, v32
	v_mov_b32_e32 v37, v32
	s_lshl_b32 s42, s48, 6
	v_mov_b32_e32 v179, 0xfeffffff
	v_lshlrev_b64 v[38:39], 1, v[16:17]
	v_lshlrev_b64 v[40:41], 1, v[18:19]
	;; [unrolled: 1-line block ×9, first 2 shown]
	v_lshlrev_b32_e32 v164, 2, v56
	v_lshlrev_b64 v[56:57], 2, v[58:59]
	v_lshlrev_b64 v[58:59], 2, v[60:61]
	;; [unrolled: 1-line block ×3, first 2 shown]
	v_add_u32_e32 v165, v75, v78
	s_mov_b32 s49, 0x3f200000
	s_mov_b32 s50, 0x3fb8aa3b
	;; [unrolled: 1-line block ×4, first 2 shown]
	v_mov_b32_e32 v166, 0xbd5c1c4e
	v_mov_b32_e32 v167, 0x3e088382
	;; [unrolled: 1-line block ×3, first 2 shown]
	s_brev_b32 s53, -2
	v_add_u32_e32 v169, 0x4400, v79
	s_mov_b32 s54, 0xc1a00000
	v_lshlrev_b64 v[62:63], 2, v[64:65]
	v_lshlrev_b64 v[64:65], 2, v[66:67]
	;; [unrolled: 1-line block ×4, first 2 shown]
	s_mov_b32 s55, 0x5040100
	v_add_u32_e32 v170, v80, v138
	v_add_u32_e32 v171, v81, v138
	v_add_u32_e32 v172, v82, v138
	v_add_u32_e32 v173, v83, v138
	v_add_u32_e32 v174, v84, v138
	v_add_u32_e32 v175, v85, v138
	v_add_u32_e32 v176, v86, v138
	v_mov_b32_e32 v177, 0x7f800000
	v_mov_b32_e32 v178, 0
	;; [unrolled: 1-line block ×18, first 2 shown]
	s_andn2_b64 vcc, exec, s[36:37]
	s_ashr_i32 s43, s42, 31
	s_cbranch_vccnz .LBB25_498
.LBB25_493:
                                        ; implicit-def: $sgpr56
	s_and_saveexec_b64 s[44:45], s[4:5]
	s_xor_b64 s[44:45], exec, s[44:45]
	s_cbranch_execz .LBB25_495
; %bb.494:
	ds_write_b16 v113, v110 offset:17408
	ds_write_b16 v114, v110 offset:17408
	;; [unrolled: 1-line block ×4, first 2 shown]
	s_mov_b32 s56, 0
.LBB25_495:
	s_or_saveexec_b64 s[44:45], s[44:45]
	v_mov_b32_e32 v16, s56
	v_mov_b32_e32 v17, s56
	;; [unrolled: 1-line block ×4, first 2 shown]
	s_xor_b64 exec, exec, s[44:45]
	s_cbranch_execz .LBB25_497
; %bb.496:
	s_lshl_b64 s[56:57], s[42:43], 1
	v_mov_b32_e32 v16, s57
	v_add_co_u32_e32 v24, vcc, s56, v111
	v_addc_co_u32_e32 v25, vcc, v112, v16, vcc
	v_add_co_u32_e32 v16, vcc, v24, v38
	v_addc_co_u32_e32 v17, vcc, v25, v39, vcc
	;; [unrolled: 2-line block ×5, first 2 shown]
	flat_load_ushort v26, v[16:17]
	flat_load_ushort v27, v[18:19]
	;; [unrolled: 1-line block ×4, first 2 shown]
	v_add_co_u32_e32 v16, vcc, v24, v46
	v_addc_co_u32_e32 v17, vcc, v25, v47, vcc
	v_add_co_u32_e32 v18, vcc, v24, v48
	v_addc_co_u32_e32 v19, vcc, v25, v49, vcc
	;; [unrolled: 2-line block ×4, first 2 shown]
	s_waitcnt vmcnt(0) lgkmcnt(0)
	ds_write_b16 v113, v26 offset:17408
	ds_write_b16 v114, v27 offset:17408
	;; [unrolled: 1-line block ×4, first 2 shown]
	flat_load_ushort v16, v[16:17]
	s_nop 0
	flat_load_ushort v17, v[18:19]
	s_nop 0
	flat_load_ushort v18, v[20:21]
	flat_load_ushort v19, v[22:23]
.LBB25_497:
	s_or_b64 exec, exec, s[44:45]
	s_waitcnt vmcnt(0) lgkmcnt(0)
	ds_write_b16 v117, v16 offset:17408
	ds_write_b16 v118, v17 offset:17408
	;; [unrolled: 1-line block ×4, first 2 shown]
.LBB25_498:                             ; =>This Inner Loop Header: Depth=1
	s_mul_hi_i32 s45, s42, s86
	s_mul_i32 s44, s42, s86
	s_lshl_b64 s[44:45], s[44:45], 2
	s_add_u32 s43, s8, s44
	s_addc_u32 s44, s9, s45
	v_mov_b32_e32 v16, s44
	v_add_co_u32_e32 v17, vcc, s43, v54
	v_addc_co_u32_e32 v16, vcc, v16, v55, vcc
	v_add_co_u32_e32 v18, vcc, v17, v164
	v_addc_co_u32_e32 v16, vcc, 0, v16, vcc
	v_mov_b32_e32 v22, s41
	v_mov_b32_e32 v23, s40
	buffer_store_dword v110, off, s[0:3], 0
	buffer_store_dword v110, off, s[0:3], 0 offset:4
	buffer_store_dword v110, off, s[0:3], 0 offset:8
	buffer_store_dword v110, off, s[0:3], 0 offset:12
	v_cndmask_b32_e64 v17, v22, v16, s[6:7]
	v_cndmask_b32_e64 v16, v23, v18, s[6:7]
	flat_load_dwordx4 v[16:19], v[16:17]
	v_mov_b32_e32 v20, s44
	v_add_co_u32_e32 v21, vcc, s43, v56
	v_addc_co_u32_e32 v20, vcc, v20, v57, vcc
	v_add_co_u32_e32 v21, vcc, v21, v164
	v_addc_co_u32_e32 v24, vcc, 0, v20, vcc
	v_cndmask_b32_e64 v20, v23, v21, s[30:31]
	v_cndmask_b32_e64 v21, v22, v24, s[30:31]
	v_add_u32_e32 v33, 0x2000, v165
	s_waitcnt vmcnt(0) lgkmcnt(0)
	ds_write_b128 v123, v[16:19]
	flat_load_dwordx4 v[16:19], v[20:21]
	v_mov_b32_e32 v20, s44
	v_add_co_u32_e32 v21, vcc, s43, v58
	v_addc_co_u32_e32 v20, vcc, v20, v59, vcc
	v_add_co_u32_e32 v21, vcc, v21, v164
	v_addc_co_u32_e32 v24, vcc, 0, v20, vcc
	v_cndmask_b32_e64 v20, v23, v21, s[10:11]
	v_cndmask_b32_e64 v21, v22, v24, s[10:11]
	s_waitcnt vmcnt(0) lgkmcnt(0)
	ds_write_b128 v124, v[16:19]
	flat_load_dwordx4 v[16:19], v[20:21]
	v_mov_b32_e32 v20, s44
	v_add_co_u32_e32 v21, vcc, s43, v60
	v_addc_co_u32_e32 v20, vcc, v20, v61, vcc
	v_add_co_u32_e32 v21, vcc, v21, v164
	v_addc_co_u32_e32 v24, vcc, 0, v20, vcc
	v_cndmask_b32_e64 v20, v23, v21, s[12:13]
	v_cndmask_b32_e64 v21, v22, v24, s[12:13]
	s_waitcnt vmcnt(0) lgkmcnt(0)
	ds_write_b128 v125, v[16:19]
	flat_load_dwordx4 v[16:19], v[20:21]
	s_waitcnt vmcnt(0) lgkmcnt(0)
	ds_write_b128 v126, v[16:19]
	s_waitcnt lgkmcnt(0)
	s_barrier
	ds_read2_b64 v[16:19], v165 offset1:4
	ds_read2_b64 v[24:27], v33 offset0:64 offset1:68
	s_waitcnt lgkmcnt(1)
	v_mfma_f32_16x16x16f16 v[20:23], v[16:17], v[12:13], 0
	s_waitcnt lgkmcnt(0)
	v_mfma_f32_16x16x16f16 v[28:31], v[24:25], v[12:13], 0
	v_mfma_f32_16x16x16f16 v[16:19], v[18:19], v[14:15], v[20:23]
	;; [unrolled: 1-line block ×3, first 2 shown]
	ds_read2_b64 v[24:27], v165 offset0:8 offset1:12
	s_nop 7
	ds_read2_b64 v[28:31], v33 offset0:72 offset1:76
	s_waitcnt lgkmcnt(1)
	v_mfma_f32_16x16x16f16 v[16:19], v[24:25], v[8:9], v[16:19]
	s_waitcnt lgkmcnt(0)
	v_mfma_f32_16x16x16f16 v[20:23], v[28:29], v[8:9], v[20:23]
	v_mfma_f32_16x16x16f16 v[16:19], v[26:27], v[10:11], v[16:19]
	ds_read2_b64 v[24:27], v165 offset0:16 offset1:20
	v_mfma_f32_16x16x16f16 v[20:23], v[30:31], v[10:11], v[20:23]
	ds_read2_b64 v[28:31], v33 offset0:80 offset1:84
	s_waitcnt lgkmcnt(1)
	v_mfma_f32_16x16x16f16 v[16:19], v[24:25], v[4:5], v[16:19]
	s_waitcnt lgkmcnt(0)
	v_mfma_f32_16x16x16f16 v[20:23], v[28:29], v[4:5], v[20:23]
	v_mfma_f32_16x16x16f16 v[16:19], v[26:27], v[6:7], v[16:19]
	ds_read2_b64 v[24:27], v165 offset0:24 offset1:28
	v_mfma_f32_16x16x16f16 v[20:23], v[30:31], v[6:7], v[20:23]
	ds_read2_b64 v[28:31], v33 offset0:88 offset1:92
	s_waitcnt lgkmcnt(0)
	s_barrier
	v_mfma_f32_16x16x16f16 v[16:19], v[24:25], v[0:1], v[16:19]
	v_mfma_f32_16x16x16f16 v[180:183], v[28:29], v[0:1], v[20:23]
	;; [unrolled: 1-line block ×3, first 2 shown]
                                        ; implicit-def: $vgpr27
	v_mfma_f32_16x16x16f16 v[16:19], v[30:31], v[2:3], v[180:183]
	s_nop 7
	s_nop 1
	v_cmp_nlt_f32_e64 s[44:45], |v20|, s49
	s_and_saveexec_b64 s[56:57], s[44:45]
	s_xor_b64 s[44:45], exec, s[56:57]
	s_cbranch_execz .LBB25_500
; %bb.499:                              ;   in Loop: Header=BB25_498 Depth=1
	v_add_f32_e64 v24, |v20|, |v20|
	v_mul_f32_e32 v25, 0x3fb8aa3b, v24
	v_rndne_f32_e32 v26, v25
	v_sub_f32_e32 v27, v25, v26
	v_fma_f32 v25, v24, s50, -v25
	v_fmac_f32_e32 v25, 0x32a5705f, v24
	v_add_f32_e32 v25, v27, v25
	v_cvt_i32_f32_e32 v26, v26
	v_exp_f32_e32 v25, v25
	v_cmp_ngt_f32_e32 vcc, s51, v24
	v_ldexp_f32 v25, v25, v26
	v_cndmask_b32_e32 v25, 0, v25, vcc
	v_cmp_nlt_f32_e32 vcc, s52, v24
	v_cndmask_b32_e32 v24, v177, v25, vcc
	v_add_f32_e32 v24, 1.0, v24
	v_rcp_f32_e32 v24, v24
	v_fma_f32 v27, v24, -2.0, 1.0
.LBB25_500:                             ;   in Loop: Header=BB25_498 Depth=1
	s_andn2_saveexec_b64 s[44:45], s[44:45]
; %bb.501:                              ;   in Loop: Header=BB25_498 Depth=1
	v_mul_f32_e32 v24, v20, v20
	v_mov_b32_e32 v25, 0x3ca908c9
	v_fmac_f32_e32 v25, 0xbbbac73d, v24
	v_fma_f32 v25, v24, v25, v166
	v_fma_f32 v25, v24, v25, v167
	;; [unrolled: 1-line block ×3, first 2 shown]
	v_mul_f32_e64 v25, |v20|, v25
	v_fma_f32 v27, v24, v25, |v20|
; %bb.502:                              ;   in Loop: Header=BB25_498 Depth=1
	s_or_b64 exec, exec, s[44:45]
	v_cmp_nlt_f32_e64 s[44:45], |v21|, s49
                                        ; implicit-def: $vgpr29
	s_and_saveexec_b64 s[56:57], s[44:45]
	s_xor_b64 s[44:45], exec, s[56:57]
	s_cbranch_execz .LBB25_504
; %bb.503:                              ;   in Loop: Header=BB25_498 Depth=1
	v_add_f32_e64 v24, |v21|, |v21|
	v_mul_f32_e32 v25, 0x3fb8aa3b, v24
	v_rndne_f32_e32 v26, v25
	v_sub_f32_e32 v28, v25, v26
	v_fma_f32 v25, v24, s50, -v25
	v_fmac_f32_e32 v25, 0x32a5705f, v24
	v_add_f32_e32 v25, v28, v25
	v_cvt_i32_f32_e32 v26, v26
	v_exp_f32_e32 v25, v25
	v_cmp_ngt_f32_e32 vcc, s51, v24
	v_ldexp_f32 v25, v25, v26
	v_cndmask_b32_e32 v25, 0, v25, vcc
	v_cmp_nlt_f32_e32 vcc, s52, v24
	v_cndmask_b32_e32 v24, v177, v25, vcc
	v_add_f32_e32 v24, 1.0, v24
	v_rcp_f32_e32 v24, v24
	v_fma_f32 v29, v24, -2.0, 1.0
.LBB25_504:                             ;   in Loop: Header=BB25_498 Depth=1
	s_andn2_saveexec_b64 s[44:45], s[44:45]
; %bb.505:                              ;   in Loop: Header=BB25_498 Depth=1
	v_mul_f32_e32 v24, v21, v21
	v_mov_b32_e32 v25, 0x3ca908c9
	v_fmac_f32_e32 v25, 0xbbbac73d, v24
	v_fma_f32 v25, v24, v25, v166
	v_fma_f32 v25, v24, v25, v167
	;; [unrolled: 1-line block ×3, first 2 shown]
	v_mul_f32_e64 v25, |v21|, v25
	v_fma_f32 v29, v24, v25, |v21|
; %bb.506:                              ;   in Loop: Header=BB25_498 Depth=1
	s_or_b64 exec, exec, s[44:45]
	v_cmp_nlt_f32_e64 s[44:45], |v22|, s49
                                        ; implicit-def: $vgpr30
	s_and_saveexec_b64 s[56:57], s[44:45]
	s_xor_b64 s[44:45], exec, s[56:57]
	s_cbranch_execz .LBB25_508
; %bb.507:                              ;   in Loop: Header=BB25_498 Depth=1
	v_add_f32_e64 v24, |v22|, |v22|
	v_mul_f32_e32 v25, 0x3fb8aa3b, v24
	v_rndne_f32_e32 v26, v25
	v_sub_f32_e32 v28, v25, v26
	v_fma_f32 v25, v24, s50, -v25
	v_fmac_f32_e32 v25, 0x32a5705f, v24
	v_add_f32_e32 v25, v28, v25
	v_cvt_i32_f32_e32 v26, v26
	v_exp_f32_e32 v25, v25
	v_cmp_ngt_f32_e32 vcc, s51, v24
	v_ldexp_f32 v25, v25, v26
	v_cndmask_b32_e32 v25, 0, v25, vcc
	v_cmp_nlt_f32_e32 vcc, s52, v24
	v_cndmask_b32_e32 v24, v177, v25, vcc
	v_add_f32_e32 v24, 1.0, v24
	v_rcp_f32_e32 v24, v24
	v_fma_f32 v30, v24, -2.0, 1.0
.LBB25_508:                             ;   in Loop: Header=BB25_498 Depth=1
	s_andn2_saveexec_b64 s[44:45], s[44:45]
; %bb.509:                              ;   in Loop: Header=BB25_498 Depth=1
	v_mul_f32_e32 v24, v22, v22
	v_mov_b32_e32 v25, 0x3ca908c9
	v_fmac_f32_e32 v25, 0xbbbac73d, v24
	v_fma_f32 v25, v24, v25, v166
	v_fma_f32 v25, v24, v25, v167
	v_fma_f32 v25, v24, v25, v168
	v_mul_f32_e64 v25, |v22|, v25
	v_fma_f32 v30, v24, v25, |v22|
; %bb.510:                              ;   in Loop: Header=BB25_498 Depth=1
	s_or_b64 exec, exec, s[44:45]
	v_cmp_nlt_f32_e64 s[44:45], |v23|, s49
                                        ; implicit-def: $vgpr31
	s_and_saveexec_b64 s[56:57], s[44:45]
	s_xor_b64 s[44:45], exec, s[56:57]
	s_cbranch_execz .LBB25_512
; %bb.511:                              ;   in Loop: Header=BB25_498 Depth=1
	v_add_f32_e64 v24, |v23|, |v23|
	v_mul_f32_e32 v25, 0x3fb8aa3b, v24
	v_rndne_f32_e32 v26, v25
	v_sub_f32_e32 v28, v25, v26
	v_fma_f32 v25, v24, s50, -v25
	v_fmac_f32_e32 v25, 0x32a5705f, v24
	v_add_f32_e32 v25, v28, v25
	v_cvt_i32_f32_e32 v26, v26
	v_exp_f32_e32 v25, v25
	v_cmp_ngt_f32_e32 vcc, s51, v24
	v_ldexp_f32 v25, v25, v26
	v_cndmask_b32_e32 v25, 0, v25, vcc
	v_cmp_nlt_f32_e32 vcc, s52, v24
	v_cndmask_b32_e32 v24, v177, v25, vcc
	v_add_f32_e32 v24, 1.0, v24
	v_rcp_f32_e32 v24, v24
	v_fma_f32 v31, v24, -2.0, 1.0
.LBB25_512:                             ;   in Loop: Header=BB25_498 Depth=1
	s_andn2_saveexec_b64 s[44:45], s[44:45]
; %bb.513:                              ;   in Loop: Header=BB25_498 Depth=1
	v_mul_f32_e32 v24, v23, v23
	v_mov_b32_e32 v25, 0x3ca908c9
	v_fmac_f32_e32 v25, 0xbbbac73d, v24
	v_fma_f32 v25, v24, v25, v166
	v_fma_f32 v25, v24, v25, v167
	;; [unrolled: 1-line block ×3, first 2 shown]
	v_mul_f32_e64 v25, |v23|, v25
	v_fma_f32 v31, v24, v25, |v23|
; %bb.514:                              ;   in Loop: Header=BB25_498 Depth=1
	s_or_b64 exec, exec, s[44:45]
	v_cmp_nlt_f32_e64 s[44:45], |v16|, s49
                                        ; implicit-def: $vgpr24
	s_and_saveexec_b64 s[56:57], s[44:45]
	s_xor_b64 s[44:45], exec, s[56:57]
	s_cbranch_execz .LBB25_516
; %bb.515:                              ;   in Loop: Header=BB25_498 Depth=1
	v_add_f32_e64 v24, |v16|, |v16|
	v_mul_f32_e32 v25, 0x3fb8aa3b, v24
	v_rndne_f32_e32 v26, v25
	v_sub_f32_e32 v28, v25, v26
	v_fma_f32 v25, v24, s50, -v25
	v_fmac_f32_e32 v25, 0x32a5705f, v24
	v_add_f32_e32 v25, v28, v25
	v_cvt_i32_f32_e32 v26, v26
	v_exp_f32_e32 v25, v25
	v_cmp_ngt_f32_e32 vcc, s51, v24
	v_ldexp_f32 v25, v25, v26
	v_cndmask_b32_e32 v25, 0, v25, vcc
	v_cmp_nlt_f32_e32 vcc, s52, v24
	v_cndmask_b32_e32 v24, v177, v25, vcc
	v_add_f32_e32 v24, 1.0, v24
	v_rcp_f32_e32 v24, v24
	v_fma_f32 v24, v24, -2.0, 1.0
.LBB25_516:                             ;   in Loop: Header=BB25_498 Depth=1
	s_andn2_saveexec_b64 s[44:45], s[44:45]
; %bb.517:                              ;   in Loop: Header=BB25_498 Depth=1
	v_mul_f32_e32 v24, v16, v16
	v_mov_b32_e32 v25, 0x3ca908c9
	v_fmac_f32_e32 v25, 0xbbbac73d, v24
	v_fma_f32 v25, v24, v25, v166
	v_fma_f32 v25, v24, v25, v167
	v_fma_f32 v25, v24, v25, v168
	v_mul_f32_e64 v25, |v16|, v25
	v_fma_f32 v24, v24, v25, |v16|
; %bb.518:                              ;   in Loop: Header=BB25_498 Depth=1
	s_or_b64 exec, exec, s[44:45]
	v_cmp_nlt_f32_e64 s[44:45], |v17|, s49
                                        ; implicit-def: $vgpr25
	s_and_saveexec_b64 s[56:57], s[44:45]
	s_xor_b64 s[44:45], exec, s[56:57]
	s_cbranch_execz .LBB25_520
; %bb.519:                              ;   in Loop: Header=BB25_498 Depth=1
	v_add_f32_e64 v25, |v17|, |v17|
	v_mul_f32_e32 v26, 0x3fb8aa3b, v25
	v_rndne_f32_e32 v28, v26
	v_sub_f32_e32 v33, v26, v28
	v_fma_f32 v26, v25, s50, -v26
	v_fmac_f32_e32 v26, 0x32a5705f, v25
	v_add_f32_e32 v26, v33, v26
	v_cvt_i32_f32_e32 v28, v28
	v_exp_f32_e32 v26, v26
	v_cmp_ngt_f32_e32 vcc, s51, v25
	v_ldexp_f32 v26, v26, v28
	v_cndmask_b32_e32 v26, 0, v26, vcc
	v_cmp_nlt_f32_e32 vcc, s52, v25
	v_cndmask_b32_e32 v25, v177, v26, vcc
	v_add_f32_e32 v25, 1.0, v25
	v_rcp_f32_e32 v25, v25
	v_fma_f32 v25, v25, -2.0, 1.0
.LBB25_520:                             ;   in Loop: Header=BB25_498 Depth=1
	s_andn2_saveexec_b64 s[44:45], s[44:45]
; %bb.521:                              ;   in Loop: Header=BB25_498 Depth=1
	v_mul_f32_e32 v25, v17, v17
	v_mov_b32_e32 v26, 0x3ca908c9
	v_fmac_f32_e32 v26, 0xbbbac73d, v25
	v_fma_f32 v26, v25, v26, v166
	v_fma_f32 v26, v25, v26, v167
	;; [unrolled: 1-line block ×3, first 2 shown]
	v_mul_f32_e64 v26, |v17|, v26
	v_fma_f32 v25, v25, v26, |v17|
; %bb.522:                              ;   in Loop: Header=BB25_498 Depth=1
	s_or_b64 exec, exec, s[44:45]
	v_cmp_nlt_f32_e64 s[44:45], |v18|, s49
                                        ; implicit-def: $vgpr26
	s_and_saveexec_b64 s[56:57], s[44:45]
	s_xor_b64 s[44:45], exec, s[56:57]
	s_cbranch_execz .LBB25_524
; %bb.523:                              ;   in Loop: Header=BB25_498 Depth=1
	v_add_f32_e64 v26, |v18|, |v18|
	v_mul_f32_e32 v28, 0x3fb8aa3b, v26
	v_rndne_f32_e32 v33, v28
	v_sub_f32_e32 v180, v28, v33
	v_fma_f32 v28, v26, s50, -v28
	v_fmac_f32_e32 v28, 0x32a5705f, v26
	v_add_f32_e32 v28, v180, v28
	v_cvt_i32_f32_e32 v33, v33
	v_exp_f32_e32 v28, v28
	v_cmp_ngt_f32_e32 vcc, s51, v26
	v_ldexp_f32 v28, v28, v33
	v_cndmask_b32_e32 v28, 0, v28, vcc
	v_cmp_nlt_f32_e32 vcc, s52, v26
	v_cndmask_b32_e32 v26, v177, v28, vcc
	v_add_f32_e32 v26, 1.0, v26
	v_rcp_f32_e32 v26, v26
	v_fma_f32 v26, v26, -2.0, 1.0
.LBB25_524:                             ;   in Loop: Header=BB25_498 Depth=1
	s_andn2_saveexec_b64 s[44:45], s[44:45]
; %bb.525:                              ;   in Loop: Header=BB25_498 Depth=1
	v_mul_f32_e32 v26, v18, v18
	v_mov_b32_e32 v28, 0x3ca908c9
	v_fmac_f32_e32 v28, 0xbbbac73d, v26
	v_fma_f32 v28, v26, v28, v166
	v_fma_f32 v28, v26, v28, v167
	;; [unrolled: 1-line block ×3, first 2 shown]
	v_mul_f32_e64 v28, |v18|, v28
	v_fma_f32 v26, v26, v28, |v18|
; %bb.526:                              ;   in Loop: Header=BB25_498 Depth=1
	s_or_b64 exec, exec, s[44:45]
	v_cmp_nlt_f32_e64 s[44:45], |v19|, s49
                                        ; implicit-def: $vgpr33
	s_and_saveexec_b64 s[56:57], s[44:45]
	s_xor_b64 s[44:45], exec, s[56:57]
	s_cbranch_execz .LBB25_528
; %bb.527:                              ;   in Loop: Header=BB25_498 Depth=1
	v_add_f32_e64 v28, |v19|, |v19|
	v_mul_f32_e32 v33, 0x3fb8aa3b, v28
	v_rndne_f32_e32 v180, v33
	v_sub_f32_e32 v181, v33, v180
	v_fma_f32 v33, v28, s50, -v33
	v_fmac_f32_e32 v33, 0x32a5705f, v28
	v_add_f32_e32 v33, v181, v33
	v_cvt_i32_f32_e32 v180, v180
	v_exp_f32_e32 v33, v33
	v_cmp_ngt_f32_e32 vcc, s51, v28
	v_ldexp_f32 v33, v33, v180
	v_cndmask_b32_e32 v33, 0, v33, vcc
	v_cmp_nlt_f32_e32 vcc, s52, v28
	v_cndmask_b32_e32 v28, v177, v33, vcc
	v_add_f32_e32 v28, 1.0, v28
	v_rcp_f32_e32 v28, v28
	v_fma_f32 v33, v28, -2.0, 1.0
.LBB25_528:                             ;   in Loop: Header=BB25_498 Depth=1
	s_andn2_saveexec_b64 s[44:45], s[44:45]
; %bb.529:                              ;   in Loop: Header=BB25_498 Depth=1
	v_mul_f32_e32 v28, v19, v19
	v_mov_b32_e32 v33, 0x3ca908c9
	v_fmac_f32_e32 v33, 0xbbbac73d, v28
	v_fma_f32 v33, v28, v33, v166
	v_fma_f32 v33, v28, v33, v167
	;; [unrolled: 1-line block ×3, first 2 shown]
	v_mul_f32_e64 v33, |v19|, v33
	v_fma_f32 v33, v28, v33, |v19|
; %bb.530:                              ;   in Loop: Header=BB25_498 Depth=1
	s_or_b64 exec, exec, s[44:45]
	v_bfi_b32 v16, s53, v24, v16
	v_mul_f32_e32 v24, s97, v16
	v_bfi_b32 v16, s53, v25, v17
	v_mul_f32_e32 v25, s97, v16
	;; [unrolled: 2-line block ×8, first 2 shown]
	s_and_b64 vcc, exec, s[36:37]
	s_cbranch_vccz .LBB25_535
; %bb.531:                              ;   in Loop: Header=BB25_498 Depth=1
	ds_read2_b32 v[16:17], v169 offset1:1
	ds_read_b32 v18, v127 offset:17408
	ds_read_b32 v19, v128 offset:17408
	v_mov_b32_e32 v33, v32
	s_waitcnt lgkmcnt(2)
	v_cvt_f32_f16_e32 v20, v16
	v_cvt_f32_f16_sdwa v21, v16 dst_sel:DWORD dst_unused:UNUSED_PAD src0_sel:WORD_1
	v_cvt_f32_f16_e32 v16, v17
	v_cvt_f32_f16_sdwa v17, v17 dst_sel:DWORD dst_unused:UNUSED_PAD src0_sel:WORD_1
	s_waitcnt lgkmcnt(1)
	v_cvt_f32_f16_sdwa v181, v18 dst_sel:DWORD dst_unused:UNUSED_PAD src0_sel:WORD_1
	s_waitcnt lgkmcnt(0)
	v_cvt_f32_f16_sdwa v23, v19 dst_sel:DWORD dst_unused:UNUSED_PAD src0_sel:WORD_1
	v_cvt_f32_f16_e32 v22, v19
	v_cvt_f32_f16_e32 v180, v18
	v_pk_fma_f32 v[18:19], v[32:33], v[16:17], v[30:31]
	v_pk_fma_f32 v[16:17], v[36:37], v[20:21], v[28:29]
	;; [unrolled: 1-line block ×4, first 2 shown]
	s_cbranch_execnz .LBB25_533
.LBB25_532:                             ;   in Loop: Header=BB25_498 Depth=1
	v_pk_mov_b32 v[20:21], v[24:25], v[24:25] op_sel:[0,1]
	v_pk_mov_b32 v[16:17], v[28:29], v[28:29] op_sel:[0,1]
	;; [unrolled: 1-line block ×4, first 2 shown]
.LBB25_533:                             ;   in Loop: Header=BB25_498 Depth=1
	s_mul_hi_i32 s45, s42, s80
	s_mul_i32 s44, s42, s80
	s_lshl_b64 s[44:45], s[44:45], 2
	s_add_u32 s43, s33, s44
	s_addc_u32 s44, s46, s45
	v_mov_b32_e32 v24, s44
	v_add_co_u32_e32 v25, vcc, s43, v62
	v_addc_co_u32_e32 v24, vcc, v24, v63, vcc
	v_add_co_u32_e32 v26, vcc, v25, v164
	v_addc_co_u32_e32 v24, vcc, 0, v24, vcc
	v_mov_b32_e32 v28, s41
	v_mov_b32_e32 v31, s40
	v_cndmask_b32_e64 v25, v28, v24, s[6:7]
	v_cndmask_b32_e64 v24, v31, v26, s[6:7]
	buffer_store_dword v110, off, s[0:3], 0
	buffer_store_dword v110, off, s[0:3], 0 offset:4
	buffer_store_dword v110, off, s[0:3], 0 offset:8
	;; [unrolled: 1-line block ×3, first 2 shown]
	flat_load_dwordx4 v[182:185], v[24:25]
	v_add_f32_e32 v26, 0x40051340, v16
	v_max_f32_e32 v27, v179, v179
	v_max_f32_e32 v26, v27, v26
	v_cndmask_b32_e64 v197, v179, v26, s[14:15]
	v_mov_b32_e32 v26, s44
	v_add_co_u32_e32 v27, vcc, s43, v64
	v_addc_co_u32_e32 v26, vcc, v26, v65, vcc
	v_add_co_u32_e32 v27, vcc, v27, v164
	v_addc_co_u32_e32 v198, vcc, 0, v26, vcc
	v_cndmask_b32_e64 v26, v31, v27, s[30:31]
	v_cndmask_b32_e64 v27, v28, v198, s[30:31]
	v_add_f32_e32 v33, 0x40051340, v17
	v_add_f32_e32 v181, 0x40051340, v18
	v_add_f32_e32 v186, 0x40051340, v19
	v_add_f32_e32 v187, 0x40051340, v20
	v_add_f32_e32 v188, 0x40051340, v21
	v_add_f32_e32 v189, 0x40051340, v22
	v_add_f32_e32 v190, 0x40051340, v23
	v_cndmask_b32_e64 v191, v19, v19, s[16:17]
	v_cndmask_b32_e64 v192, v18, v18, s[16:17]
	;; [unrolled: 1-line block ×5, first 2 shown]
	v_mov_b32_e32 v25, s47
	v_mov_b32_e32 v24, s47
	;; [unrolled: 1-line block ×7, first 2 shown]
	v_add_u32_e32 v196, v129, v138
	v_add_u32_e32 v29, v129, v139
	;; [unrolled: 1-line block ×4, first 2 shown]
	s_add_i32 s48, s48, 1
	s_add_i32 s42, s42, 64
	s_waitcnt vmcnt(0) lgkmcnt(0)
	ds_write_b128 v123, v[182:185]
	flat_load_dwordx4 v[182:185], v[26:27]
	v_max_f32_e32 v26, v197, v197
	v_max_f32_e32 v26, v26, v33
	v_cndmask_b32_e64 v26, v197, v26, s[16:17]
	v_max_f32_e32 v199, v26, v26
	v_max_f32_e32 v181, v199, v181
	v_cndmask_b32_e64 v26, v26, v181, s[18:19]
	;; [unrolled: 3-line block ×5, first 2 shown]
	v_max_f32_e32 v181, v26, v26
	v_mov_b32_e32 v27, s44
	v_add_co_u32_e32 v197, vcc, s43, v66
	v_max_f32_e32 v181, v181, v189
	v_addc_co_u32_e32 v27, vcc, v27, v67, vcc
	v_cndmask_b32_e64 v26, v26, v181, s[26:27]
	v_mov_b32_e32 v33, s44
	v_add_co_u32_e32 v198, vcc, s43, v68
	v_max_f32_e32 v181, v26, v26
	v_addc_co_u32_e32 v33, vcc, v33, v69, vcc
	v_max_f32_e32 v181, v181, v190
	v_cndmask_b32_e64 v181, v26, v181, s[28:29]
	v_add_co_u32_e32 v26, vcc, v197, v164
	v_addc_co_u32_e32 v27, vcc, 0, v27, vcc
	v_cndmask_b32_e64 v26, v31, v26, s[10:11]
	v_cndmask_b32_e64 v27, v28, v27, s[10:11]
	ds_bpermute_b32 v186, v121, v181
	v_max_f32_e32 v181, v181, v181
	s_waitcnt lgkmcnt(0)
	v_max_f32_e32 v186, v186, v186
	v_max_f32_e32 v181, v181, v186
	v_add_co_u32_e32 v186, vcc, v198, v164
	v_addc_co_u32_e32 v33, vcc, 0, v33, vcc
	v_cndmask_b32_e64 v186, v31, v186, s[12:13]
	v_cndmask_b32_e64 v187, v28, v33, s[12:13]
	ds_bpermute_b32 v188, v122, v181
	s_waitcnt lgkmcnt(0)
	v_max_f32_e32 v28, v188, v188
	v_max_f32_e32 v28, v181, v28
	v_sub_f32_e32 v16, v16, v28
	v_sub_f32_e32 v17, v17, v28
	v_mul_f32_e32 v190, 0x3fb8aa3b, v16
	v_sub_f32_e32 v31, v192, v28
	v_sub_f32_e32 v33, v191, v28
	v_mul_f32_e32 v191, 0x3fb8aa3b, v17
	v_fma_f32 v200, v16, s50, -v190
	v_rndne_f32_e32 v201, v190
	v_mul_f32_e32 v192, 0x3fb8aa3b, v31
	v_fma_f32 v202, v17, s50, -v191
	v_rndne_f32_e32 v203, v191
	v_fmac_f32_e32 v200, 0x32a5705f, v16
	v_sub_f32_e32 v190, v190, v201
	v_sub_f32_e32 v20, v20, v28
	;; [unrolled: 1-line block ×3, first 2 shown]
	v_mul_f32_e32 v193, 0x3fb8aa3b, v33
	v_fma_f32 v204, v31, s50, -v192
	v_rndne_f32_e32 v205, v192
	v_fmac_f32_e32 v202, 0x32a5705f, v17
	v_sub_f32_e32 v191, v191, v203
	v_add_f32_e32 v190, v190, v200
	v_sub_f32_e32 v181, v195, v28
	s_waitcnt vmcnt(0)
	ds_write_b128 v124, v[182:185]
	flat_load_dwordx4 v[182:185], v[26:27]
	v_sub_f32_e32 v188, v194, v28
	v_mul_f32_e32 v194, 0x3fb8aa3b, v20
	v_fma_f32 v206, v33, s50, -v193
	v_rndne_f32_e32 v207, v193
	v_cvt_i32_f32_e32 v201, v201
	v_fmac_f32_e32 v204, 0x32a5705f, v31
	v_sub_f32_e32 v192, v192, v205
	v_add_f32_e32 v191, v191, v202
	v_exp_f32_e32 v190, v190
	v_mul_f32_e32 v195, 0x3fb8aa3b, v181
	v_fma_f32 v208, v20, s50, -v194
	v_rndne_f32_e32 v209, v194
	v_cvt_i32_f32_e32 v203, v203
	v_fmac_f32_e32 v206, 0x32a5705f, v33
	v_sub_f32_e32 v193, v193, v207
	v_add_f32_e32 v192, v192, v204
	v_exp_f32_e32 v191, v191
	;; [unrolled: 8-line block ×3, first 2 shown]
	v_sub_f32_e32 v179, v179, v28
	v_mul_f32_e32 v198, 0x3fb8aa3b, v189
	v_fma_f32 v27, v188, s50, -v197
	v_rndne_f32_e32 v211, v197
	v_cvt_i32_f32_e32 v207, v207
	v_fmac_f32_e32 v210, 0x32a5705f, v181
	v_sub_f32_e32 v195, v195, v26
	v_add_f32_e32 v194, v194, v208
	v_exp_f32_e32 v193, v193
	v_mul_f32_e32 v199, 0x3fb8aa3b, v179
	v_fma_f32 v212, v189, s50, -v198
	v_rndne_f32_e32 v213, v198
	v_cvt_i32_f32_e32 v209, v209
	v_fmac_f32_e32 v27, 0x32a5705f, v188
	v_sub_f32_e32 v197, v197, v211
	v_add_f32_e32 v195, v195, v210
	v_exp_f32_e32 v194, v194
	v_ldexp_f32 v190, v190, v201
	v_cmp_ngt_f32_e32 vcc, s51, v16
	v_fma_f32 v214, v179, s50, -v199
	v_rndne_f32_e32 v215, v199
	v_cvt_i32_f32_e32 v26, v26
	v_fmac_f32_e32 v212, 0x32a5705f, v189
	v_sub_f32_e32 v198, v198, v213
	v_add_f32_e32 v27, v197, v27
	v_exp_f32_e32 v195, v195
	v_ldexp_f32 v191, v191, v203
	v_cndmask_b32_e32 v190, 0, v190, vcc
	v_cmp_ngt_f32_e32 vcc, s51, v17
	v_cvt_i32_f32_e32 v211, v211
	v_fmac_f32_e32 v214, 0x32a5705f, v179
	v_sub_f32_e32 v199, v199, v215
	v_add_f32_e32 v197, v198, v212
	v_exp_f32_e32 v27, v27
	v_ldexp_f32 v192, v192, v205
	v_cndmask_b32_e32 v191, 0, v191, vcc
	v_cmp_ngt_f32_e32 vcc, s51, v31
	v_cvt_i32_f32_e32 v213, v213
	v_add_f32_e32 v198, v199, v214
	v_exp_f32_e32 v197, v197
	v_ldexp_f32 v193, v193, v207
	v_cndmask_b32_e32 v192, 0, v192, vcc
	v_cmp_ngt_f32_e32 vcc, s51, v33
	v_cvt_i32_f32_e32 v215, v215
	v_exp_f32_e32 v198, v198
	v_ldexp_f32 v194, v194, v209
	v_cndmask_b32_e32 v193, 0, v193, vcc
	v_cmp_ngt_f32_e32 vcc, s51, v20
	v_ldexp_f32 v26, v195, v26
	v_cndmask_b32_e32 v194, 0, v194, vcc
	v_cmp_ngt_f32_e32 vcc, s51, v181
	;; [unrolled: 3-line block ×3, first 2 shown]
	s_waitcnt vmcnt(0) lgkmcnt(0)
	ds_write_b128 v125, v[182:185]
	flat_load_dwordx4 v[182:185], v[186:187]
	v_ldexp_f32 v195, v197, v213
	v_cndmask_b32_e32 v27, 0, v27, vcc
	v_cmp_ngt_f32_e32 vcc, s51, v189
	v_ldexp_f32 v197, v198, v215
	v_cndmask_b32_e32 v195, 0, v195, vcc
	v_cmp_ngt_f32_e32 vcc, s51, v179
	v_cndmask_b32_e32 v197, 0, v197, vcc
	v_cmp_nlt_f32_e32 vcc, s52, v16
	v_cndmask_b32_e32 v16, v177, v190, vcc
	v_cmp_nlt_f32_e32 vcc, s52, v17
	v_cndmask_b32_e32 v17, v177, v191, vcc
	v_cmp_nlt_f32_e32 vcc, s52, v31
	v_cndmask_b32_e32 v31, v177, v192, vcc
	v_cmp_nlt_f32_e32 vcc, s52, v33
	v_cndmask_b32_e32 v33, v177, v193, vcc
	v_cmp_nlt_f32_e32 vcc, s52, v20
	v_cndmask_b32_e32 v186, v177, v194, vcc
	v_cmp_nlt_f32_e32 vcc, s52, v181
	v_cndmask_b32_e32 v181, v177, v26, vcc
	v_cmp_nlt_f32_e32 vcc, s52, v188
	v_cndmask_b32_e32 v187, v177, v27, vcc
	v_cmp_nlt_f32_e32 vcc, s52, v189
	v_cndmask_b32_e32 v188, v177, v195, vcc
	v_cmp_nlt_f32_e32 vcc, s52, v179
	v_cndmask_b32_e32 v20, v177, v197, vcc
	v_cndmask_b32_e64 v16, 0, v16, s[14:15]
	v_cmp_le_f32_e32 vcc, s54, v179
	v_cndmask_b32_e64 v25, v25, v17, s[16:17]
	v_cndmask_b32_e32 v179, 0, v20, vcc
	v_add_f32_e32 v17, v17, v16
	v_cndmask_b32_e64 v24, v24, v186, s[22:23]
	v_cndmask_b32_e64 v21, v21, v181, s[24:25]
	v_cvt_f16_f32_e32 v20, v179
	v_cvt_f16_f32_e32 v26, v16
	v_cndmask_b32_e64 v16, v16, v17, s[16:17]
	v_cvt_f16_f32_e32 v24, v24
	v_cvt_f16_f32_e32 v21, v21
	v_add_f32_e32 v17, v16, v31
	v_cndmask_b32_e64 v16, v16, v17, s[18:19]
	v_add_f32_e32 v17, v16, v33
	v_cndmask_b32_e64 v18, v18, v31, s[18:19]
	v_cndmask_b32_e64 v19, v19, v33, s[20:21]
	v_pk_mul_f16 v33, v20, v90 op_sel_hi:[0,1]
	v_pk_mul_f16 v31, v20, v75 op_sel_hi:[0,1]
	v_cndmask_b32_e64 v75, v16, v17, s[20:21]
	v_pk_mul_f16 v89, v20, v89 op_sel_hi:[0,1]
	v_pk_mul_f16 v90, v20, v91 op_sel_hi:[0,1]
	;; [unrolled: 1-line block ×14, first 2 shown]
	v_pack_b32_f16 v24, v24, v21
	v_cvt_f32_f16_e32 v20, v33
	v_cvt_f32_f16_sdwa v21, v33 dst_sel:DWORD dst_unused:UNUSED_PAD src0_sel:WORD_1
	v_add_f32_e32 v33, v186, v75
	v_cndmask_b32_e64 v33, v75, v33, s[22:23]
	v_add_f32_e32 v75, v181, v33
	v_cndmask_b32_e64 v22, v22, v187, s[26:27]
	v_cndmask_b32_e64 v23, v23, v188, s[28:29]
	;; [unrolled: 1-line block ×3, first 2 shown]
	v_cvt_f16_f32_e32 v25, v25
	v_cvt_f16_f32_e32 v18, v18
	;; [unrolled: 1-line block ×5, first 2 shown]
	v_add_f32_e32 v75, v187, v33
	v_cndmask_b32_e64 v33, v33, v75, s[26:27]
	v_add_f32_e32 v75, v188, v33
	v_cndmask_b32_e64 v33, v33, v75, s[28:29]
	v_pack_b32_f16 v26, v26, v25
	v_pack_b32_f16 v27, v18, v19
	v_pack_b32_f16 v25, v22, v23
	v_cvt_f32_f16_e32 v22, v89
	v_cvt_f32_f16_sdwa v23, v89 dst_sel:DWORD dst_unused:UNUSED_PAD src0_sel:WORD_1
	v_cvt_f32_f16_e32 v16, v90
	v_cvt_f32_f16_sdwa v17, v90 dst_sel:DWORD dst_unused:UNUSED_PAD src0_sel:WORD_1
	;; [unrolled: 2-line block ×3, first 2 shown]
	v_fmac_f32_e32 v33, v178, v179
	s_waitcnt vmcnt(0) lgkmcnt(0)
	ds_write_b128 v126, v[182:185]
	s_waitcnt lgkmcnt(0)
	s_barrier
	ds_read_u16 v75, v142 offset:544
	ds_read_u16 v84, v143 offset:544
	;; [unrolled: 1-line block ×9, first 2 shown]
	ds_read_u16 v79, v29
	ds_read_u16 v182, v29 offset:32
	ds_read_u16 v183, v29 offset:64
	;; [unrolled: 1-line block ×6, first 2 shown]
	ds_read_u16 v188, v140
	ds_read_u16 v191, v140 offset:32
	ds_read_u16 v192, v140 offset:64
	ds_read_u16 v193, v140 offset:96
	ds_read_u16 v194, v140 offset:128
	ds_read_u16 v195, v140 offset:160
	ds_read_u16 v196, v140 offset:192
	ds_read_u16 v197, v140 offset:224
	s_waitcnt lgkmcnt(14)
	v_perm_b32 v79, v79, v78, s55
	s_waitcnt lgkmcnt(7)
	v_perm_b32 v78, v85, v188, s55
	v_perm_b32 v85, v182, v84, s55
	v_add_u32_e32 v182, v132, v138
	v_mfma_f32_16x16x16f16 v[20:23], v[78:79], v[26:27], v[20:23]
	v_add_u32_e32 v84, v131, v139
	ds_read_u16 v180, v180 offset:272
	ds_read_u16 v188, v170 offset:272
	;; [unrolled: 1-line block ×5, first 2 shown]
	s_waitcnt lgkmcnt(4)
	v_perm_b32 v84, v180, v191, s55
	ds_read_u16 v30, v30 offset:272
	ds_read_u16 v78, v29 offset:8704
	;; [unrolled: 1-line block ×3, first 2 shown]
	v_cmp_lt_i32_e32 vcc, s48, v109
	s_and_b64 vcc, exec, vcc
	v_mfma_f32_16x16x16f16 v[16:19], v[84:85], v[26:27], v[16:19]
	v_cvt_f16_f32_e32 v20, v20
	v_cvt_f16_f32_e32 v21, v21
	;; [unrolled: 1-line block ×4, first 2 shown]
	s_waitcnt lgkmcnt(1)
	v_perm_b32 v79, v78, v75, s55
	v_perm_b32 v78, v30, v181, s55
	v_cvt_f32_f16_e32 v20, v20
	v_cvt_f32_f16_e32 v21, v21
	;; [unrolled: 1-line block ×4, first 2 shown]
	v_cvt_f16_f32_e32 v16, v16
	v_cvt_f16_f32_e32 v17, v17
	;; [unrolled: 1-line block ×4, first 2 shown]
	v_mfma_f32_16x16x16f16 v[20:23], v[78:79], v[24:25], v[20:23]
	v_perm_b32 v79, v198, v90, s55
	v_perm_b32 v78, v188, v89, s55
	v_cvt_f32_f16_e32 v16, v16
	v_cvt_f32_f16_e32 v17, v17
	v_cvt_f32_f16_e32 v18, v18
	v_cvt_f32_f16_e32 v19, v19
	s_nop 4
	v_cvt_f16_f32_e32 v30, v20
	v_mfma_f32_16x16x16f16 v[16:19], v[78:79], v[24:25], v[16:19]
	v_perm_b32 v79, v183, v178, s55
	v_perm_b32 v78, v182, v192, s55
	v_cvt_f16_f32_e32 v75, v21
	v_cvt_f16_f32_e32 v84, v22
	;; [unrolled: 1-line block ×3, first 2 shown]
	v_cvt_f32_f16_e32 v20, v82
	v_cvt_f32_f16_sdwa v21, v82 dst_sel:DWORD dst_unused:UNUSED_PAD src0_sel:WORD_1
	v_cvt_f32_f16_e32 v22, v80
	v_cvt_f32_f16_sdwa v23, v80 dst_sel:DWORD dst_unused:UNUSED_PAD src0_sel:WORD_1
	v_pack_b32_f16 v90, v30, v75
	s_nop 0
	v_cvt_f16_f32_e32 v30, v16
	v_mfma_f32_16x16x16f16 v[20:23], v[78:79], v[26:27], v[20:23]
	v_add_u32_e32 v75, v132, v139
	v_add_u32_e32 v78, v133, v139
	;; [unrolled: 1-line block ×5, first 2 shown]
	v_pack_b32_f16 v89, v84, v85
	s_nop 4
	v_cvt_f16_f32_e32 v16, v20
	v_cvt_f16_f32_e32 v21, v21
	;; [unrolled: 1-line block ×4, first 2 shown]
	v_cvt_f32_f16_e32 v20, v16
	v_add_u32_e32 v16, v133, v138
	ds_read_u16 v75, v75 offset:8704
	ds_read_u16 v84, v16 offset:272
	;; [unrolled: 1-line block ×16, first 2 shown]
	s_waitcnt lgkmcnt(7)
	v_perm_b32 v79, v75, v16, s55
	v_perm_b32 v78, v199, v179, s55
	v_cvt_f32_f16_e32 v21, v21
	v_cvt_f32_f16_e32 v22, v22
	v_cvt_f32_f16_e32 v23, v23
	s_waitcnt lgkmcnt(6)
	v_perm_b32 v85, v184, v80, s55
	v_perm_b32 v84, v84, v193, s55
	v_cvt_f16_f32_e32 v75, v17
	v_cvt_f16_f32_e32 v179, v18
	v_cvt_f16_f32_e32 v199, v19
	v_mfma_f32_16x16x16f16 v[16:19], v[78:79], v[24:25], v[20:23]
	v_add_u32_e32 v184, v137, v139
	v_pack_b32_f16 v79, v179, v199
	s_nop 4
	v_cvt_f32_f16_e32 v20, v91
	v_cvt_f32_f16_sdwa v21, v91 dst_sel:DWORD dst_unused:UNUSED_PAD src0_sel:WORD_1
	v_cvt_f32_f16_e32 v22, v77
	v_cvt_f32_f16_sdwa v23, v77 dst_sel:DWORD dst_unused:UNUSED_PAD src0_sel:WORD_1
	v_pack_b32_f16 v91, v30, v75
	v_cvt_f16_f32_e32 v30, v16
	v_mfma_f32_16x16x16f16 v[20:23], v[84:85], v[26:27], v[20:23]
	s_waitcnt lgkmcnt(4)
	v_perm_b32 v85, v180, v191, s55
	v_perm_b32 v84, v178, v82, s55
	v_cvt_f16_f32_e32 v75, v17
	v_cvt_f16_f32_e32 v77, v18
	v_cvt_f16_f32_e32 v78, v19
	v_pack_b32_f16 v82, v30, v75
	s_nop 3
	v_cvt_f16_f32_e32 v16, v20
	v_cvt_f16_f32_e32 v21, v21
	;; [unrolled: 1-line block ×4, first 2 shown]
	v_cvt_f32_f16_e32 v20, v16
	v_cvt_f32_f16_e32 v21, v21
	;; [unrolled: 1-line block ×4, first 2 shown]
	v_pack_b32_f16 v80, v77, v78
	s_nop 0
	v_mfma_f32_16x16x16f16 v[16:19], v[84:85], v[24:25], v[20:23]
	s_waitcnt lgkmcnt(3)
	v_perm_b32 v85, v185, v192, s55
	v_perm_b32 v84, v181, v194, s55
	s_nop 3
	v_cvt_f32_f16_e32 v20, v87
	v_cvt_f32_f16_sdwa v21, v87 dst_sel:DWORD dst_unused:UNUSED_PAD src0_sel:WORD_1
	v_cvt_f32_f16_e32 v22, v86
	v_cvt_f32_f16_sdwa v23, v86 dst_sel:DWORD dst_unused:UNUSED_PAD src0_sel:WORD_1
	v_cvt_f16_f32_e32 v30, v16
	v_cvt_f16_f32_e32 v75, v17
	v_mfma_f32_16x16x16f16 v[20:23], v[84:85], v[26:27], v[20:23]
	s_waitcnt lgkmcnt(1)
	v_perm_b32 v85, v183, v200, s55
	v_perm_b32 v84, v182, v198, s55
	v_cvt_f16_f32_e32 v77, v18
	v_cvt_f16_f32_e32 v86, v19
	v_pack_b32_f16 v78, v30, v75
	v_add_u32_e32 v75, v135, v139
	s_nop 3
	v_cvt_f16_f32_e32 v16, v20
	v_cvt_f16_f32_e32 v21, v21
	;; [unrolled: 1-line block ×4, first 2 shown]
	v_cvt_f32_f16_e32 v20, v16
	v_cvt_f32_f16_e32 v21, v21
	;; [unrolled: 1-line block ×4, first 2 shown]
	v_pack_b32_f16 v77, v77, v86
	ds_read_u16 v86, v156 offset:8704
	ds_read_u16 v87, v157 offset:544
	ds_read_u16 v178, v158 offset:544
	ds_read_u16 v179, v159 offset:8704
	ds_read_u16 v180, v160 offset:544
	ds_read_u16 v181, v161 offset:544
	ds_read_u16 v182, v162 offset:8704
	ds_read_u16 v183, v163 offset:544
	v_mfma_f32_16x16x16f16 v[16:19], v[84:85], v[24:25], v[20:23]
	s_waitcnt lgkmcnt(8)
	v_perm_b32 v85, v186, v201, s55
	v_perm_b32 v84, v188, v195, s55
	s_nop 3
	v_cvt_f32_f16_e32 v20, v189
	v_cvt_f32_f16_sdwa v21, v189 dst_sel:DWORD dst_unused:UNUSED_PAD src0_sel:WORD_1
	v_cvt_f32_f16_e32 v22, v190
	v_cvt_f32_f16_sdwa v23, v190 dst_sel:DWORD dst_unused:UNUSED_PAD src0_sel:WORD_1
	v_cvt_f16_f32_e32 v30, v16
	s_nop 0
	v_mfma_f32_16x16x16f16 v[20:23], v[84:85], v[26:27], v[20:23]
	v_add_u32_e32 v84, v136, v139
	v_add_u32_e32 v85, v137, v138
	s_nop 7
	s_nop 0
	v_cvt_f16_f32_e32 v16, v20
	v_cvt_f16_f32_e32 v21, v21
	;; [unrolled: 1-line block ×4, first 2 shown]
	v_cvt_f32_f16_e32 v20, v16
	v_add_u32_e32 v16, v136, v138
	ds_read_u16 v185, v174 offset:272
	ds_read_u16 v75, v75 offset:8704
	;; [unrolled: 1-line block ×8, first 2 shown]
	s_waitcnt lgkmcnt(6)
	v_perm_b32 v85, v75, v87, s55
	v_perm_b32 v84, v185, v86, s55
	v_cvt_f32_f16_e32 v21, v21
	v_cvt_f32_f16_e32 v22, v22
	;; [unrolled: 1-line block ×3, first 2 shown]
	v_cvt_f16_f32_e32 v75, v17
	v_cvt_f16_f32_e32 v86, v18
	;; [unrolled: 1-line block ×3, first 2 shown]
	v_mfma_f32_16x16x16f16 v[16:19], v[84:85], v[24:25], v[20:23]
	v_perm_b32 v85, v187, v178, s55
	s_waitcnt lgkmcnt(5)
	v_perm_b32 v84, v186, v196, s55
	v_pack_b32_f16 v87, v30, v75
	v_pack_b32_f16 v86, v86, v185
	s_waitcnt lgkmcnt(0)
	s_nop 0
	v_cvt_f32_f16_e32 v20, v83
	v_cvt_f32_f16_sdwa v21, v83 dst_sel:DWORD dst_unused:UNUSED_PAD src0_sel:WORD_1
	v_cvt_f32_f16_e32 v22, v81
	v_cvt_f32_f16_sdwa v23, v81 dst_sel:DWORD dst_unused:UNUSED_PAD src0_sel:WORD_1
	v_cvt_f16_f32_e32 v30, v16
	v_cvt_f16_f32_e32 v75, v17
	v_mfma_f32_16x16x16f16 v[20:23], v[84:85], v[26:27], v[20:23]
	v_perm_b32 v85, v189, v180, s55
	v_perm_b32 v84, v188, v179, s55
	v_cvt_f16_f32_e32 v81, v18
	v_cvt_f16_f32_e32 v178, v19
	v_pack_b32_f16 v83, v30, v75
	s_barrier
	s_nop 4
	v_cvt_f16_f32_e32 v16, v20
	v_cvt_f16_f32_e32 v21, v21
	;; [unrolled: 1-line block ×4, first 2 shown]
	v_cvt_f32_f16_e32 v20, v16
	v_cvt_f32_f16_e32 v21, v21
	;; [unrolled: 1-line block ×4, first 2 shown]
	v_pack_b32_f16 v81, v81, v178
	s_nop 0
	v_mfma_f32_16x16x16f16 v[16:19], v[84:85], v[24:25], v[20:23]
	v_perm_b32 v85, v29, v181, s55
	v_perm_b32 v84, v190, v197, s55
	s_nop 4
	v_cvt_f32_f16_e32 v20, v76
	v_cvt_f32_f16_sdwa v21, v76 dst_sel:DWORD dst_unused:UNUSED_PAD src0_sel:WORD_1
	v_cvt_f32_f16_e32 v22, v31
	v_cvt_f32_f16_sdwa v23, v31 dst_sel:DWORD dst_unused:UNUSED_PAD src0_sel:WORD_1
	v_cvt_f16_f32_e32 v29, v16
	v_cvt_f16_f32_e32 v30, v17
	v_mfma_f32_16x16x16f16 v[20:23], v[84:85], v[26:27], v[20:23]
	v_perm_b32 v27, v184, v183, s55
	v_perm_b32 v26, v191, v182, s55
	v_cvt_f16_f32_e32 v31, v18
	v_cvt_f16_f32_e32 v75, v19
	v_pack_b32_f16 v85, v29, v30
	s_nop 5
	v_cvt_f16_f32_e32 v16, v20
	v_cvt_f16_f32_e32 v21, v21
	;; [unrolled: 1-line block ×4, first 2 shown]
	v_cvt_f32_f16_e32 v20, v16
	v_cvt_f32_f16_e32 v21, v21
	;; [unrolled: 1-line block ×4, first 2 shown]
	v_pack_b32_f16 v84, v31, v75
	s_nop 0
	v_mfma_f32_16x16x16f16 v[16:19], v[26:27], v[24:25], v[20:23]
	s_nop 7
	s_nop 2
	v_cvt_f16_f32_e32 v16, v16
	v_cvt_f16_f32_e32 v17, v17
	;; [unrolled: 1-line block ×4, first 2 shown]
	v_pack_b32_f16 v76, v16, v17
	v_pack_b32_f16 v75, v18, v19
	s_cbranch_vccz .LBB25_537
; %bb.534:                              ;   in Loop: Header=BB25_498 Depth=1
	v_mov_b32_e32 v178, v33
	v_mov_b32_e32 v179, v28
	s_andn2_b64 vcc, exec, s[36:37]
	s_ashr_i32 s43, s42, 31
	s_cbranch_vccz .LBB25_493
	s_branch .LBB25_498
.LBB25_535:                             ;   in Loop: Header=BB25_498 Depth=1
                                        ; implicit-def: $vgpr16_vgpr17_vgpr18_vgpr19
                                        ; implicit-def: $vgpr20_vgpr21_vgpr22_vgpr23
	s_branch .LBB25_532
.LBB25_536:
	v_mov_b32_e32 v33, 0
	v_mov_b32_e32 v28, 0xfeffffff
	;; [unrolled: 1-line block ×17, first 2 shown]
.LBB25_537:
	s_lshl_b32 s14, s48, 6
	v_readlane_b32 s4, v254, 4
	s_sub_i32 s22, s4, s14
	s_cmp_lg_u64 s[34:35], 0
	s_cselect_b64 s[16:17], -1, 0
	s_ashr_i32 s15, s14, 31
	s_cmp_eq_u64 s[34:35], 0
	v_readlane_b32 s5, v254, 5
	s_cbranch_scc1 .LBB25_555
; %bb.538:
	s_lshl_b64 s[4:5], s[14:15], 1
	s_add_u32 s4, s34, s4
	s_addc_u32 s5, s35, s5
	v_mov_b32_e32 v17, s5
	v_add_co_u32_e64 v16, s[4:5], s4, v108
	v_cmp_gt_i32_e32 vcc, s22, v34
	v_mov_b32_e32 v18, 0
	v_addc_co_u32_e64 v17, s[4:5], 0, v17, s[4:5]
	v_mov_b32_e32 v20, 0
	s_and_saveexec_b64 s[6:7], vcc
	s_cbranch_execz .LBB25_540
; %bb.539:
	v_readlane_b32 s4, v254, 10
	v_mul_hi_u32 v19, s4, v93
	v_readlane_b32 s5, v254, 11
	v_add_u32_e32 v19, v93, v19
	v_lshrrev_b32_e32 v19, s5, v19
	v_mul_lo_u32 v19, v19, s84
	v_sub_u32_e32 v19, v93, v19
	v_mad_i64_i32 v[20:21], s[4:5], v19, s90, 0
	v_lshlrev_b64 v[20:21], 1, v[20:21]
	v_add_co_u32_e64 v20, s[4:5], v16, v20
	v_addc_co_u32_e64 v21, s[4:5], v17, v21, s[4:5]
	flat_load_ushort v20, v[20:21]
.LBB25_540:
	s_or_b64 exec, exec, s[6:7]
	s_movk_i32 s4, 0x90
	v_mad_u32_u24 v19, v96, s4, 0
	v_lshl_add_u32 v21, v34, 1, v19
	s_waitcnt vmcnt(0) lgkmcnt(0)
	ds_write_b16 v21, v20 offset:17408
	s_and_saveexec_b64 s[6:7], vcc
	s_cbranch_execz .LBB25_542
; %bb.541:
	v_readlane_b32 s4, v254, 10
	v_mul_hi_u32 v18, s4, v94
	v_readlane_b32 s5, v254, 11
	v_add_u32_e32 v18, v94, v18
	v_lshrrev_b32_e32 v18, s5, v18
	v_mul_lo_u32 v18, v18, s84
	v_sub_u32_e32 v18, v94, v18
	v_mad_i64_i32 v[20:21], s[4:5], v18, s90, 0
	v_lshlrev_b64 v[20:21], 1, v[20:21]
	v_add_co_u32_e64 v20, s[4:5], v16, v20
	v_addc_co_u32_e64 v21, s[4:5], v17, v21, s[4:5]
	flat_load_ushort v18, v[20:21]
.LBB25_542:
	s_or_b64 exec, exec, s[6:7]
	v_add_u32_e32 v19, 0x240, v19
	v_lshl_add_u32 v20, v34, 1, v19
	s_waitcnt vmcnt(0) lgkmcnt(0)
	ds_write_b16 v20, v18 offset:17408
	v_mov_b32_e32 v18, 0
	v_mov_b32_e32 v20, 0
	s_and_saveexec_b64 s[6:7], vcc
	s_cbranch_execz .LBB25_544
; %bb.543:
	v_readlane_b32 s4, v254, 10
	v_mul_hi_u32 v20, s4, v95
	v_readlane_b32 s5, v254, 11
	v_add_u32_e32 v20, v95, v20
	v_lshrrev_b32_e32 v20, s5, v20
	v_mul_lo_u32 v20, v20, s84
	v_sub_u32_e32 v20, v95, v20
	v_mad_i64_i32 v[20:21], s[4:5], v20, s90, 0
	v_lshlrev_b64 v[20:21], 1, v[20:21]
	v_add_co_u32_e64 v20, s[4:5], v16, v20
	v_addc_co_u32_e64 v21, s[4:5], v17, v21, s[4:5]
	flat_load_ushort v20, v[20:21]
.LBB25_544:
	s_or_b64 exec, exec, s[6:7]
	v_add_u32_e32 v19, 0x240, v19
	v_lshl_add_u32 v21, v34, 1, v19
	s_waitcnt vmcnt(0) lgkmcnt(0)
	ds_write_b16 v21, v20 offset:17408
	s_and_saveexec_b64 s[6:7], vcc
	s_cbranch_execz .LBB25_546
; %bb.545:
	v_readlane_b32 s4, v254, 10
	v_mul_hi_u32 v18, s4, v106
	v_readlane_b32 s5, v254, 11
	v_add_u32_e32 v18, v106, v18
	v_lshrrev_b32_e32 v18, s5, v18
	v_mul_lo_u32 v18, v18, s84
	v_sub_u32_e32 v18, v106, v18
	v_mad_i64_i32 v[20:21], s[4:5], v18, s90, 0
	v_lshlrev_b64 v[20:21], 1, v[20:21]
	v_add_co_u32_e64 v20, s[4:5], v16, v20
	v_addc_co_u32_e64 v21, s[4:5], v17, v21, s[4:5]
	flat_load_ushort v18, v[20:21]
.LBB25_546:
	s_or_b64 exec, exec, s[6:7]
	v_add_u32_e32 v19, 0x240, v19
	v_lshl_add_u32 v20, v34, 1, v19
	s_waitcnt vmcnt(0) lgkmcnt(0)
	ds_write_b16 v20, v18 offset:17408
	v_mov_b32_e32 v18, 0
	v_mov_b32_e32 v20, 0
	s_and_saveexec_b64 s[6:7], vcc
	s_cbranch_execz .LBB25_548
; %bb.547:
	v_readlane_b32 s4, v254, 10
	v_mul_hi_u32 v20, s4, v105
	v_readlane_b32 s5, v254, 11
	v_add_u32_e32 v20, v105, v20
	v_lshrrev_b32_e32 v20, s5, v20
	v_mul_lo_u32 v20, v20, s84
	v_sub_u32_e32 v20, v105, v20
	v_mad_i64_i32 v[20:21], s[4:5], v20, s90, 0
	v_lshlrev_b64 v[20:21], 1, v[20:21]
	v_add_co_u32_e64 v20, s[4:5], v16, v20
	v_addc_co_u32_e64 v21, s[4:5], v17, v21, s[4:5]
	flat_load_ushort v20, v[20:21]
.LBB25_548:
	s_or_b64 exec, exec, s[6:7]
	v_add_u32_e32 v19, 0x240, v19
	;; [unrolled: 44-line block ×3, first 2 shown]
	v_lshl_add_u32 v19, v34, 1, v19
	s_waitcnt vmcnt(0) lgkmcnt(0)
	ds_write_b16 v19, v20 offset:17408
	s_and_saveexec_b64 s[4:5], vcc
	s_cbranch_execz .LBB25_554
; %bb.553:
	v_readlane_b32 s6, v254, 10
	v_mul_hi_u32 v18, s6, v102
	v_readlane_b32 s7, v254, 11
	v_add_u32_e32 v18, v102, v18
	v_lshrrev_b32_e32 v18, s7, v18
	v_mul_lo_u32 v18, v18, s84
	v_sub_u32_e32 v18, v102, v18
	v_mad_i64_i32 v[20:21], s[6:7], v18, s90, 0
	v_lshlrev_b64 v[20:21], 1, v[20:21]
	v_add_co_u32_e32 v16, vcc, v16, v20
	v_addc_co_u32_e32 v17, vcc, v17, v21, vcc
	flat_load_ushort v18, v[16:17]
.LBB25_554:
	s_or_b64 exec, exec, s[4:5]
	s_waitcnt vmcnt(0) lgkmcnt(0)
	ds_write_b16 v19, v18 offset:17984
.LBB25_555:
	s_mul_hi_i32 s5, s14, s86
	s_mul_i32 s4, s14, s86
	v_lshl_add_u32 v18, v96, 2, v107
	s_lshl_b64 s[4:5], s[4:5], 2
	v_mul_lo_u32 v24, s86, v18
	s_add_u32 s8, s8, s4
	v_ashrrev_i32_e32 v25, 31, v24
	s_addc_u32 s9, s9, s5
	v_mov_b32_e32 v16, 0
	v_lshlrev_b64 v[20:21], 2, v[24:25]
	buffer_store_dword v16, off, s[0:3], 0
	buffer_store_dword v16, off, s[0:3], 0 offset:4
	buffer_store_dword v16, off, s[0:3], 0 offset:8
	;; [unrolled: 1-line block ×3, first 2 shown]
	v_and_b32_e32 v16, 60, v35
	v_mov_b32_e32 v17, s9
	v_add_co_u32_e32 v19, vcc, s8, v20
	v_lshlrev_b32_e32 v16, 2, v16
	v_addc_co_u32_e32 v17, vcc, v17, v21, vcc
	s_mov_b64 s[4:5], src_private_base
	v_add_co_u32_e32 v19, vcc, v19, v16
	v_addc_co_u32_e32 v17, vcc, 0, v17, vcc
	v_mov_b32_e32 v29, s5
	v_cmp_gt_i32_e64 s[10:11], s22, v18
	v_mov_b32_e32 v30, 0
	v_cndmask_b32_e64 v21, v29, v17, s[10:11]
	v_cndmask_b32_e64 v20, v30, v19, s[10:11]
	flat_load_dwordx4 v[20:23], v[20:21]
	s_lshl_b32 s4, s86, 4
	v_add_u32_e32 v24, s4, v24
	v_ashrrev_i32_e32 v25, 31, v24
	v_lshlrev_b64 v[26:27], 2, v[24:25]
	v_mov_b32_e32 v31, s9
	v_add_co_u32_e32 v25, vcc, s8, v26
	v_addc_co_u32_e32 v26, vcc, v31, v27, vcc
	v_mul_u32_u24_e32 v17, 0x110, v18
	v_add_u32_e32 v19, 16, v18
	v_add_co_u32_e32 v25, vcc, v25, v16
	v_add3_u32 v17, 0, v17, v16
	v_addc_co_u32_e32 v26, vcc, 0, v26, vcc
	v_cmp_gt_i32_e64 s[12:13], s22, v19
	v_cndmask_b32_e64 v27, v29, v26, s[12:13]
	v_cndmask_b32_e64 v26, v30, v25, s[12:13]
	v_add_u32_e32 v24, s4, v24
	v_ashrrev_i32_e32 v25, 31, v24
	v_add_u32_e32 v19, 32, v18
	v_cmp_gt_i32_e64 s[6:7], s22, v19
	v_add_u32_e32 v19, 48, v18
	s_waitcnt vmcnt(0) lgkmcnt(0)
	ds_write_b128 v17, v[20:23]
	flat_load_dwordx4 v[20:23], v[26:27]
	v_lshlrev_b64 v[26:27], 2, v[24:25]
	v_add_co_u32_e32 v25, vcc, s8, v26
	v_addc_co_u32_e32 v26, vcc, v31, v27, vcc
	v_add_co_u32_e32 v25, vcc, v25, v16
	v_addc_co_u32_e32 v26, vcc, 0, v26, vcc
	v_cndmask_b32_e64 v27, v29, v26, s[6:7]
	v_cndmask_b32_e64 v26, v30, v25, s[6:7]
	v_add_u32_e32 v24, s4, v24
	v_ashrrev_i32_e32 v25, 31, v24
	v_lshlrev_b64 v[24:25], 2, v[24:25]
	v_add_co_u32_e32 v24, vcc, s8, v24
	v_cmp_gt_i32_e64 s[4:5], s22, v19
	v_add_u32_e32 v19, 0, v100
	s_mov_b32 s8, 0x3f200000
	s_waitcnt vmcnt(0) lgkmcnt(0)
	ds_write_b128 v17, v[20:23] offset:4352
	flat_load_dwordx4 v[20:23], v[26:27]
	v_mov_b32_e32 v26, s9
	v_addc_co_u32_e32 v25, vcc, v26, v25, vcc
	v_add_co_u32_e32 v24, vcc, v24, v16
	v_addc_co_u32_e32 v25, vcc, 0, v25, vcc
	v_cndmask_b32_e64 v25, v29, v25, s[4:5]
	v_cndmask_b32_e64 v24, v30, v24, s[4:5]
	s_waitcnt vmcnt(0) lgkmcnt(0)
	ds_write_b128 v17, v[20:23] offset:8704
	flat_load_dwordx4 v[22:25], v[24:25]
	v_and_b32_e32 v20, 16, v97
	v_mul_u32_u24_e32 v21, 0x110, v20
	v_add3_u32 v19, v19, v101, v21
	v_add_u32_e32 v21, 0x2000, v19
	s_waitcnt vmcnt(0) lgkmcnt(0)
	ds_write_b128 v17, v[22:25] offset:13056
	s_waitcnt lgkmcnt(0)
	s_barrier
	ds_read2_b64 v[22:25], v19 offset1:4
	ds_read2_b64 v[40:43], v21 offset0:64 offset1:68
	s_waitcnt lgkmcnt(1)
	v_mfma_f32_16x16x16f16 v[36:39], v[22:23], v[12:13], 0
	s_waitcnt lgkmcnt(0)
	v_mfma_f32_16x16x16f16 v[44:47], v[40:41], v[12:13], 0
	v_mfma_f32_16x16x16f16 v[22:25], v[24:25], v[14:15], v[36:39]
	;; [unrolled: 1-line block ×3, first 2 shown]
	s_nop 6
	ds_read2_b64 v[36:39], v19 offset0:8 offset1:12
	ds_read2_b64 v[40:43], v21 offset0:72 offset1:76
	s_waitcnt lgkmcnt(1)
	v_mfma_f32_16x16x16f16 v[22:25], v[36:37], v[8:9], v[22:25]
	s_waitcnt lgkmcnt(0)
	v_mfma_f32_16x16x16f16 v[12:15], v[40:41], v[8:9], v[12:15]
	v_mfma_f32_16x16x16f16 v[22:25], v[38:39], v[10:11], v[22:25]
	ds_read2_b64 v[36:39], v21 offset0:80 offset1:84
	v_mfma_f32_16x16x16f16 v[8:11], v[42:43], v[10:11], v[12:15]
	s_nop 7
	ds_read2_b64 v[12:15], v19 offset0:16 offset1:20
	s_waitcnt lgkmcnt(0)
	v_mfma_f32_16x16x16f16 v[22:25], v[12:13], v[4:5], v[22:25]
	v_mfma_f32_16x16x16f16 v[8:11], v[36:37], v[4:5], v[8:11]
	;; [unrolled: 1-line block ×4, first 2 shown]
	s_nop 7
	ds_read2_b64 v[22:25], v21 offset0:88 offset1:92
	ds_read2_b64 v[8:11], v19 offset0:24 offset1:28
	s_waitcnt lgkmcnt(0)
	v_mfma_f32_16x16x16f16 v[12:15], v[8:9], v[0:1], v[12:15]
	s_barrier
	v_mfma_f32_16x16x16f16 v[36:39], v[22:23], v[0:1], v[4:7]
	v_mfma_f32_16x16x16f16 v[4:7], v[10:11], v[2:3], v[12:15]
                                        ; implicit-def: $vgpr11
	v_mfma_f32_16x16x16f16 v[0:3], v[24:25], v[2:3], v[36:39]
	s_nop 7
	s_nop 1
	v_cmp_nlt_f32_e64 s[8:9], |v4|, s8
	s_and_saveexec_b64 s[18:19], s[8:9]
	s_xor_b64 s[8:9], exec, s[18:19]
	s_cbranch_execz .LBB25_557
; %bb.556:
	v_add_f32_e64 v8, |v4|, |v4|
	v_mul_f32_e32 v9, 0x3fb8aa3b, v8
	s_mov_b32 s15, 0x3fb8aa3b
	v_rndne_f32_e32 v10, v9
	v_sub_f32_e32 v11, v9, v10
	v_fma_f32 v9, v8, s15, -v9
	v_fmac_f32_e32 v9, 0x32a5705f, v8
	v_add_f32_e32 v9, v11, v9
	v_exp_f32_e32 v9, v9
	v_cvt_i32_f32_e32 v10, v10
	s_mov_b32 s15, 0xc2ce8ed0
	v_cmp_ngt_f32_e32 vcc, s15, v8
	s_mov_b32 s15, 0x42b17218
	v_ldexp_f32 v9, v9, v10
	v_cndmask_b32_e32 v9, 0, v9, vcc
	v_mov_b32_e32 v10, 0x7f800000
	v_cmp_nlt_f32_e32 vcc, s15, v8
	v_cndmask_b32_e32 v8, v10, v9, vcc
	v_add_f32_e32 v8, 1.0, v8
	v_rcp_f32_e32 v8, v8
	v_fma_f32 v11, v8, -2.0, 1.0
.LBB25_557:
	s_andn2_saveexec_b64 s[8:9], s[8:9]
; %bb.558:
	v_mul_f32_e32 v8, v4, v4
	v_mov_b32_e32 v9, 0x3ca908c9
	v_fmac_f32_e32 v9, 0xbbbac73d, v8
	v_mov_b32_e32 v10, 0xbd5c1c4e
	v_fmac_f32_e32 v10, v8, v9
	;; [unrolled: 2-line block ×4, first 2 shown]
	v_mul_f32_e64 v9, |v4|, v10
	v_fma_f32 v11, v8, v9, |v4|
; %bb.559:
	s_or_b64 exec, exec, s[8:9]
	s_mov_b32 s8, 0x3f200000
	v_cmp_nlt_f32_e64 s[8:9], |v5|, s8
                                        ; implicit-def: $vgpr13
	s_and_saveexec_b64 s[18:19], s[8:9]
	s_xor_b64 s[8:9], exec, s[18:19]
	s_cbranch_execz .LBB25_561
; %bb.560:
	v_add_f32_e64 v8, |v5|, |v5|
	v_mul_f32_e32 v9, 0x3fb8aa3b, v8
	s_mov_b32 s15, 0x3fb8aa3b
	v_rndne_f32_e32 v10, v9
	v_sub_f32_e32 v12, v9, v10
	v_fma_f32 v9, v8, s15, -v9
	v_fmac_f32_e32 v9, 0x32a5705f, v8
	v_add_f32_e32 v9, v12, v9
	v_exp_f32_e32 v9, v9
	v_cvt_i32_f32_e32 v10, v10
	s_mov_b32 s15, 0xc2ce8ed0
	v_cmp_ngt_f32_e32 vcc, s15, v8
	s_mov_b32 s15, 0x42b17218
	v_ldexp_f32 v9, v9, v10
	v_cndmask_b32_e32 v9, 0, v9, vcc
	v_mov_b32_e32 v10, 0x7f800000
	v_cmp_nlt_f32_e32 vcc, s15, v8
	v_cndmask_b32_e32 v8, v10, v9, vcc
	v_add_f32_e32 v8, 1.0, v8
	v_rcp_f32_e32 v8, v8
	v_fma_f32 v13, v8, -2.0, 1.0
.LBB25_561:
	s_andn2_saveexec_b64 s[8:9], s[8:9]
; %bb.562:
	v_mul_f32_e32 v8, v5, v5
	v_mov_b32_e32 v9, 0x3ca908c9
	v_fmac_f32_e32 v9, 0xbbbac73d, v8
	v_mov_b32_e32 v10, 0xbd5c1c4e
	v_fmac_f32_e32 v10, v8, v9
	;; [unrolled: 2-line block ×4, first 2 shown]
	v_mul_f32_e64 v9, |v5|, v10
	v_fma_f32 v13, v8, v9, |v5|
; %bb.563:
	s_or_b64 exec, exec, s[8:9]
	s_mov_b32 s8, 0x3f200000
	v_cmp_nlt_f32_e64 s[8:9], |v6|, s8
                                        ; implicit-def: $vgpr14
	s_and_saveexec_b64 s[18:19], s[8:9]
	s_xor_b64 s[8:9], exec, s[18:19]
	s_cbranch_execz .LBB25_565
; %bb.564:
	v_add_f32_e64 v8, |v6|, |v6|
	v_mul_f32_e32 v9, 0x3fb8aa3b, v8
	s_mov_b32 s15, 0x3fb8aa3b
	v_rndne_f32_e32 v10, v9
	v_sub_f32_e32 v12, v9, v10
	v_fma_f32 v9, v8, s15, -v9
	v_fmac_f32_e32 v9, 0x32a5705f, v8
	v_add_f32_e32 v9, v12, v9
	v_exp_f32_e32 v9, v9
	v_cvt_i32_f32_e32 v10, v10
	s_mov_b32 s15, 0xc2ce8ed0
	v_cmp_ngt_f32_e32 vcc, s15, v8
	s_mov_b32 s15, 0x42b17218
	v_ldexp_f32 v9, v9, v10
	v_cndmask_b32_e32 v9, 0, v9, vcc
	v_mov_b32_e32 v10, 0x7f800000
	v_cmp_nlt_f32_e32 vcc, s15, v8
	v_cndmask_b32_e32 v8, v10, v9, vcc
	v_add_f32_e32 v8, 1.0, v8
	v_rcp_f32_e32 v8, v8
	v_fma_f32 v14, v8, -2.0, 1.0
.LBB25_565:
	s_andn2_saveexec_b64 s[8:9], s[8:9]
; %bb.566:
	v_mul_f32_e32 v8, v6, v6
	v_mov_b32_e32 v9, 0x3ca908c9
	v_fmac_f32_e32 v9, 0xbbbac73d, v8
	v_mov_b32_e32 v10, 0xbd5c1c4e
	v_fmac_f32_e32 v10, v8, v9
	;; [unrolled: 2-line block ×4, first 2 shown]
	v_mul_f32_e64 v9, |v6|, v10
	v_fma_f32 v14, v8, v9, |v6|
; %bb.567:
	s_or_b64 exec, exec, s[8:9]
	s_mov_b32 s8, 0x3f200000
	v_cmp_nlt_f32_e64 s[8:9], |v7|, s8
                                        ; implicit-def: $vgpr15
	s_and_saveexec_b64 s[18:19], s[8:9]
	s_xor_b64 s[8:9], exec, s[18:19]
	s_cbranch_execz .LBB25_569
; %bb.568:
	v_add_f32_e64 v8, |v7|, |v7|
	v_mul_f32_e32 v9, 0x3fb8aa3b, v8
	s_mov_b32 s15, 0x3fb8aa3b
	v_rndne_f32_e32 v10, v9
	v_sub_f32_e32 v12, v9, v10
	v_fma_f32 v9, v8, s15, -v9
	v_fmac_f32_e32 v9, 0x32a5705f, v8
	v_add_f32_e32 v9, v12, v9
	v_exp_f32_e32 v9, v9
	v_cvt_i32_f32_e32 v10, v10
	s_mov_b32 s15, 0xc2ce8ed0
	v_cmp_ngt_f32_e32 vcc, s15, v8
	s_mov_b32 s15, 0x42b17218
	v_ldexp_f32 v9, v9, v10
	v_cndmask_b32_e32 v9, 0, v9, vcc
	v_mov_b32_e32 v10, 0x7f800000
	v_cmp_nlt_f32_e32 vcc, s15, v8
	v_cndmask_b32_e32 v8, v10, v9, vcc
	v_add_f32_e32 v8, 1.0, v8
	v_rcp_f32_e32 v8, v8
	v_fma_f32 v15, v8, -2.0, 1.0
.LBB25_569:
	s_andn2_saveexec_b64 s[8:9], s[8:9]
; %bb.570:
	v_mul_f32_e32 v8, v7, v7
	v_mov_b32_e32 v9, 0x3ca908c9
	v_fmac_f32_e32 v9, 0xbbbac73d, v8
	v_mov_b32_e32 v10, 0xbd5c1c4e
	v_fmac_f32_e32 v10, v8, v9
	;; [unrolled: 2-line block ×4, first 2 shown]
	v_mul_f32_e64 v9, |v7|, v10
	v_fma_f32 v15, v8, v9, |v7|
; %bb.571:
	s_or_b64 exec, exec, s[8:9]
	s_mov_b32 s8, 0x3f200000
	v_cmp_nlt_f32_e64 s[8:9], |v0|, s8
                                        ; implicit-def: $vgpr8
	s_and_saveexec_b64 s[18:19], s[8:9]
	s_xor_b64 s[8:9], exec, s[18:19]
	s_cbranch_execz .LBB25_573
; %bb.572:
	v_add_f32_e64 v8, |v0|, |v0|
	v_mul_f32_e32 v9, 0x3fb8aa3b, v8
	s_mov_b32 s15, 0x3fb8aa3b
	v_rndne_f32_e32 v10, v9
	v_sub_f32_e32 v12, v9, v10
	v_fma_f32 v9, v8, s15, -v9
	v_fmac_f32_e32 v9, 0x32a5705f, v8
	v_add_f32_e32 v9, v12, v9
	v_exp_f32_e32 v9, v9
	v_cvt_i32_f32_e32 v10, v10
	s_mov_b32 s15, 0xc2ce8ed0
	v_cmp_ngt_f32_e32 vcc, s15, v8
	s_mov_b32 s15, 0x42b17218
	v_ldexp_f32 v9, v9, v10
	v_cndmask_b32_e32 v9, 0, v9, vcc
	v_mov_b32_e32 v10, 0x7f800000
	v_cmp_nlt_f32_e32 vcc, s15, v8
	v_cndmask_b32_e32 v8, v10, v9, vcc
	v_add_f32_e32 v8, 1.0, v8
	v_rcp_f32_e32 v8, v8
	v_fma_f32 v8, v8, -2.0, 1.0
.LBB25_573:
	s_andn2_saveexec_b64 s[8:9], s[8:9]
; %bb.574:
	v_mul_f32_e32 v8, v0, v0
	v_mov_b32_e32 v9, 0x3ca908c9
	v_fmac_f32_e32 v9, 0xbbbac73d, v8
	v_mov_b32_e32 v10, 0xbd5c1c4e
	v_fmac_f32_e32 v10, v8, v9
	;; [unrolled: 2-line block ×4, first 2 shown]
	v_mul_f32_e64 v9, |v0|, v10
	v_fma_f32 v8, v8, v9, |v0|
; %bb.575:
	s_or_b64 exec, exec, s[8:9]
	s_mov_b32 s8, 0x3f200000
	v_cmp_nlt_f32_e64 s[8:9], |v1|, s8
                                        ; implicit-def: $vgpr9
	s_and_saveexec_b64 s[18:19], s[8:9]
	s_xor_b64 s[8:9], exec, s[18:19]
	s_cbranch_execz .LBB25_577
; %bb.576:
	v_add_f32_e64 v9, |v1|, |v1|
	v_mul_f32_e32 v10, 0x3fb8aa3b, v9
	s_mov_b32 s15, 0x3fb8aa3b
	v_rndne_f32_e32 v12, v10
	v_sub_f32_e32 v19, v10, v12
	v_fma_f32 v10, v9, s15, -v10
	v_fmac_f32_e32 v10, 0x32a5705f, v9
	v_add_f32_e32 v10, v19, v10
	v_exp_f32_e32 v10, v10
	v_cvt_i32_f32_e32 v12, v12
	s_mov_b32 s15, 0xc2ce8ed0
	v_cmp_ngt_f32_e32 vcc, s15, v9
	s_mov_b32 s15, 0x42b17218
	v_ldexp_f32 v10, v10, v12
	v_cndmask_b32_e32 v10, 0, v10, vcc
	v_mov_b32_e32 v12, 0x7f800000
	v_cmp_nlt_f32_e32 vcc, s15, v9
	v_cndmask_b32_e32 v9, v12, v10, vcc
	v_add_f32_e32 v9, 1.0, v9
	v_rcp_f32_e32 v9, v9
	v_fma_f32 v9, v9, -2.0, 1.0
.LBB25_577:
	s_andn2_saveexec_b64 s[8:9], s[8:9]
; %bb.578:
	v_mul_f32_e32 v9, v1, v1
	v_mov_b32_e32 v10, 0x3ca908c9
	v_fmac_f32_e32 v10, 0xbbbac73d, v9
	v_mov_b32_e32 v12, 0xbd5c1c4e
	v_fmac_f32_e32 v12, v9, v10
	;; [unrolled: 2-line block ×4, first 2 shown]
	v_mul_f32_e64 v10, |v1|, v12
	v_fma_f32 v9, v9, v10, |v1|
; %bb.579:
	s_or_b64 exec, exec, s[8:9]
	s_mov_b32 s8, 0x3f200000
	v_cmp_nlt_f32_e64 s[8:9], |v2|, s8
                                        ; implicit-def: $vgpr10
	s_and_saveexec_b64 s[18:19], s[8:9]
	s_xor_b64 s[8:9], exec, s[18:19]
	s_cbranch_execz .LBB25_581
; %bb.580:
	v_add_f32_e64 v10, |v2|, |v2|
	v_mul_f32_e32 v12, 0x3fb8aa3b, v10
	s_mov_b32 s15, 0x3fb8aa3b
	v_rndne_f32_e32 v19, v12
	v_sub_f32_e32 v21, v12, v19
	v_fma_f32 v12, v10, s15, -v12
	v_fmac_f32_e32 v12, 0x32a5705f, v10
	v_add_f32_e32 v12, v21, v12
	v_exp_f32_e32 v12, v12
	v_cvt_i32_f32_e32 v19, v19
	s_mov_b32 s15, 0xc2ce8ed0
	v_cmp_ngt_f32_e32 vcc, s15, v10
	s_mov_b32 s15, 0x42b17218
	v_ldexp_f32 v12, v12, v19
	v_cndmask_b32_e32 v12, 0, v12, vcc
	v_mov_b32_e32 v19, 0x7f800000
	v_cmp_nlt_f32_e32 vcc, s15, v10
	v_cndmask_b32_e32 v10, v19, v12, vcc
	v_add_f32_e32 v10, 1.0, v10
	v_rcp_f32_e32 v10, v10
	v_fma_f32 v10, v10, -2.0, 1.0
.LBB25_581:
	s_andn2_saveexec_b64 s[8:9], s[8:9]
; %bb.582:
	v_mul_f32_e32 v10, v2, v2
	v_mov_b32_e32 v12, 0x3ca908c9
	v_fmac_f32_e32 v12, 0xbbbac73d, v10
	v_mov_b32_e32 v19, 0xbd5c1c4e
	v_fmac_f32_e32 v19, v10, v12
	v_mov_b32_e32 v12, 0x3e088382
	v_fmac_f32_e32 v12, v10, v19
	v_mov_b32_e32 v19, 0xbeaaaa99
	v_fmac_f32_e32 v19, v10, v12
	v_mul_f32_e64 v12, |v2|, v19
	v_fma_f32 v10, v10, v12, |v2|
; %bb.583:
	s_or_b64 exec, exec, s[8:9]
	s_mov_b32 s8, 0x3f200000
	v_cmp_nlt_f32_e64 s[8:9], |v3|, s8
                                        ; implicit-def: $vgpr19
	s_and_saveexec_b64 s[18:19], s[8:9]
	s_xor_b64 s[8:9], exec, s[18:19]
	s_cbranch_execz .LBB25_585
; %bb.584:
	v_add_f32_e64 v12, |v3|, |v3|
	v_mul_f32_e32 v19, 0x3fb8aa3b, v12
	s_mov_b32 s15, 0x3fb8aa3b
	v_rndne_f32_e32 v21, v19
	v_sub_f32_e32 v22, v19, v21
	v_fma_f32 v19, v12, s15, -v19
	v_fmac_f32_e32 v19, 0x32a5705f, v12
	v_add_f32_e32 v19, v22, v19
	v_exp_f32_e32 v19, v19
	v_cvt_i32_f32_e32 v21, v21
	s_mov_b32 s15, 0xc2ce8ed0
	v_cmp_ngt_f32_e32 vcc, s15, v12
	s_mov_b32 s15, 0x42b17218
	v_ldexp_f32 v19, v19, v21
	v_cndmask_b32_e32 v19, 0, v19, vcc
	v_mov_b32_e32 v21, 0x7f800000
	v_cmp_nlt_f32_e32 vcc, s15, v12
	v_cndmask_b32_e32 v12, v21, v19, vcc
	v_add_f32_e32 v12, 1.0, v12
	v_rcp_f32_e32 v12, v12
	v_fma_f32 v19, v12, -2.0, 1.0
.LBB25_585:
	s_andn2_saveexec_b64 s[8:9], s[8:9]
; %bb.586:
	v_mul_f32_e32 v12, v3, v3
	v_mov_b32_e32 v19, 0x3ca908c9
	v_fmac_f32_e32 v19, 0xbbbac73d, v12
	v_mov_b32_e32 v21, 0xbd5c1c4e
	v_fmac_f32_e32 v21, v12, v19
	;; [unrolled: 2-line block ×4, first 2 shown]
	v_mul_f32_e64 v19, |v3|, v21
	v_fma_f32 v19, v12, v19, |v3|
; %bb.587:
	s_or_b64 exec, exec, s[8:9]
	s_brev_b32 s8, -2
	v_bfi_b32 v0, s8, v8, v0
	v_mul_f32_e32 v8, s97, v0
	v_bfi_b32 v0, s8, v9, v1
	v_mul_f32_e32 v9, s97, v0
	;; [unrolled: 2-line block ×8, first 2 shown]
	s_and_b64 vcc, exec, s[16:17]
	s_cbranch_vccz .LBB25_589
; %bb.588:
	v_lshrrev_b32_e32 v27, 2, v34
	v_and_b32_e32 v26, 0xfc, v27
	v_add_u16_e32 v0, v20, v26
	v_add_u32_e32 v24, v20, v26
	s_movk_i32 s8, 0x90
	v_lshrrev_b16_e32 v0, 1, v0
	v_mad_u32_u24 v2, v92, s8, 0
	v_lshlrev_b32_e32 v0, 2, v0
	s_movk_i32 s8, 0x4400
	v_add_u32_e32 v22, 32, v24
	v_add_u32_e32 v23, 34, v24
	v_add3_u32 v0, v2, v0, s8
	v_lshl_add_u32 v3, v22, 1, v2
	v_lshl_add_u32 v2, v23, 1, v2
	ds_read2_b32 v[0:1], v0 offset1:1
	ds_read_b32 v3, v3 offset:17408
	ds_read_b32 v2, v2 offset:17408
	s_mov_b64 s[8:9], 0
	s_waitcnt lgkmcnt(2)
	v_cvt_f32_f16_e32 v4, v0
	v_cvt_f32_f16_sdwa v5, v0 dst_sel:DWORD dst_unused:UNUSED_PAD src0_sel:WORD_1
	v_cvt_f32_f16_e32 v0, v1
	v_cvt_f32_f16_sdwa v1, v1 dst_sel:DWORD dst_unused:UNUSED_PAD src0_sel:WORD_1
	s_waitcnt lgkmcnt(1)
	v_cvt_f32_f16_e32 v30, v3
	s_waitcnt lgkmcnt(0)
	v_cvt_f32_f16_e32 v6, v2
	v_cvt_f32_f16_sdwa v7, v2 dst_sel:DWORD dst_unused:UNUSED_PAD src0_sel:WORD_1
	v_cvt_f32_f16_sdwa v31, v3 dst_sel:DWORD dst_unused:UNUSED_PAD src0_sel:WORD_1
	v_pk_fma_f32 v[2:3], v[32:33], v[0:1], v[14:15] op_sel_hi:[0,1,1]
	v_pk_fma_f32 v[0:1], v[32:33], v[4:5], v[12:13] op_sel_hi:[0,1,1]
	;; [unrolled: 1-line block ×4, first 2 shown]
	s_branch .LBB25_590
.LBB25_589:
	s_mov_b64 s[8:9], -1
                                        ; implicit-def: $vgpr0_vgpr1_vgpr2_vgpr3
                                        ; implicit-def: $vgpr4_vgpr5_vgpr6_vgpr7
                                        ; implicit-def: $vgpr27
                                        ; implicit-def: $vgpr26
                                        ; implicit-def: $vgpr24
                                        ; implicit-def: $vgpr22
                                        ; implicit-def: $vgpr23
.LBB25_590:
	v_add_u32_e32 v25, 0x1100, v17
	v_add_u32_e32 v21, 0x2200, v17
	s_andn2_b64 vcc, exec, s[8:9]
	v_add_u32_e32 v19, 0x3300, v17
	s_cbranch_vccnz .LBB25_592
; %bb.591:
	v_and_b32_e32 v26, 0xfc, v88
	v_add_u32_e32 v24, v20, v26
	v_pk_mov_b32 v[4:5], v[8:9], v[8:9] op_sel:[0,1]
	v_pk_mov_b32 v[0:1], v[12:13], v[12:13] op_sel:[0,1]
	v_add_u32_e32 v22, 32, v24
	v_add_u32_e32 v23, 34, v24
	v_mov_b32_e32 v27, v88
	v_pk_mov_b32 v[6:7], v[10:11], v[10:11] op_sel:[0,1]
	v_pk_mov_b32 v[2:3], v[14:15], v[14:15] op_sel:[0,1]
.LBB25_592:
	s_mul_hi_i32 s9, s14, s80
	s_mul_i32 s8, s14, s80
	s_lshl_b64 s[8:9], s[8:9], 2
	v_mul_lo_u32 v14, s80, v18
	s_add_u32 s14, s33, s8
	v_ashrrev_i32_e32 v15, 31, v14
	s_addc_u32 s15, s46, s9
	v_lshlrev_b64 v[8:9], 2, v[14:15]
	v_mov_b32_e32 v10, s15
	v_add_co_u32_e32 v8, vcc, s14, v8
	v_addc_co_u32_e32 v9, vcc, v10, v9, vcc
	s_mov_b64 s[8:9], src_private_base
	v_add_co_u32_e32 v8, vcc, v8, v16
	v_addc_co_u32_e32 v9, vcc, 0, v9, vcc
	v_mov_b32_e32 v20, s9
	v_mov_b32_e32 v30, 0
	;; [unrolled: 1-line block ×3, first 2 shown]
	v_cndmask_b32_e64 v9, v20, v9, s[10:11]
	v_cndmask_b32_e64 v8, v30, v8, s[10:11]
	buffer_store_dword v10, off, s[0:3], 0
	buffer_store_dword v10, off, s[0:3], 0 offset:4
	buffer_store_dword v10, off, s[0:3], 0 offset:8
	;; [unrolled: 1-line block ×3, first 2 shown]
	flat_load_dwordx4 v[8:11], v[8:9]
	s_lshl_b32 s11, s80, 4
	v_add_u32_e32 v36, s11, v14
	v_ashrrev_i32_e32 v37, 31, v36
	v_lshlrev_b64 v[38:39], 2, v[36:37]
	v_mov_b32_e32 v14, s15
	v_add_co_u32_e32 v37, vcc, s14, v38
	v_addc_co_u32_e32 v14, vcc, v14, v39, vcc
	v_add_co_u32_e32 v37, vcc, v37, v16
	v_addc_co_u32_e32 v14, vcc, 0, v14, vcc
	v_cndmask_b32_e64 v39, v20, v14, s[12:13]
	v_cndmask_b32_e64 v38, v30, v37, s[12:13]
	v_mbcnt_hi_u32_b32 v53, -1, v74
	v_add_f32_e32 v12, 0x40051340, v0
	v_max_f32_e32 v13, v28, v28
	v_and_b32_e32 v56, 64, v53
	v_add_u32_e32 v42, 1, v24
	v_add_u32_e32 v44, 2, v24
	;; [unrolled: 1-line block ×5, first 2 shown]
	v_max_f32_e32 v55, v13, v12
	v_xor_b32_e32 v57, 32, v53
	v_cmp_gt_u32_e64 s[18:19], s22, v24
	v_add_u32_e32 v24, 64, v56
	v_xor_b32_e32 v58, 16, v53
	v_cmp_lt_i32_e32 vcc, v57, v24
	v_add_f32_e32 v32, 0x40051340, v1
	v_cmp_gt_u32_e64 s[16:17], s22, v42
	v_add_f32_e32 v43, 0x40051340, v2
	v_cndmask_b32_e64 v56, v2, v2, s[16:17]
	v_add_u32_e32 v2, s11, v36
	v_add_f32_e32 v46, 0x40051340, v3
	v_add_u32_e32 v42, s11, v2
	v_cmp_gt_u32_e64 s[12:13], s22, v44
	v_add_f32_e32 v47, 0x40051340, v4
	s_mov_b32 s10, 0
	v_mov_b32_e32 v13, s10
	v_mov_b32_e32 v12, s10
	;; [unrolled: 1-line block ×5, first 2 shown]
	v_add_f32_e32 v49, 0x40051340, v5
	v_cmp_gt_u32_e64 s[20:21], s22, v48
	v_add_f32_e32 v50, 0x40051340, v6
	v_add_f32_e32 v52, 0x40051340, v7
	s_mov_b32 s27, 0x3fb8aa3b
	s_mov_b32 s26, 0xc2ce8ed0
	;; [unrolled: 1-line block ×3, first 2 shown]
	v_mov_b32_e32 v54, 0x7f800000
	s_mov_b32 s24, 0xc1a00000
	v_mul_u32_u24_e32 v29, 0x88, v26
	s_movk_i32 s9, 0x220
	v_mul_u32_u24_e32 v26, 0x110, v26
	v_or_b32_e32 v27, 3, v27
	v_mul_i32_i24_e32 v27, 0x110, v27
	s_mov_b32 s8, 0x5040100
	s_waitcnt vmcnt(0) lgkmcnt(0)
	ds_write_b128 v17, v[8:11]
	flat_load_dwordx4 v[38:41], v[38:39]
	v_cndmask_b32_e64 v17, v28, v55, s[18:19]
	v_max_f32_e32 v37, v17, v17
	v_cndmask_b32_e32 v55, v53, v57, vcc
	v_cmp_lt_i32_e32 vcc, v58, v24
	v_cndmask_b32_e32 v24, v53, v58, vcc
	v_max_f32_e32 v53, v37, v32
	v_cndmask_b32_e64 v17, v17, v53, s[16:17]
	v_cndmask_b32_e64 v53, v3, v3, s[16:17]
	v_max_f32_e32 v36, v17, v17
	v_ashrrev_i32_e32 v3, 31, v2
	v_max_f32_e32 v36, v36, v43
	v_lshlrev_b64 v[2:3], 2, v[2:3]
	v_lshlrev_b32_e32 v37, 2, v24
	v_mov_b32_e32 v24, s15
	v_cndmask_b32_e64 v17, v17, v36, s[12:13]
	v_add_co_u32_e32 v36, vcc, s14, v2
	v_addc_co_u32_e32 v24, vcc, v24, v3, vcc
	v_ashrrev_i32_e32 v43, 31, v42
	v_add_co_u32_e32 v36, vcc, v36, v16
	v_lshlrev_b64 v[2:3], 2, v[42:43]
	v_max_f32_e32 v42, v17, v17
	v_addc_co_u32_e32 v24, vcc, 0, v24, vcc
	v_lshlrev_b32_e32 v32, 2, v55
	v_mov_b32_e32 v55, s15
	v_add_co_u32_e32 v43, vcc, s14, v2
	v_max_f32_e32 v42, v42, v46
	v_cmp_gt_u32_e64 s[14:15], s22, v45
	v_cndmask_b32_e64 v17, v17, v42, s[14:15]
	v_addc_co_u32_e32 v44, vcc, v55, v3, vcc
	v_cndmask_b32_e64 v3, v20, v24, s[6:7]
	v_max_f32_e32 v24, v17, v17
	v_mov_b32_e32 v10, s10
	v_mov_b32_e32 v11, s10
	v_max_f32_e32 v24, v24, v47
	v_cmp_gt_u32_e64 s[10:11], s22, v22
	v_cndmask_b32_e64 v17, v17, v24, s[10:11]
	v_max_f32_e32 v22, v17, v17
	v_max_f32_e32 v22, v22, v49
	v_cndmask_b32_e64 v17, v17, v22, s[20:21]
	v_max_f32_e32 v22, v17, v17
	v_cndmask_b32_e64 v2, v30, v36, s[6:7]
	v_max_f32_e32 v22, v22, v50
	v_cmp_gt_u32_e64 s[6:7], s22, v23
	v_cndmask_b32_e64 v17, v17, v22, s[6:7]
	v_max_f32_e32 v22, v17, v17
	v_max_f32_e32 v22, v22, v52
	v_cmp_gt_u32_e32 vcc, s22, v51
	v_cndmask_b32_e32 v22, v17, v22, vcc
	ds_bpermute_b32 v23, v32, v22
	v_add_co_u32_e64 v16, s[22:23], v43, v16
	v_addc_co_u32_e64 v17, s[22:23], 0, v44, s[22:23]
	v_cndmask_b32_e64 v17, v20, v17, s[4:5]
	v_max_f32_e32 v20, v22, v22
	s_waitcnt lgkmcnt(0)
	v_max_f32_e32 v22, v23, v23
	v_max_f32_e32 v20, v20, v22
	v_cndmask_b32_e64 v6, v6, v6, s[10:11]
	v_cndmask_b32_e64 v16, v30, v16, s[4:5]
	;; [unrolled: 1-line block ×3, first 2 shown]
	v_or_b32_e32 v8, v29, v70
	v_mad_u32_u24 v9, v73, s9, 0
	v_lshlrev_b32_e32 v29, 1, v8
	v_add3_u32 v8, v9, v26, v72
	v_add3_u32 v14, v9, v27, v72
	v_add_u32_e32 v9, v9, v29
	s_waitcnt vmcnt(0)
	ds_write_b128 v25, v[38:41]
	flat_load_dwordx4 v[22:25], v[2:3]
	ds_bpermute_b32 v2, v37, v20
	v_cndmask_b32_e64 v3, v7, v7, s[10:11]
	s_waitcnt lgkmcnt(0)
	v_max_f32_e32 v2, v2, v2
	v_max_f32_e32 v36, v20, v2
	v_sub_f32_e32 v0, v0, v36
	v_sub_f32_e32 v1, v1, v36
	;; [unrolled: 1-line block ×7, first 2 shown]
	v_mul_f32_e32 v28, 0x3fb8aa3b, v0
	v_mul_f32_e32 v30, 0x3fb8aa3b, v1
	;; [unrolled: 1-line block ×7, first 2 shown]
	v_fma_f32 v45, v0, s27, -v28
	v_rndne_f32_e32 v46, v28
	v_fma_f32 v47, v1, s27, -v30
	v_rndne_f32_e32 v48, v30
	;; [unrolled: 2-line block ×7, first 2 shown]
	v_fmac_f32_e32 v45, 0x32a5705f, v0
	v_sub_f32_e32 v28, v28, v46
	v_fmac_f32_e32 v47, 0x32a5705f, v1
	v_sub_f32_e32 v30, v30, v48
	v_fmac_f32_e32 v49, 0x32a5705f, v2
	v_sub_f32_e32 v38, v38, v50
	v_fmac_f32_e32 v51, 0x32a5705f, v7
	v_sub_f32_e32 v39, v39, v52
	v_fmac_f32_e32 v58, 0x32a5705f, v6
	v_sub_f32_e32 v42, v42, v59
	v_fmac_f32_e32 v60, 0x32a5705f, v3
	v_sub_f32_e32 v43, v43, v61
	v_fmac_f32_e32 v62, 0x32a5705f, v20
	v_sub_f32_e32 v44, v44, v63
	v_add_f32_e32 v28, v28, v45
	v_add_f32_e32 v30, v30, v47
	;; [unrolled: 1-line block ×7, first 2 shown]
	v_sub_f32_e32 v4, v4, v36
	v_sub_f32_e32 v5, v5, v36
	v_mul_f32_e32 v40, 0x3fb8aa3b, v4
	v_cvt_i32_f32_e32 v46, v46
	v_mul_f32_e32 v41, 0x3fb8aa3b, v5
	v_fma_f32 v53, v4, s27, -v40
	v_rndne_f32_e32 v55, v40
	v_cvt_i32_f32_e32 v48, v48
	v_fma_f32 v56, v5, s27, -v41
	v_rndne_f32_e32 v57, v41
	v_cvt_i32_f32_e32 v50, v50
	v_fmac_f32_e32 v53, 0x32a5705f, v4
	v_sub_f32_e32 v40, v40, v55
	v_cvt_i32_f32_e32 v52, v52
	v_fmac_f32_e32 v56, 0x32a5705f, v5
	v_sub_f32_e32 v41, v41, v57
	v_add_f32_e32 v40, v40, v53
	v_cvt_i32_f32_e32 v55, v55
	v_add_f32_e32 v41, v41, v56
	v_cmp_ngt_f32_e64 s[4:5], s26, v0
	v_cvt_i32_f32_e32 v57, v57
	v_cvt_i32_f32_e32 v59, v59
	;; [unrolled: 1-line block ×3, first 2 shown]
	s_waitcnt vmcnt(0)
	ds_write_b128 v21, v[22:25]
	flat_load_dwordx4 v[42:45], v[16:17]
	v_exp_f32_e32 v16, v28
	v_exp_f32_e32 v17, v30
	;; [unrolled: 1-line block ×5, first 2 shown]
	v_ldexp_f32 v16, v16, v46
	v_exp_f32_e32 v24, v41
	v_ldexp_f32 v17, v17, v48
	v_cndmask_b32_e64 v16, 0, v16, s[4:5]
	v_cmp_ngt_f32_e64 s[4:5], s26, v1
	v_exp_f32_e32 v25, v47
	v_ldexp_f32 v21, v21, v50
	v_cndmask_b32_e64 v17, 0, v17, s[4:5]
	v_cmp_ngt_f32_e64 s[4:5], s26, v2
	;; [unrolled: 4-line block ×3, first 2 shown]
	v_cvt_i32_f32_e32 v63, v63
	v_exp_f32_e32 v30, v51
	v_ldexp_f32 v23, v23, v55
	v_cndmask_b32_e64 v22, 0, v22, s[4:5]
	v_cmp_ngt_f32_e64 s[4:5], s26, v4
	v_ldexp_f32 v24, v24, v57
	v_cndmask_b32_e64 v23, 0, v23, s[4:5]
	v_cmp_ngt_f32_e64 s[4:5], s26, v5
	;; [unrolled: 3-line block ×5, first 2 shown]
	v_cndmask_b32_e64 v30, 0, v30, s[4:5]
	v_cmp_nlt_f32_e64 s[4:5], s25, v0
	v_cndmask_b32_e64 v0, v54, v16, s[4:5]
	v_cmp_nlt_f32_e64 s[4:5], s25, v1
	;; [unrolled: 2-line block ×9, first 2 shown]
	v_cndmask_b32_e64 v2, v54, v30, s[4:5]
	v_cmp_le_f32_e64 s[4:5], s24, v20
	v_cndmask_b32_e64 v38, 0, v2, s[4:5]
	v_cndmask_b32_e64 v0, 0, v0, s[18:19]
	;; [unrolled: 1-line block ×5, first 2 shown]
	v_cvt_f16_f32_e32 v28, v38
	v_cvt_f16_f32_e32 v2, v0
	;; [unrolled: 1-line block ×5, first 2 shown]
	v_cndmask_b32_e64 v6, v18, v23, s[10:11]
	v_cvt_f16_f32_e32 v12, v6
	v_pk_mul_f16 v6, v28, v90 op_sel_hi:[0,1]
	v_cndmask_b32_e64 v7, v31, v39, s[20:21]
	v_pack_b32_f16 v30, v2, v3
	v_pack_b32_f16 v31, v4, v5
	v_cvt_f32_f16_e32 v2, v6
	v_cvt_f32_f16_sdwa v3, v6 dst_sel:DWORD dst_unused:UNUSED_PAD src0_sel:WORD_1
	v_cvt_f16_f32_e32 v13, v7
	v_pk_mul_f16 v15, v28, v89 op_sel_hi:[0,1]
	v_cvt_f32_f16_e32 v4, v15
	v_cndmask_b32_e64 v10, v10, v40, s[6:7]
	v_cndmask_b32_e32 v11, v11, v1, vcc
	v_pk_mul_f16 v16, v28, v91 op_sel_hi:[0,1]
	s_waitcnt vmcnt(0) lgkmcnt(0)
	ds_write_b128 v19, v[42:45]
	s_waitcnt lgkmcnt(0)
	s_barrier
	ds_read_u16 v17, v8 offset:8976
	ds_read_u16 v18, v14 offset:32
	;; [unrolled: 1-line block ×5, first 2 shown]
	ds_read_u16 v5, v14
	ds_read_u16 v21, v8 offset:9248
	ds_read_u16 v6, v8 offset:544
	;; [unrolled: 1-line block ×9, first 2 shown]
	s_waitcnt lgkmcnt(7)
	v_perm_b32 v7, v5, v6, s8
	ds_read_u16 v51, v8 offset:304
	ds_read_u16 v52, v8 offset:336
	;; [unrolled: 1-line block ×8, first 2 shown]
	ds_read_u16 v6, v9
	ds_read_u16 v57, v9 offset:32
	ds_read_u16 v58, v9 offset:64
	ds_read_u16 v59, v9 offset:96
	ds_read_u16 v60, v9 offset:128
	ds_read_u16 v61, v9 offset:160
	ds_read_u16 v62, v9 offset:192
	ds_read_u16 v63, v9 offset:224
	s_waitcnt lgkmcnt(7)
	v_perm_b32 v6, v5, v6, s8
	v_cvt_f32_f16_sdwa v5, v15 dst_sel:DWORD dst_unused:UNUSED_PAD src0_sel:WORD_1
	v_mul_u32_u24_e32 v15, 0x220, v73
	v_cvt_f16_f32_e32 v9, v10
	v_mfma_f32_16x16x16f16 v[2:5], v[6:7], v[30:31], v[2:5]
	v_add3_u32 v6, 0, 32, v15
	v_cvt_f16_f32_e32 v10, v11
	v_add_u32_e32 v7, v6, v29
	v_add3_u32 v11, v6, v26, v72
	v_add3_u32 v6, v6, v27, v72
	ds_read_u16 v47, v14 offset:8704
	ds_read_u16 v64, v7 offset:8704
	;; [unrolled: 1-line block ×6, first 2 shown]
	s_waitcnt lgkmcnt(5)
	v_perm_b32 v7, v47, v21, s8
	v_cvt_f16_f32_e32 v2, v2
	v_cvt_f16_f32_e32 v3, v3
	;; [unrolled: 1-line block ×4, first 2 shown]
	v_perm_b32 v6, v17, v46, s8
	v_cvt_f32_f16_e32 v2, v2
	v_cvt_f32_f16_e32 v3, v3
	;; [unrolled: 1-line block ×4, first 2 shown]
	v_pk_mul_f16 v17, v28, v79 op_sel_hi:[0,1]
	v_pack_b32_f16 v46, v12, v13
	v_pack_b32_f16 v47, v9, v10
	v_perm_b32 v11, v18, v25, s8
	v_perm_b32 v10, v51, v57, s8
	ds_read_u16 v69, v8 offset:768
	v_mfma_f32_16x16x16f16 v[2:5], v[6:7], v[46:47], v[2:5]
	v_cvt_f32_f16_e32 v6, v16
	v_cvt_f32_f16_sdwa v7, v16 dst_sel:DWORD dst_unused:UNUSED_PAD src0_sel:WORD_1
	v_cvt_f32_f16_e32 v8, v17
	v_cvt_f32_f16_sdwa v9, v17 dst_sel:DWORD dst_unused:UNUSED_PAD src0_sel:WORD_1
	v_pk_mul_f16 v12, v28, v82 op_sel_hi:[0,1]
	v_pk_mul_f16 v13, v28, v80 op_sel_hi:[0,1]
	v_perm_b32 v17, v19, v42, s8
	v_mfma_f32_16x16x16f16 v[6:9], v[10:11], v[30:31], v[6:9]
	s_waitcnt lgkmcnt(2)
	v_perm_b32 v11, v67, v66, s8
	v_perm_b32 v10, v65, v64, s8
	v_perm_b32 v16, v52, v58, s8
	s_add_i32 s4, 0, 0x60
	v_add3_u32 v15, 0, 64, v15
	v_mov_b32_e32 v18, s4
	v_mad_u32_u24 v18, v73, s9, v18
	s_nop 2
	v_cvt_f16_f32_e32 v6, v6
	v_cvt_f16_f32_e32 v7, v7
	v_cvt_f16_f32_e32 v8, v8
	v_cvt_f16_f32_e32 v9, v9
	v_cvt_f32_f16_e32 v6, v6
	v_cvt_f32_f16_e32 v7, v7
	v_cvt_f32_f16_e32 v8, v8
	v_cvt_f32_f16_e32 v9, v9
	v_add_u32_e32 v19, v18, v29
	v_add3_u32 v21, v18, v26, v72
	v_mfma_f32_16x16x16f16 v[6:9], v[10:11], v[46:47], v[6:9]
	v_cvt_f32_f16_e32 v10, v12
	v_cvt_f32_f16_sdwa v11, v12 dst_sel:DWORD dst_unused:UNUSED_PAD src0_sel:WORD_1
	v_cvt_f32_f16_e32 v12, v13
	v_cvt_f32_f16_sdwa v13, v13 dst_sel:DWORD dst_unused:UNUSED_PAD src0_sel:WORD_1
	v_add3_u32 v18, v18, v27, v72
	s_add_i32 s4, 0, 0x80
	v_add_f32_e32 v41, v41, v0
	v_mfma_f32_16x16x16f16 v[10:13], v[16:17], v[30:31], v[10:13]
	v_add_u32_e32 v16, v15, v29
	v_add3_u32 v17, v15, v26, v72
	v_add3_u32 v15, v15, v27, v72
	ds_read_u16 v16, v16 offset:8704
	ds_read_u16 v25, v17 offset:8976
	ds_read_u16 v17, v17 offset:9248
	ds_read_u16 v15, v15 offset:8704
	ds_read_u16 v42, v19 offset:8704
	ds_read_u16 v51, v21 offset:8976
	ds_read_u16 v52, v21 offset:9248
	ds_read_u16 v57, v18 offset:8704
	s_waitcnt lgkmcnt(4)
	v_perm_b32 v17, v15, v17, s8
	v_perm_b32 v16, v25, v16, s8
	v_pk_mul_f16 v15, v28, v78 op_sel_hi:[0,1]
	v_cvt_f16_f32_e32 v10, v10
	v_cvt_f16_f32_e32 v11, v11
	;; [unrolled: 1-line block ×4, first 2 shown]
	v_cvt_f32_f16_e32 v10, v10
	v_cvt_f32_f16_e32 v11, v11
	;; [unrolled: 1-line block ×4, first 2 shown]
	v_pk_mul_f16 v19, v28, v77 op_sel_hi:[0,1]
	v_perm_b32 v21, v20, v43, s8
	v_perm_b32 v20, v53, v59, s8
	v_mfma_f32_16x16x16f16 v[10:13], v[16:17], v[46:47], v[10:13]
	v_cvt_f32_f16_e32 v16, v15
	v_cvt_f32_f16_sdwa v17, v15 dst_sel:DWORD dst_unused:UNUSED_PAD src0_sel:WORD_1
	v_cvt_f32_f16_e32 v18, v19
	v_cvt_f32_f16_sdwa v19, v19 dst_sel:DWORD dst_unused:UNUSED_PAD src0_sel:WORD_1
	ds_read_u16 v53, v14 offset:160
	ds_read_u16 v58, v14 offset:192
	v_perm_b32 v25, v24, v44, s8
	v_perm_b32 v24, v54, v60, s8
	v_mfma_f32_16x16x16f16 v[14:17], v[20:21], v[30:31], v[16:19]
	s_waitcnt lgkmcnt(2)
	v_perm_b32 v21, v57, v52, s8
	v_perm_b32 v20, v51, v42, s8
	v_pk_mul_f16 v42, v28, v86 op_sel_hi:[0,1]
	v_cndmask_b32_e64 v0, v0, v41, s[16:17]
	v_add_f32_e32 v41, v0, v48
	s_nop 0
	v_pk_mul_f16 v19, v28, v87 op_sel_hi:[0,1]
	v_cvt_f32_f16_e32 v18, v19
	s_nop 1
	v_cvt_f16_f32_e32 v14, v14
	v_cvt_f16_f32_e32 v15, v15
	;; [unrolled: 1-line block ×4, first 2 shown]
	v_cvt_f32_f16_e32 v14, v14
	v_cvt_f32_f16_e32 v15, v15
	;; [unrolled: 1-line block ×4, first 2 shown]
	v_cvt_f32_f16_sdwa v19, v19 dst_sel:DWORD dst_unused:UNUSED_PAD src0_sel:WORD_1
	v_cndmask_b32_e64 v0, v0, v41, s[12:13]
	v_mfma_f32_16x16x16f16 v[14:17], v[20:21], v[46:47], v[14:17]
	v_cvt_f32_f16_e32 v20, v42
	v_cvt_f32_f16_sdwa v21, v42 dst_sel:DWORD dst_unused:UNUSED_PAD src0_sel:WORD_1
	v_pk_mul_f16 v41, v28, v83 op_sel_hi:[0,1]
	v_add_f32_e32 v22, v0, v22
	v_cndmask_b32_e64 v0, v0, v22, s[14:15]
	s_waitcnt lgkmcnt(0)
	v_perm_b32 v49, v58, v49, s8
	v_mfma_f32_16x16x16f16 v[18:21], v[24:25], v[30:31], v[18:21]
	v_mov_b32_e32 v24, s4
	s_add_i32 s4, 0, 0xa0
	v_mov_b32_e32 v43, s4
	v_mad_u32_u24 v24, v73, s9, v24
	v_mad_u32_u24 v43, v73, s9, v43
	v_add_u32_e32 v25, v24, v29
	v_add3_u32 v42, v24, v26, v72
	s_nop 3
	v_cvt_f16_f32_e32 v18, v18
	v_cvt_f16_f32_e32 v19, v19
	;; [unrolled: 1-line block ×4, first 2 shown]
	v_add3_u32 v24, v24, v27, v72
	v_add3_u32 v48, v43, v26, v72
	v_add_u32_e32 v44, v43, v29
	v_add3_u32 v43, v43, v27, v72
	ds_read_u16 v51, v25 offset:8704
	ds_read_u16 v52, v42 offset:8976
	ds_read_u16 v25, v42 offset:9248
	ds_read_u16 v24, v24 offset:8704
	ds_read_u16 v54, v44 offset:8704
	ds_read_u16 v57, v48 offset:8976
	ds_read_u16 v48, v48 offset:9248
	ds_read_u16 v59, v43 offset:8704
	s_waitcnt lgkmcnt(4)
	v_perm_b32 v25, v24, v25, s8
	v_perm_b32 v24, v52, v51, s8
	v_cvt_f32_f16_e32 v18, v18
	v_cvt_f32_f16_e32 v19, v19
	;; [unrolled: 1-line block ×4, first 2 shown]
	v_pk_mul_f16 v51, v28, v81 op_sel_hi:[0,1]
	v_cvt_f32_f16_e32 v42, v41
	v_mfma_f32_16x16x16f16 v[18:21], v[24:25], v[46:47], v[18:21]
	v_perm_b32 v25, v53, v45, s8
	v_perm_b32 v24, v55, v61, s8
	v_cvt_f32_f16_sdwa v43, v41 dst_sel:DWORD dst_unused:UNUSED_PAD src0_sel:WORD_1
	v_cvt_f32_f16_e32 v44, v51
	v_cvt_f32_f16_sdwa v45, v51 dst_sel:DWORD dst_unused:UNUSED_PAD src0_sel:WORD_1
	v_add_f32_e32 v41, v23, v0
	v_cndmask_b32_e64 v0, v0, v41, s[10:11]
	v_mfma_f32_16x16x16f16 v[22:25], v[24:25], v[30:31], v[42:45]
	v_pk_mul_f16 v41, v28, v85 op_sel_hi:[0,1]
	v_add_f32_e32 v39, v39, v0
	v_cndmask_b32_e64 v0, v0, v39, s[20:21]
	v_add_f32_e32 v39, v40, v0
	s_waitcnt lgkmcnt(0)
	s_nop 1
	v_perm_b32 v43, v59, v48, s8
	v_perm_b32 v42, v57, v54, s8
	v_pk_mul_f16 v45, v28, v84 op_sel_hi:[0,1]
	s_nop 0
	v_cvt_f16_f32_e32 v22, v22
	v_cvt_f16_f32_e32 v23, v23
	;; [unrolled: 1-line block ×4, first 2 shown]
	v_cvt_f32_f16_e32 v22, v22
	v_cvt_f32_f16_e32 v23, v23
	;; [unrolled: 1-line block ×4, first 2 shown]
	v_perm_b32 v48, v56, v62, s8
	v_cvt_f32_f16_e32 v44, v45
	v_mfma_f32_16x16x16f16 v[22:25], v[42:43], v[46:47], v[22:25]
	v_cvt_f32_f16_e32 v42, v41
	v_cvt_f32_f16_sdwa v43, v41 dst_sel:DWORD dst_unused:UNUSED_PAD src0_sel:WORD_1
	v_cvt_f32_f16_sdwa v45, v45 dst_sel:DWORD dst_unused:UNUSED_PAD src0_sel:WORD_1
	s_add_i32 s4, 0, 0xc0
	v_cndmask_b32_e64 v0, v0, v39, s[6:7]
	v_pk_mul_f16 v39, v28, v76 op_sel_hi:[0,1]
	v_add_f32_e32 v1, v1, v0
	v_mfma_f32_16x16x16f16 v[40:43], v[48:49], v[30:31], v[42:45]
	v_cndmask_b32_e32 v1, v0, v1, vcc
	v_fmac_f32_e32 v1, v33, v38
	s_nop 4
	v_mov_b32_e32 v44, s4
	s_add_i32 s4, 0, 0xe0
	s_nop 1
	v_cvt_f16_f32_e32 v40, v40
	v_cvt_f16_f32_e32 v41, v41
	v_cvt_f16_f32_e32 v42, v42
	v_cvt_f16_f32_e32 v43, v43
	v_mad_u32_u24 v44, v73, s9, v44
	v_mov_b32_e32 v49, s4
	v_add_u32_e32 v45, v44, v29
	v_add3_u32 v48, v44, v26, v72
	v_add3_u32 v44, v44, v27, v72
	v_mad_u32_u24 v49, v73, s9, v49
	v_add_u32_e32 v29, v49, v29
	v_add3_u32 v26, v49, v26, v72
	v_add3_u32 v27, v49, v27, v72
	ds_read_u16 v45, v45 offset:8704
	ds_read_u16 v49, v48 offset:8976
	;; [unrolled: 1-line block ×8, first 2 shown]
	s_waitcnt lgkmcnt(4)
	v_perm_b32 v27, v44, v48, s8
	v_perm_b32 v26, v49, v45, s8
	v_cvt_f32_f16_e32 v40, v40
	v_cvt_f32_f16_e32 v41, v41
	;; [unrolled: 1-line block ×4, first 2 shown]
	v_pk_mul_f16 v48, v28, v75 op_sel_hi:[0,1]
	v_perm_b32 v45, v68, v69, s8
	v_perm_b32 v44, v50, v63, s8
	v_mfma_f32_16x16x16f16 v[26:29], v[26:27], v[46:47], v[40:43]
	v_cmp_gt_u32_e64 s[4:5], 16, v34
	s_waitcnt lgkmcnt(0)
	s_barrier
	s_nop 3
	v_cvt_f32_f16_e32 v40, v39
	v_cvt_f32_f16_sdwa v41, v39 dst_sel:DWORD dst_unused:UNUSED_PAD src0_sel:WORD_1
	v_cvt_f32_f16_e32 v42, v48
	v_cvt_f32_f16_sdwa v43, v48 dst_sel:DWORD dst_unused:UNUSED_PAD src0_sel:WORD_1
	s_nop 1
	v_mfma_f32_16x16x16f16 v[38:41], v[44:45], v[30:31], v[40:43]
	s_nop 6
	ds_bpermute_b32 v42, v32, v1
	s_nop 2
	v_cvt_f16_f32_e32 v30, v39
	v_cvt_f16_f32_e32 v31, v40
	;; [unrolled: 1-line block ×4, first 2 shown]
	v_cvt_f32_f16_e32 v39, v30
	v_cvt_f32_f16_e32 v40, v31
	v_perm_b32 v31, v54, v53, s8
	v_perm_b32 v30, v52, v51, s8
	v_cvt_f32_f16_e32 v38, v0
	v_cvt_f32_f16_e32 v41, v33
	s_waitcnt lgkmcnt(0)
	v_add_f32_e32 v0, v1, v42
	ds_bpermute_b32 v1, v37, v0
	v_mfma_f32_16x16x16f16 v[30:33], v[30:31], v[46:47], v[38:41]
	s_movk_i32 s8, 0x110
	s_and_saveexec_b64 s[6:7], s[4:5]
	s_cbranch_execz .LBB25_594
; %bb.593:
	s_waitcnt lgkmcnt(0)
	v_add_f32_e32 v0, v0, v1
	v_or_b32_e32 v1, v97, v34
	v_mad_u32_u24 v1, v1, s8, 0
	ds_write2_b32 v1, v36, v0 offset0:64 offset1:65
.LBB25_594:
	s_or_b64 exec, exec, s[6:7]
	v_cmp_eq_u32_e32 vcc, 0, v99
	v_cmp_eq_u32_e64 s[6:7], 1, v99
	s_waitcnt lgkmcnt(0)
	s_barrier
	s_and_saveexec_b64 s[8:9], s[6:7]
	v_readlane_b32 s12, v254, 26
	v_readlane_b32 s18, v254, 32
	;; [unrolled: 1-line block ×5, first 2 shown]
	s_xor_b64 s[6:7], exec, s[8:9]
	s_mov_b64 s[18:19], s[26:27]
	v_readlane_b32 s13, v254, 27
	v_readlane_b32 s14, v254, 28
	;; [unrolled: 1-line block ×11, first 2 shown]
	s_cbranch_execz .LBB25_596
; %bb.595:
	s_barrier
	s_waitcnt lgkmcnt(0)
                                        ; implicit-def: $vgpr98
                                        ; implicit-def: $vgpr37
.LBB25_596:
	s_andn2_saveexec_b64 s[8:9], s[6:7]
	s_cbranch_execz .LBB25_602
; %bb.597:
	v_and_or_b32 v1, v34, 31, v97
	s_movk_i32 s6, 0x110
	v_mad_u32_u24 v0, v1, s6, 0
	ds_read_b64 v[38:39], v0 offset:256
	s_mov_b32 s6, 0x3fb8aa3b
	s_mov_b32 s10, 0x42b17218
	s_waitcnt lgkmcnt(0)
	s_barrier
	ds_bpermute_b32 v0, v37, v38
	v_max_f32_e32 v36, v38, v38
	s_waitcnt lgkmcnt(0)
	v_max_f32_e32 v0, v0, v0
	v_max_f32_e32 v0, v36, v0
	v_sub_f32_e32 v36, v38, v0
	v_mul_f32_e32 v38, 0x3fb8aa3b, v36
	v_fma_f32 v40, v36, s6, -v38
	v_rndne_f32_e32 v41, v38
	v_fmac_f32_e32 v40, 0x32a5705f, v36
	v_sub_f32_e32 v38, v38, v41
	v_add_f32_e32 v38, v38, v40
	v_cvt_i32_f32_e32 v41, v41
	v_exp_f32_e32 v38, v38
	s_mov_b32 s6, 0xc2ce8ed0
	v_cmp_ngt_f32_e64 s[6:7], s6, v36
	v_mov_b32_e32 v40, 0x7f800000
	v_ldexp_f32 v38, v38, v41
	v_cndmask_b32_e64 v38, 0, v38, s[6:7]
	v_cmp_nlt_f32_e64 s[6:7], s10, v36
	v_cndmask_b32_e64 v36, v40, v38, s[6:7]
	v_mul_f32_e32 v38, v39, v36
	ds_bpermute_b32 v37, v37, v38
	v_cmp_gt_u32_e64 s[6:7], 32, v34
	s_waitcnt lgkmcnt(0)
	v_fmac_f32_e32 v37, v39, v36
	s_and_saveexec_b64 s[10:11], s[6:7]
	s_cbranch_execz .LBB25_599
; %bb.598:
	v_mul_u32_u24_e32 v1, 0x110, v1
	v_add_u32_e32 v1, 0, v1
	ds_write_b64 v1, v[36:37] offset:256
.LBB25_599:
	s_or_b64 exec, exec, s[10:11]
	s_and_saveexec_b64 s[6:7], s[4:5]
	s_cbranch_execz .LBB25_601
; %bb.600:
	s_add_i32 s4, s69, s68
	s_lshl_b32 s4, s4, 5
	s_mov_b32 s5, 0
	s_lshl_b64 s[4:5], s[4:5], 3
	s_add_u32 s4, s18, s4
	v_or_b32_e32 v1, v98, v34
	s_addc_u32 s5, s19, s5
	v_lshlrev_b32_e32 v36, 3, v1
	v_mov_b32_e32 v1, v37
	global_store_dwordx2 v36, v[0:1], s[4:5]
.LBB25_601:
	s_or_b64 exec, exec, s[6:7]
.LBB25_602:
	s_or_b64 exec, exec, s[8:9]
	v_cvt_f16_f32_e32 v0, v2
	v_cvt_f16_f32_e32 v1, v3
	v_cvt_f16_f32_e32 v2, v4
	v_cvt_f16_f32_e32 v3, v5
	v_cvt_f16_f32_e32 v4, v6
	v_cvt_f16_f32_e32 v5, v8
	v_cvt_f16_f32_e32 v6, v9
	v_cvt_f16_f32_e32 v7, v7
	v_pack_b32_f16 v2, v2, v3
	v_pack_b32_f16 v0, v0, v1
	v_pack_b32_f16 v1, v5, v6
	v_pack_b32_f16 v3, v4, v7
	v_cvt_f16_f32_e32 v4, v10
	v_cvt_f16_f32_e32 v5, v11
	v_cvt_f16_f32_e32 v6, v12
	v_cvt_f16_f32_e32 v7, v13
	v_cvt_f16_f32_e32 v8, v14
	v_cvt_f16_f32_e32 v9, v16
	v_cvt_f16_f32_e32 v10, v17
	v_cvt_f16_f32_e32 v11, v15
	v_pack_b32_f16 v6, v6, v7
	v_pack_b32_f16 v4, v4, v5
	v_pack_b32_f16 v5, v9, v10
	v_pack_b32_f16 v7, v8, v11
	;; [unrolled: 12-line block ×3, first 2 shown]
	v_cvt_f16_f32_e32 v14, v28
	v_cvt_f16_f32_e32 v15, v29
	;; [unrolled: 1-line block ×8, first 2 shown]
	v_pack_b32_f16 v14, v14, v15
	v_pack_b32_f16 v15, v16, v19
	v_or_b32_e32 v16, v97, v70
	s_movk_i32 s4, 0x44
	v_mad_u32_u24 v16, v16, s4, v71
	s_mov_b32 s7, 0
	v_lshl_add_u32 v16, v16, 2, 0
	v_pack_b32_f16 v12, v12, v13
	v_pack_b32_f16 v13, v17, v18
	ds_write2_b32 v16, v0, v2 offset1:1
	ds_write2_b32 v16, v3, v1 offset0:8 offset1:9
	ds_write2_b32 v16, v4, v6 offset0:16 offset1:17
	ds_write2_b32 v16, v7, v5 offset0:24 offset1:25
	ds_write2_b32 v16, v8, v10 offset0:32 offset1:33
	ds_write2_b32 v16, v11, v9 offset0:40 offset1:41
	ds_write2_b32 v16, v12, v14 offset0:48 offset1:49
	ds_write2_b32 v16, v15, v13 offset0:56 offset1:57
	s_waitcnt lgkmcnt(0)
	s_barrier
	s_and_saveexec_b64 s[4:5], vcc
	s_cbranch_execz .LBB25_604
; %bb.603:
	s_lshl_b32 s6, s69, 6
	s_lshl_b64 s[8:9], s[6:7], 3
	s_add_u32 s8, s18, s8
	s_addc_u32 s9, s19, s9
	s_lshl_b32 s6, s68, 11
	s_lshl_b64 s[6:7], s[6:7], 3
	s_add_u32 s6, s8, s6
	v_bfe_u32 v8, v96, 1, 4
	s_movk_i32 s8, 0x3e0
	v_and_or_b32 v0, v96, s8, v8
	s_movk_i32 s8, 0x110
	v_mad_u32_u24 v2, v0, s8, 0
	v_add_u32_e32 v0, v2, v35
	ds_read2st64_b32 v[0:1], v0 offset1:17
	ds_read2st64_b32 v[2:3], v2 offset0:1 offset1:18
	v_lshrrev_b32_e32 v9, 1, v96
	s_addc_u32 s7, s9, s7
	s_movk_i32 s9, 0x7e0
	s_waitcnt lgkmcnt(1)
	v_cvt_f32_f16_e32 v4, v0
	v_cvt_f32_f16_sdwa v5, v0 dst_sel:DWORD dst_unused:UNUSED_PAD src0_sel:WORD_1
	v_cvt_f32_f16_e32 v0, v1
	v_cvt_f32_f16_sdwa v1, v1 dst_sel:DWORD dst_unused:UNUSED_PAD src0_sel:WORD_1
	v_lshlrev_b32_e32 v6, 5, v96
	s_waitcnt lgkmcnt(0)
	v_pk_fma_f32 v[4:5], v[2:3], v[4:5], 0 op_sel_hi:[0,1,0]
	v_mov_b32_e32 v2, v3
	v_pk_fma_f32 v[0:1], v[2:3], v[0:1], v[4:5] op_sel_hi:[0,1,1]
	v_add_u32_e32 v4, 2, v9
	v_lshlrev_b32_e32 v2, 1, v4
	v_and_b32_e32 v3, 15, v4
	v_and_or_b32 v2, v2, s9, v3
	v_mad_u32_u24 v5, v2, s8, 0
	v_add_u32_e32 v2, v5, v35
	ds_read2st64_b32 v[2:3], v2 offset1:17
	v_add_lshl_u32 v6, v6, v34, 3
	v_add_u32_e32 v11, 4, v9
	global_store_dwordx2 v6, v[0:1], s[6:7]
	v_lshlrev_b32_e32 v6, 1, v11
	v_and_b32_e32 v7, 15, v11
	v_and_or_b32 v6, v6, s9, v7
	v_lshlrev_b32_e32 v4, 6, v4
	ds_read2st64_b32 v[0:1], v5 offset0:1 offset1:18
	v_mad_u32_u24 v12, v6, s8, 0
	v_add_lshl_u32 v10, v4, v34, 3
	s_waitcnt lgkmcnt(1)
	v_cvt_f32_f16_e32 v4, v2
	v_cvt_f32_f16_sdwa v5, v2 dst_sel:DWORD dst_unused:UNUSED_PAD src0_sel:WORD_1
	v_add_u32_e32 v6, v12, v35
	v_cvt_f32_f16_e32 v2, v3
	v_cvt_f32_f16_sdwa v3, v3 dst_sel:DWORD dst_unused:UNUSED_PAD src0_sel:WORD_1
	ds_read2st64_b32 v[6:7], v6 offset1:17
	s_waitcnt lgkmcnt(1)
	v_pk_fma_f32 v[4:5], v[0:1], v[4:5], 0 op_sel_hi:[0,1,0]
	v_mov_b32_e32 v0, v1
	v_pk_fma_f32 v[0:1], v[0:1], v[2:3], v[4:5] op_sel_hi:[0,1,1]
	ds_read2st64_b32 v[2:3], v12 offset0:1 offset1:18
	s_waitcnt lgkmcnt(1)
	v_cvt_f32_f16_e32 v4, v6
	v_cvt_f32_f16_sdwa v5, v6 dst_sel:DWORD dst_unused:UNUSED_PAD src0_sel:WORD_1
	global_store_dwordx2 v10, v[0:1], s[6:7]
	v_lshlrev_b32_e32 v0, 6, v11
	v_add_lshl_u32 v10, v0, v34, 3
	s_waitcnt lgkmcnt(0)
	v_pk_fma_f32 v[0:1], v[2:3], v[4:5], 0 op_sel_hi:[0,1,0]
	v_mov_b32_e32 v2, v3
	v_add_u32_e32 v3, 6, v9
	v_cvt_f32_f16_e32 v4, v7
	v_cvt_f32_f16_sdwa v5, v7 dst_sel:DWORD dst_unused:UNUSED_PAD src0_sel:WORD_1
	v_lshlrev_b32_e32 v6, 1, v3
	v_and_b32_e32 v7, 15, v3
	v_and_or_b32 v6, v6, s9, v7
	v_mad_u32_u24 v11, v6, s8, 0
	v_add_u32_e32 v6, v11, v35
	ds_read2st64_b32 v[6:7], v6 offset1:17
	v_pk_fma_f32 v[0:1], v[2:3], v[4:5], v[0:1] op_sel_hi:[0,1,1]
	global_store_dwordx2 v10, v[0:1], s[6:7]
	ds_read2st64_b32 v[0:1], v11 offset0:1 offset1:18
	v_lshlrev_b32_e32 v10, 6, v3
	s_waitcnt lgkmcnt(1)
	v_cvt_f32_f16_e32 v2, v6
	v_cvt_f32_f16_sdwa v3, v6 dst_sel:DWORD dst_unused:UNUSED_PAD src0_sel:WORD_1
	v_cvt_f32_f16_e32 v4, v7
	v_cvt_f32_f16_sdwa v5, v7 dst_sel:DWORD dst_unused:UNUSED_PAD src0_sel:WORD_1
	v_add_lshl_u32 v6, v10, v34, 3
	s_waitcnt lgkmcnt(0)
	v_pk_fma_f32 v[2:3], v[0:1], v[2:3], 0 op_sel_hi:[0,1,0]
	v_mov_b32_e32 v0, v1
	v_pk_fma_f32 v[0:1], v[0:1], v[4:5], v[2:3] op_sel_hi:[0,1,1]
	v_add_u32_e32 v4, 8, v9
	v_lshlrev_b32_e32 v2, 1, v4
	v_and_b32_e32 v3, 15, v4
	v_and_or_b32 v2, v2, s9, v3
	v_mad_u32_u24 v5, v2, s8, 0
	v_add_u32_e32 v2, v5, v35
	ds_read2st64_b32 v[2:3], v2 offset1:17
	v_add_u32_e32 v11, 10, v9
	global_store_dwordx2 v6, v[0:1], s[6:7]
	v_lshlrev_b32_e32 v6, 1, v11
	v_and_b32_e32 v7, 15, v11
	v_and_or_b32 v6, v6, s9, v7
	v_lshlrev_b32_e32 v4, 6, v4
	ds_read2st64_b32 v[0:1], v5 offset0:1 offset1:18
	v_mad_u32_u24 v12, v6, s8, 0
	v_add_lshl_u32 v10, v4, v34, 3
	s_waitcnt lgkmcnt(1)
	v_cvt_f32_f16_e32 v4, v2
	v_cvt_f32_f16_sdwa v5, v2 dst_sel:DWORD dst_unused:UNUSED_PAD src0_sel:WORD_1
	v_add_u32_e32 v6, v12, v35
	v_cvt_f32_f16_e32 v2, v3
	v_cvt_f32_f16_sdwa v3, v3 dst_sel:DWORD dst_unused:UNUSED_PAD src0_sel:WORD_1
	ds_read2st64_b32 v[6:7], v6 offset1:17
	s_waitcnt lgkmcnt(1)
	v_pk_fma_f32 v[4:5], v[0:1], v[4:5], 0 op_sel_hi:[0,1,0]
	v_mov_b32_e32 v0, v1
	v_pk_fma_f32 v[0:1], v[0:1], v[2:3], v[4:5] op_sel_hi:[0,1,1]
	ds_read2st64_b32 v[2:3], v12 offset0:1 offset1:18
	s_waitcnt lgkmcnt(1)
	v_cvt_f32_f16_e32 v4, v6
	v_cvt_f32_f16_sdwa v5, v6 dst_sel:DWORD dst_unused:UNUSED_PAD src0_sel:WORD_1
	global_store_dwordx2 v10, v[0:1], s[6:7]
	v_lshlrev_b32_e32 v0, 6, v11
	v_add_lshl_u32 v10, v0, v34, 3
	s_waitcnt lgkmcnt(0)
	v_pk_fma_f32 v[0:1], v[2:3], v[4:5], 0 op_sel_hi:[0,1,0]
	v_mov_b32_e32 v2, v3
	v_add_u32_e32 v3, 12, v9
	v_cvt_f32_f16_e32 v4, v7
	v_cvt_f32_f16_sdwa v5, v7 dst_sel:DWORD dst_unused:UNUSED_PAD src0_sel:WORD_1
	v_lshlrev_b32_e32 v6, 1, v3
	v_and_b32_e32 v7, 15, v3
	v_and_or_b32 v6, v6, s9, v7
	v_mad_u32_u24 v11, v6, s8, 0
	v_add_u32_e32 v6, v11, v35
	ds_read2st64_b32 v[6:7], v6 offset1:17
	v_pk_fma_f32 v[0:1], v[2:3], v[4:5], v[0:1] op_sel_hi:[0,1,1]
	global_store_dwordx2 v10, v[0:1], s[6:7]
	ds_read2st64_b32 v[0:1], v11 offset0:1 offset1:18
	v_lshlrev_b32_e32 v10, 6, v3
	s_waitcnt lgkmcnt(1)
	v_cvt_f32_f16_e32 v2, v6
	v_cvt_f32_f16_sdwa v3, v6 dst_sel:DWORD dst_unused:UNUSED_PAD src0_sel:WORD_1
	v_cvt_f32_f16_e32 v4, v7
	v_cvt_f32_f16_sdwa v5, v7 dst_sel:DWORD dst_unused:UNUSED_PAD src0_sel:WORD_1
	v_add_lshl_u32 v6, v10, v34, 3
	s_waitcnt lgkmcnt(0)
	v_pk_fma_f32 v[2:3], v[0:1], v[2:3], 0 op_sel_hi:[0,1,0]
	v_mov_b32_e32 v0, v1
	v_pk_fma_f32 v[0:1], v[0:1], v[4:5], v[2:3] op_sel_hi:[0,1,1]
	v_add_u32_e32 v4, 14, v9
	v_lshlrev_b32_e32 v2, 1, v4
	v_and_b32_e32 v3, 15, v4
	v_and_or_b32 v2, v2, s9, v3
	v_mad_u32_u24 v5, v2, s8, 0
	v_add_u32_e32 v2, v5, v35
	ds_read2st64_b32 v[2:3], v2 offset1:17
	v_add_u32_e32 v11, 16, v9
	global_store_dwordx2 v6, v[0:1], s[6:7]
	v_lshlrev_b32_e32 v6, 1, v11
	v_and_or_b32 v6, v6, s9, v8
	v_lshlrev_b32_e32 v4, 6, v4
	ds_read2st64_b32 v[0:1], v5 offset0:1 offset1:18
	v_mad_u32_u24 v8, v6, s8, 0
	v_add_lshl_u32 v10, v4, v34, 3
	s_waitcnt lgkmcnt(1)
	v_cvt_f32_f16_e32 v4, v2
	v_cvt_f32_f16_sdwa v5, v2 dst_sel:DWORD dst_unused:UNUSED_PAD src0_sel:WORD_1
	v_add_u32_e32 v6, v8, v35
	v_cvt_f32_f16_e32 v2, v3
	v_cvt_f32_f16_sdwa v3, v3 dst_sel:DWORD dst_unused:UNUSED_PAD src0_sel:WORD_1
	ds_read2st64_b32 v[6:7], v6 offset1:17
	s_waitcnt lgkmcnt(1)
	v_pk_fma_f32 v[4:5], v[0:1], v[4:5], 0 op_sel_hi:[0,1,0]
	v_mov_b32_e32 v0, v1
	v_pk_fma_f32 v[0:1], v[0:1], v[2:3], v[4:5] op_sel_hi:[0,1,1]
	ds_read2st64_b32 v[2:3], v8 offset0:1 offset1:18
	s_waitcnt lgkmcnt(1)
	v_cvt_f32_f16_e32 v4, v6
	v_cvt_f32_f16_sdwa v5, v6 dst_sel:DWORD dst_unused:UNUSED_PAD src0_sel:WORD_1
	global_store_dwordx2 v10, v[0:1], s[6:7]
	v_lshlrev_b32_e32 v0, 6, v11
	v_add_lshl_u32 v8, v0, v34, 3
	s_waitcnt lgkmcnt(0)
	v_pk_fma_f32 v[0:1], v[2:3], v[4:5], 0 op_sel_hi:[0,1,0]
	v_mov_b32_e32 v2, v3
	v_add_u32_e32 v3, 18, v9
	v_cvt_f32_f16_e32 v4, v7
	v_cvt_f32_f16_sdwa v5, v7 dst_sel:DWORD dst_unused:UNUSED_PAD src0_sel:WORD_1
	v_lshlrev_b32_e32 v6, 1, v3
	v_and_b32_e32 v7, 15, v3
	v_and_or_b32 v6, v6, s9, v7
	v_mad_u32_u24 v10, v6, s8, 0
	v_add_u32_e32 v6, v10, v35
	ds_read2st64_b32 v[6:7], v6 offset1:17
	v_pk_fma_f32 v[0:1], v[2:3], v[4:5], v[0:1] op_sel_hi:[0,1,1]
	global_store_dwordx2 v8, v[0:1], s[6:7]
	ds_read2st64_b32 v[0:1], v10 offset0:1 offset1:18
	v_lshlrev_b32_e32 v8, 6, v3
	s_waitcnt lgkmcnt(1)
	v_cvt_f32_f16_e32 v2, v6
	v_cvt_f32_f16_sdwa v3, v6 dst_sel:DWORD dst_unused:UNUSED_PAD src0_sel:WORD_1
	v_cvt_f32_f16_e32 v4, v7
	v_cvt_f32_f16_sdwa v5, v7 dst_sel:DWORD dst_unused:UNUSED_PAD src0_sel:WORD_1
	v_add_lshl_u32 v6, v8, v34, 3
	s_waitcnt lgkmcnt(0)
	v_pk_fma_f32 v[2:3], v[0:1], v[2:3], 0 op_sel_hi:[0,1,0]
	v_mov_b32_e32 v0, v1
	v_pk_fma_f32 v[0:1], v[0:1], v[4:5], v[2:3] op_sel_hi:[0,1,1]
	v_add_u32_e32 v4, 20, v9
	v_lshlrev_b32_e32 v2, 1, v4
	v_and_b32_e32 v3, 15, v4
	v_and_or_b32 v2, v2, s9, v3
	v_mad_u32_u24 v5, v2, s8, 0
	v_add_u32_e32 v2, v5, v35
	ds_read2st64_b32 v[2:3], v2 offset1:17
	v_add_u32_e32 v10, 22, v9
	global_store_dwordx2 v6, v[0:1], s[6:7]
	v_lshlrev_b32_e32 v6, 1, v10
	v_and_b32_e32 v7, 15, v10
	v_and_or_b32 v6, v6, s9, v7
	v_lshlrev_b32_e32 v4, 6, v4
	ds_read2st64_b32 v[0:1], v5 offset0:1 offset1:18
	v_mad_u32_u24 v11, v6, s8, 0
	v_add_lshl_u32 v8, v4, v34, 3
	s_waitcnt lgkmcnt(1)
	v_cvt_f32_f16_e32 v4, v2
	v_cvt_f32_f16_sdwa v5, v2 dst_sel:DWORD dst_unused:UNUSED_PAD src0_sel:WORD_1
	v_add_u32_e32 v6, v11, v35
	v_cvt_f32_f16_e32 v2, v3
	v_cvt_f32_f16_sdwa v3, v3 dst_sel:DWORD dst_unused:UNUSED_PAD src0_sel:WORD_1
	ds_read2st64_b32 v[6:7], v6 offset1:17
	s_waitcnt lgkmcnt(1)
	v_pk_fma_f32 v[4:5], v[0:1], v[4:5], 0 op_sel_hi:[0,1,0]
	v_mov_b32_e32 v0, v1
	v_pk_fma_f32 v[0:1], v[0:1], v[2:3], v[4:5] op_sel_hi:[0,1,1]
	ds_read2st64_b32 v[2:3], v11 offset0:1 offset1:18
	s_waitcnt lgkmcnt(1)
	v_cvt_f32_f16_e32 v4, v6
	v_cvt_f32_f16_sdwa v5, v6 dst_sel:DWORD dst_unused:UNUSED_PAD src0_sel:WORD_1
	global_store_dwordx2 v8, v[0:1], s[6:7]
	v_lshlrev_b32_e32 v0, 6, v10
	v_add_lshl_u32 v8, v0, v34, 3
	s_waitcnt lgkmcnt(0)
	v_pk_fma_f32 v[0:1], v[2:3], v[4:5], 0 op_sel_hi:[0,1,0]
	v_mov_b32_e32 v2, v3
	v_add_u32_e32 v3, 24, v9
	v_cvt_f32_f16_e32 v4, v7
	v_cvt_f32_f16_sdwa v5, v7 dst_sel:DWORD dst_unused:UNUSED_PAD src0_sel:WORD_1
	v_lshlrev_b32_e32 v6, 1, v3
	v_and_b32_e32 v7, 15, v3
	v_and_or_b32 v6, v6, s9, v7
	v_mad_u32_u24 v10, v6, s8, 0
	v_add_u32_e32 v6, v10, v35
	ds_read2st64_b32 v[6:7], v6 offset1:17
	v_pk_fma_f32 v[0:1], v[2:3], v[4:5], v[0:1] op_sel_hi:[0,1,1]
	global_store_dwordx2 v8, v[0:1], s[6:7]
	ds_read2st64_b32 v[0:1], v10 offset0:1 offset1:18
	v_lshlrev_b32_e32 v8, 6, v3
	s_waitcnt lgkmcnt(1)
	v_cvt_f32_f16_e32 v2, v6
	v_cvt_f32_f16_sdwa v3, v6 dst_sel:DWORD dst_unused:UNUSED_PAD src0_sel:WORD_1
	v_cvt_f32_f16_e32 v4, v7
	v_cvt_f32_f16_sdwa v5, v7 dst_sel:DWORD dst_unused:UNUSED_PAD src0_sel:WORD_1
	v_add_lshl_u32 v6, v8, v34, 3
	s_waitcnt lgkmcnt(0)
	v_pk_fma_f32 v[2:3], v[0:1], v[2:3], 0 op_sel_hi:[0,1,0]
	v_mov_b32_e32 v0, v1
	v_pk_fma_f32 v[0:1], v[0:1], v[4:5], v[2:3] op_sel_hi:[0,1,1]
	v_add_u32_e32 v4, 26, v9
	v_lshlrev_b32_e32 v2, 1, v4
	v_and_b32_e32 v3, 15, v4
	v_and_or_b32 v2, v2, s9, v3
	v_mad_u32_u24 v5, v2, s8, 0
	v_add_u32_e32 v2, v5, v35
	ds_read2st64_b32 v[2:3], v2 offset1:17
	v_add_u32_e32 v10, 28, v9
	global_store_dwordx2 v6, v[0:1], s[6:7]
	v_lshlrev_b32_e32 v6, 1, v10
	v_and_b32_e32 v7, 15, v10
	v_and_or_b32 v6, v6, s9, v7
	v_lshlrev_b32_e32 v4, 6, v4
	ds_read2st64_b32 v[0:1], v5 offset0:1 offset1:18
	v_mad_u32_u24 v11, v6, s8, 0
	v_add_lshl_u32 v8, v4, v34, 3
	s_waitcnt lgkmcnt(1)
	v_cvt_f32_f16_e32 v4, v2
	v_cvt_f32_f16_sdwa v5, v2 dst_sel:DWORD dst_unused:UNUSED_PAD src0_sel:WORD_1
	v_add_u32_e32 v6, v11, v35
	v_cvt_f32_f16_e32 v2, v3
	v_cvt_f32_f16_sdwa v3, v3 dst_sel:DWORD dst_unused:UNUSED_PAD src0_sel:WORD_1
	ds_read2st64_b32 v[6:7], v6 offset1:17
	s_waitcnt lgkmcnt(1)
	v_pk_fma_f32 v[4:5], v[0:1], v[4:5], 0 op_sel_hi:[0,1,0]
	v_mov_b32_e32 v0, v1
	v_pk_fma_f32 v[0:1], v[0:1], v[2:3], v[4:5] op_sel_hi:[0,1,1]
	ds_read2st64_b32 v[2:3], v11 offset0:1 offset1:18
	s_waitcnt lgkmcnt(1)
	v_cvt_f32_f16_e32 v4, v6
	v_cvt_f32_f16_sdwa v5, v6 dst_sel:DWORD dst_unused:UNUSED_PAD src0_sel:WORD_1
	global_store_dwordx2 v8, v[0:1], s[6:7]
	v_lshlrev_b32_e32 v0, 6, v10
	v_add_lshl_u32 v8, v0, v34, 3
	s_waitcnt lgkmcnt(0)
	v_pk_fma_f32 v[0:1], v[2:3], v[4:5], 0 op_sel_hi:[0,1,0]
	v_mov_b32_e32 v2, v3
	v_add_u32_e32 v3, 30, v9
	v_cvt_f32_f16_e32 v4, v7
	v_cvt_f32_f16_sdwa v5, v7 dst_sel:DWORD dst_unused:UNUSED_PAD src0_sel:WORD_1
	v_lshlrev_b32_e32 v6, 1, v3
	v_and_b32_e32 v7, 15, v3
	v_and_or_b32 v6, v6, s9, v7
	v_mad_u32_u24 v9, v6, s8, 0
	v_add_u32_e32 v6, v9, v35
	ds_read2st64_b32 v[6:7], v6 offset1:17
	v_pk_fma_f32 v[0:1], v[2:3], v[4:5], v[0:1] op_sel_hi:[0,1,1]
	global_store_dwordx2 v8, v[0:1], s[6:7]
	ds_read2st64_b32 v[0:1], v9 offset0:1 offset1:18
	v_lshlrev_b32_e32 v8, 6, v3
	s_waitcnt lgkmcnt(1)
	v_cvt_f32_f16_e32 v2, v6
	v_cvt_f32_f16_sdwa v3, v6 dst_sel:DWORD dst_unused:UNUSED_PAD src0_sel:WORD_1
	v_cvt_f32_f16_e32 v4, v7
	v_cvt_f32_f16_sdwa v5, v7 dst_sel:DWORD dst_unused:UNUSED_PAD src0_sel:WORD_1
	v_add_lshl_u32 v6, v8, v34, 3
	s_waitcnt lgkmcnt(0)
	v_pk_fma_f32 v[2:3], v[0:1], v[2:3], 0 op_sel_hi:[0,1,0]
	v_mov_b32_e32 v0, v1
	v_pk_fma_f32 v[0:1], v[0:1], v[4:5], v[2:3] op_sel_hi:[0,1,1]
	global_store_dwordx2 v6, v[0:1], s[6:7]
.LBB25_604:
	s_or_b64 exec, exec, s[4:5]
	s_barrier
	s_endpgm
	.section	.rodata,"a",@progbits
	.p2align	6, 0x0
	.amdhsa_kernel _ZL18flash_attn_ext_f16ILi128ELi128ELi32ELi1ELb1ELb0EEvPKcS1_S1_S1_S1_PKiPfP15HIP_vector_typeIfLj2EEffffjfiS5_IjLj3EEiiiiiiiiiiiliiliiiiil
		.amdhsa_group_segment_fixed_size 0
		.amdhsa_private_segment_fixed_size 128
		.amdhsa_kernarg_size 464
		.amdhsa_user_sgpr_count 8
		.amdhsa_user_sgpr_private_segment_buffer 1
		.amdhsa_user_sgpr_dispatch_ptr 0
		.amdhsa_user_sgpr_queue_ptr 0
		.amdhsa_user_sgpr_kernarg_segment_ptr 1
		.amdhsa_user_sgpr_dispatch_id 0
		.amdhsa_user_sgpr_flat_scratch_init 1
		.amdhsa_user_sgpr_kernarg_preload_length 0
		.amdhsa_user_sgpr_kernarg_preload_offset 0
		.amdhsa_user_sgpr_private_segment_size 0
		.amdhsa_uses_dynamic_stack 0
		.amdhsa_system_sgpr_private_segment_wavefront_offset 1
		.amdhsa_system_sgpr_workgroup_id_x 1
		.amdhsa_system_sgpr_workgroup_id_y 0
		.amdhsa_system_sgpr_workgroup_id_z 0
		.amdhsa_system_sgpr_workgroup_info 0
		.amdhsa_system_vgpr_workitem_id 1
		.amdhsa_next_free_vgpr 256
		.amdhsa_next_free_sgpr 100
		.amdhsa_accum_offset 256
		.amdhsa_reserve_vcc 1
		.amdhsa_reserve_flat_scratch 1
		.amdhsa_float_round_mode_32 0
		.amdhsa_float_round_mode_16_64 0
		.amdhsa_float_denorm_mode_32 3
		.amdhsa_float_denorm_mode_16_64 3
		.amdhsa_dx10_clamp 1
		.amdhsa_ieee_mode 1
		.amdhsa_fp16_overflow 0
		.amdhsa_tg_split 0
		.amdhsa_exception_fp_ieee_invalid_op 0
		.amdhsa_exception_fp_denorm_src 0
		.amdhsa_exception_fp_ieee_div_zero 0
		.amdhsa_exception_fp_ieee_overflow 0
		.amdhsa_exception_fp_ieee_underflow 0
		.amdhsa_exception_fp_ieee_inexact 0
		.amdhsa_exception_int_div_zero 0
	.end_amdhsa_kernel
	.section	.text._ZL18flash_attn_ext_f16ILi128ELi128ELi32ELi1ELb1ELb0EEvPKcS1_S1_S1_S1_PKiPfP15HIP_vector_typeIfLj2EEffffjfiS5_IjLj3EEiiiiiiiiiiiliiliiiiil,"axG",@progbits,_ZL18flash_attn_ext_f16ILi128ELi128ELi32ELi1ELb1ELb0EEvPKcS1_S1_S1_S1_PKiPfP15HIP_vector_typeIfLj2EEffffjfiS5_IjLj3EEiiiiiiiiiiiliiliiiiil,comdat
.Lfunc_end25:
	.size	_ZL18flash_attn_ext_f16ILi128ELi128ELi32ELi1ELb1ELb0EEvPKcS1_S1_S1_S1_PKiPfP15HIP_vector_typeIfLj2EEffffjfiS5_IjLj3EEiiiiiiiiiiiliiliiiiil, .Lfunc_end25-_ZL18flash_attn_ext_f16ILi128ELi128ELi32ELi1ELb1ELb0EEvPKcS1_S1_S1_S1_PKiPfP15HIP_vector_typeIfLj2EEffffjfiS5_IjLj3EEiiiiiiiiiiiliiliiiiil
                                        ; -- End function
	.section	.AMDGPU.csdata,"",@progbits
; Kernel info:
; codeLenInByte = 70088
; NumSgprs: 106
; NumVgprs: 256
; NumAgprs: 0
; TotalNumVgprs: 256
; ScratchSize: 128
; MemoryBound: 0
; FloatMode: 240
; IeeeMode: 1
; LDSByteSize: 0 bytes/workgroup (compile time only)
; SGPRBlocks: 13
; VGPRBlocks: 31
; NumSGPRsForWavesPerEU: 106
; NumVGPRsForWavesPerEU: 256
; AccumOffset: 256
; Occupancy: 2
; WaveLimiterHint : 0
; COMPUTE_PGM_RSRC2:SCRATCH_EN: 1
; COMPUTE_PGM_RSRC2:USER_SGPR: 8
; COMPUTE_PGM_RSRC2:TRAP_HANDLER: 0
; COMPUTE_PGM_RSRC2:TGID_X_EN: 1
; COMPUTE_PGM_RSRC2:TGID_Y_EN: 0
; COMPUTE_PGM_RSRC2:TGID_Z_EN: 0
; COMPUTE_PGM_RSRC2:TIDIG_COMP_CNT: 1
; COMPUTE_PGM_RSRC3_GFX90A:ACCUM_OFFSET: 63
; COMPUTE_PGM_RSRC3_GFX90A:TG_SPLIT: 0
	.section	.text._ZL33flash_attn_stream_k_fixup_uniformILi128ELi32ELi1EEvPfPK15HIP_vector_typeIfLj2EEiiiiiiS1_IjLj3EES5_S5_,"axG",@progbits,_ZL33flash_attn_stream_k_fixup_uniformILi128ELi32ELi1EEvPfPK15HIP_vector_typeIfLj2EEiiiiiiS1_IjLj3EES5_S5_,comdat
	.globl	_ZL33flash_attn_stream_k_fixup_uniformILi128ELi32ELi1EEvPfPK15HIP_vector_typeIfLj2EEiiiiiiS1_IjLj3EES5_S5_ ; -- Begin function _ZL33flash_attn_stream_k_fixup_uniformILi128ELi32ELi1EEvPfPK15HIP_vector_typeIfLj2EEiiiiiiS1_IjLj3EES5_S5_
	.p2align	8
	.type	_ZL33flash_attn_stream_k_fixup_uniformILi128ELi32ELi1EEvPfPK15HIP_vector_typeIfLj2EEiiiiiiS1_IjLj3EES5_S5_,@function
_ZL33flash_attn_stream_k_fixup_uniformILi128ELi32ELi1EEvPfPK15HIP_vector_typeIfLj2EEiiiiiiS1_IjLj3EES5_S5_: ; @_ZL33flash_attn_stream_k_fixup_uniformILi128ELi32ELi1EEvPfPK15HIP_vector_typeIfLj2EEiiiiiiS1_IjLj3EES5_S5_
; %bb.0:
	s_load_dwordx8 s[12:19], s[4:5], 0x1c
	s_load_dwordx2 s[10:11], s[4:5], 0x10
	s_load_dwordx4 s[0:3], s[4:5], 0x3c
	s_waitcnt lgkmcnt(0)
	s_mul_hi_u32 s9, s15, s6
	s_add_i32 s9, s6, s9
	s_lshr_b32 s9, s9, s16
	s_mul_i32 s15, s9, s17
	s_sub_i32 s15, s6, s15
	s_mul_hi_u32 s16, s15, s18
	s_add_i32 s16, s15, s16
	s_lshr_b32 s16, s16, s19
	s_mul_i32 s0, s16, s0
	s_sub_i32 s0, s15, s0
	;; [unrolled: 5-line block ×3, first 2 shown]
	s_lshl_b32 s0, s17, 5
	s_add_i32 s0, s0, s7
	s_cmp_lt_i32 s0, s10
	s_cselect_b64 s[0:1], -1, 0
	s_add_i32 s2, s15, s8
	s_cmp_lt_i32 s2, s13
	s_cselect_b64 s[2:3], -1, 0
	s_and_b64 s[0:1], s[0:1], s[2:3]
	s_andn2_b64 vcc, exec, s[0:1]
	s_cbranch_vccnz .LBB26_6
; %bb.1:
	s_load_dwordx4 s[0:3], s[4:5], 0x0
	s_mul_i32 s4, s9, s10
	s_add_i32 s4, s4, s7
	s_mul_i32 s4, s4, s11
	s_mul_i32 s16, s16, s13
	s_add_i32 s4, s4, s8
	s_add_i32 s4, s4, s16
	s_mul_i32 s5, s11, s17
	s_add_i32 s4, s4, s15
	s_lshl_b32 s5, s5, 12
	s_lshl_b32 s4, s4, 7
	s_add_i32 s5, s5, s4
	v_or_b32_e32 v2, s5, v0
	v_ashrrev_i32_e32 v3, 31, v2
	v_lshlrev_b64 v[2:3], 2, v[2:3]
	s_waitcnt lgkmcnt(0)
	v_mov_b32_e32 v1, s1
	v_add_co_u32_e32 v2, vcc, s0, v2
	v_addc_co_u32_e32 v3, vcc, v1, v3, vcc
	global_load_dword v8, v[2:3], off
	s_add_i32 s4, s7, s8
	s_mul_i32 s7, s6, s14
	s_add_i32 s5, s7, s14
	s_lshl_b32 s0, s5, 5
	s_add_i32 s0, s4, s0
	s_sub_i32 s0, s0, 32
	s_ashr_i32 s1, s0, 31
	s_lshl_b64 s[0:1], s[0:1], 3
	s_add_u32 s0, s2, s0
	s_addc_u32 s1, s3, s1
	s_load_dword s10, s[0:1], 0x4
	s_add_i32 s8, s5, -2
	s_cmp_lt_i32 s8, s7
	s_cbranch_scc1 .LBB26_4
; %bb.2:
	s_lshl_b32 s8, s12, 7
	s_ashr_i32 s9, s8, 31
	s_lshl_b64 s[8:9], s[8:9], 2
	s_add_u32 s8, s2, s8
	s_addc_u32 s11, s3, s9
	s_add_i32 s6, s6, 1
	s_add_i32 s9, s5, -1
	s_mul_i32 s5, s14, s6
	s_load_dword s0, s[0:1], 0x0
	s_lshl_b32 s1, s4, 7
	s_lshl_b32 s6, s5, 12
	s_add_i32 s1, s1, s6
	v_or_b32_e32 v0, s1, v0
	s_lshl_b32 s1, s5, 5
	s_add_i32 s1, s4, s1
	s_lshl_b32 s4, s12, 5
	s_add_i32 s1, s1, s4
	v_add_u32_e32 v0, 0xffffe000, v0
	s_sub_i32 s4, s1, 64
	s_waitcnt lgkmcnt(0)
	v_mov_b32_e32 v7, s10
	v_mov_b32_e32 v6, s0
	;; [unrolled: 1-line block ×3, first 2 shown]
	s_mov_b32 s6, 0x3fb8aa3b
	s_mov_b32 s10, 0xc2ce8ed0
	;; [unrolled: 1-line block ×3, first 2 shown]
	v_mov_b32_e32 v5, 0x7f800000
	s_mov_b32 s12, 0xc1a00000
.LBB26_3:                               ; =>This Inner Loop Header: Depth=1
	v_ashrrev_i32_e32 v1, 31, v0
	v_lshlrev_b64 v[10:11], 2, v[0:1]
	v_add_co_u32_e32 v10, vcc, s8, v10
	v_addc_co_u32_e32 v11, vcc, v4, v11, vcc
	global_load_dword v1, v[10:11], off
	s_ashr_i32 s5, s4, 31
	s_lshl_b64 s[0:1], s[4:5], 3
	s_add_u32 s0, s2, s0
	s_addc_u32 s1, s3, s1
	s_load_dwordx2 s[14:15], s[0:1], 0x0
	s_waitcnt vmcnt(1)
	v_mov_b32_e32 v9, v8
	v_max_f32_e32 v8, v6, v6
	v_mov_b32_e32 v10, v7
	s_add_i32 s9, s9, -1
	s_waitcnt lgkmcnt(0)
	v_max_f32_e64 v7, s14, s14
	v_max_f32_e32 v7, v8, v7
	v_sub_f32_e32 v11, s14, v7
	v_sub_f32_e32 v8, v6, v7
	v_mul_f32_e32 v12, 0x3fb8aa3b, v11
	v_mov_b32_e32 v6, v7
	v_mul_f32_e32 v7, 0x3fb8aa3b, v8
	v_fma_f32 v15, v11, s6, -v12
	v_rndne_f32_e32 v16, v12
	v_fma_f32 v13, v8, s6, -v7
	v_rndne_f32_e32 v14, v7
	v_fmac_f32_e32 v15, 0x32a5705f, v11
	v_sub_f32_e32 v12, v12, v16
	v_fmac_f32_e32 v13, 0x32a5705f, v8
	v_sub_f32_e32 v7, v7, v14
	v_add_f32_e32 v12, v12, v15
	v_cvt_i32_f32_e32 v16, v16
	v_add_f32_e32 v7, v7, v13
	v_exp_f32_e32 v12, v12
	v_cvt_i32_f32_e32 v14, v14
	v_exp_f32_e32 v7, v7
	v_cmp_ngt_f32_e32 vcc, s10, v11
	v_ldexp_f32 v12, v12, v16
	v_cmp_ngt_f32_e64 s[0:1], s10, v8
	v_ldexp_f32 v7, v7, v14
	v_cndmask_b32_e32 v12, 0, v12, vcc
	v_cmp_nlt_f32_e32 vcc, s11, v11
	v_cndmask_b32_e64 v7, 0, v7, s[0:1]
	v_cmp_nlt_f32_e64 s[0:1], s11, v8
	v_cndmask_b32_e32 v12, v5, v12, vcc
	v_cmp_le_f32_e32 vcc, s12, v11
	v_cndmask_b32_e64 v7, v5, v7, s[0:1]
	v_cmp_le_f32_e64 s[0:1], s12, v8
	v_cndmask_b32_e32 v8, 0, v12, vcc
	s_sub_i32 s4, s4, 32
	v_cndmask_b32_e64 v11, 0, v7, s[0:1]
	v_mul_f32_e32 v7, s15, v8
	v_add_u32_e32 v0, 0xfffff000, v0
	s_cmp_le_i32 s9, s7
	v_fmac_f32_e32 v7, v10, v11
	s_waitcnt vmcnt(0)
	v_mul_f32_e32 v8, v1, v8
	v_fmac_f32_e32 v8, v9, v11
	s_cbranch_scc0 .LBB26_3
	s_branch .LBB26_5
.LBB26_4:
	s_waitcnt lgkmcnt(0)
	v_mov_b32_e32 v7, s10
.LBB26_5:
	s_waitcnt vmcnt(0)
	v_div_scale_f32 v0, s[0:1], v7, v7, v8
	v_rcp_f32_e32 v1, v0
	v_div_scale_f32 v4, vcc, v8, v7, v8
	v_fma_f32 v5, -v0, v1, 1.0
	v_fmac_f32_e32 v1, v5, v1
	v_mul_f32_e32 v5, v4, v1
	v_fma_f32 v6, -v0, v5, v4
	v_fmac_f32_e32 v5, v6, v1
	v_fma_f32 v0, -v0, v5, v4
	v_div_fmas_f32 v0, v0, v1, v5
	v_div_fixup_f32 v0, v0, v7, v8
	global_store_dword v[2:3], v0, off
.LBB26_6:
	s_endpgm
	.section	.rodata,"a",@progbits
	.p2align	6, 0x0
	.amdhsa_kernel _ZL33flash_attn_stream_k_fixup_uniformILi128ELi32ELi1EEvPfPK15HIP_vector_typeIfLj2EEiiiiiiS1_IjLj3EES5_S5_
		.amdhsa_group_segment_fixed_size 0
		.amdhsa_private_segment_fixed_size 0
		.amdhsa_kernarg_size 76
		.amdhsa_user_sgpr_count 6
		.amdhsa_user_sgpr_private_segment_buffer 1
		.amdhsa_user_sgpr_dispatch_ptr 0
		.amdhsa_user_sgpr_queue_ptr 0
		.amdhsa_user_sgpr_kernarg_segment_ptr 1
		.amdhsa_user_sgpr_dispatch_id 0
		.amdhsa_user_sgpr_flat_scratch_init 0
		.amdhsa_user_sgpr_kernarg_preload_length 0
		.amdhsa_user_sgpr_kernarg_preload_offset 0
		.amdhsa_user_sgpr_private_segment_size 0
		.amdhsa_uses_dynamic_stack 0
		.amdhsa_system_sgpr_private_segment_wavefront_offset 0
		.amdhsa_system_sgpr_workgroup_id_x 1
		.amdhsa_system_sgpr_workgroup_id_y 1
		.amdhsa_system_sgpr_workgroup_id_z 1
		.amdhsa_system_sgpr_workgroup_info 0
		.amdhsa_system_vgpr_workitem_id 0
		.amdhsa_next_free_vgpr 17
		.amdhsa_next_free_sgpr 20
		.amdhsa_accum_offset 20
		.amdhsa_reserve_vcc 1
		.amdhsa_reserve_flat_scratch 0
		.amdhsa_float_round_mode_32 0
		.amdhsa_float_round_mode_16_64 0
		.amdhsa_float_denorm_mode_32 3
		.amdhsa_float_denorm_mode_16_64 3
		.amdhsa_dx10_clamp 1
		.amdhsa_ieee_mode 1
		.amdhsa_fp16_overflow 0
		.amdhsa_tg_split 0
		.amdhsa_exception_fp_ieee_invalid_op 0
		.amdhsa_exception_fp_denorm_src 0
		.amdhsa_exception_fp_ieee_div_zero 0
		.amdhsa_exception_fp_ieee_overflow 0
		.amdhsa_exception_fp_ieee_underflow 0
		.amdhsa_exception_fp_ieee_inexact 0
		.amdhsa_exception_int_div_zero 0
	.end_amdhsa_kernel
	.section	.text._ZL33flash_attn_stream_k_fixup_uniformILi128ELi32ELi1EEvPfPK15HIP_vector_typeIfLj2EEiiiiiiS1_IjLj3EES5_S5_,"axG",@progbits,_ZL33flash_attn_stream_k_fixup_uniformILi128ELi32ELi1EEvPfPK15HIP_vector_typeIfLj2EEiiiiiiS1_IjLj3EES5_S5_,comdat
.Lfunc_end26:
	.size	_ZL33flash_attn_stream_k_fixup_uniformILi128ELi32ELi1EEvPfPK15HIP_vector_typeIfLj2EEiiiiiiS1_IjLj3EES5_S5_, .Lfunc_end26-_ZL33flash_attn_stream_k_fixup_uniformILi128ELi32ELi1EEvPfPK15HIP_vector_typeIfLj2EEiiiiiiS1_IjLj3EES5_S5_
                                        ; -- End function
	.section	.AMDGPU.csdata,"",@progbits
; Kernel info:
; codeLenInByte = 836
; NumSgprs: 24
; NumVgprs: 17
; NumAgprs: 0
; TotalNumVgprs: 17
; ScratchSize: 0
; MemoryBound: 0
; FloatMode: 240
; IeeeMode: 1
; LDSByteSize: 0 bytes/workgroup (compile time only)
; SGPRBlocks: 2
; VGPRBlocks: 2
; NumSGPRsForWavesPerEU: 24
; NumVGPRsForWavesPerEU: 17
; AccumOffset: 20
; Occupancy: 8
; WaveLimiterHint : 0
; COMPUTE_PGM_RSRC2:SCRATCH_EN: 0
; COMPUTE_PGM_RSRC2:USER_SGPR: 6
; COMPUTE_PGM_RSRC2:TRAP_HANDLER: 0
; COMPUTE_PGM_RSRC2:TGID_X_EN: 1
; COMPUTE_PGM_RSRC2:TGID_Y_EN: 1
; COMPUTE_PGM_RSRC2:TGID_Z_EN: 1
; COMPUTE_PGM_RSRC2:TIDIG_COMP_CNT: 0
; COMPUTE_PGM_RSRC3_GFX90A:ACCUM_OFFSET: 4
; COMPUTE_PGM_RSRC3_GFX90A:TG_SPLIT: 0
	.section	.text._ZL33flash_attn_stream_k_fixup_generalILi128ELi32ELi1EEvPfPK15HIP_vector_typeIfLj2EEiiiiS1_IjLj3EES5_S5_S5_,"axG",@progbits,_ZL33flash_attn_stream_k_fixup_generalILi128ELi32ELi1EEvPfPK15HIP_vector_typeIfLj2EEiiiiS1_IjLj3EES5_S5_S5_,comdat
	.globl	_ZL33flash_attn_stream_k_fixup_generalILi128ELi32ELi1EEvPfPK15HIP_vector_typeIfLj2EEiiiiS1_IjLj3EES5_S5_S5_ ; -- Begin function _ZL33flash_attn_stream_k_fixup_generalILi128ELi32ELi1EEvPfPK15HIP_vector_typeIfLj2EEiiiiS1_IjLj3EES5_S5_S5_
	.p2align	8
	.type	_ZL33flash_attn_stream_k_fixup_generalILi128ELi32ELi1EEvPfPK15HIP_vector_typeIfLj2EEiiiiS1_IjLj3EES5_S5_S5_,@function
_ZL33flash_attn_stream_k_fixup_generalILi128ELi32ELi1EEvPfPK15HIP_vector_typeIfLj2EEiiiiS1_IjLj3EES5_S5_S5_: ; @_ZL33flash_attn_stream_k_fixup_generalILi128ELi32ELi1EEvPfPK15HIP_vector_typeIfLj2EEiiiiS1_IjLj3EES5_S5_S5_
; %bb.0:
	s_load_dwordx4 s[12:15], s[4:5], 0x10
	s_load_dword s9, s[4:5], 0x50
	s_mov_b32 s2, 0
	s_waitcnt lgkmcnt(0)
	s_mul_hi_i32 s3, s15, s6
	s_cmp_lg_u64 s[2:3], 0
	s_mul_i32 s2, s15, s6
	s_cbranch_scc0 .LBB27_21
; %bb.1:
	v_cvt_f32_u32_e32 v1, s9
	v_cvt_f32_ubyte0_e32 v2, 0
	s_sub_u32 s10, 0, s9
	s_subb_u32 s11, 0, 0
	v_madmk_f32 v1, v2, 0x4f800000, v1
	v_rcp_f32_e32 v1, v1
	v_mul_f32_e32 v1, 0x5f7ffffc, v1
	v_mul_f32_e32 v2, 0x2f800000, v1
	v_trunc_f32_e32 v2, v2
	v_madmk_f32 v1, v2, 0xcf800000, v1
	v_cvt_u32_f32_e32 v2, v2
	v_cvt_u32_f32_e32 v1, v1
	v_readfirstlane_b32 s16, v2
	v_readfirstlane_b32 s17, v1
	s_mul_i32 s18, s10, s16
	s_mul_hi_u32 s20, s10, s17
	s_mul_i32 s19, s11, s17
	s_add_i32 s18, s20, s18
	s_add_i32 s18, s18, s19
	s_mul_i32 s21, s10, s17
	s_mul_hi_u32 s19, s17, s18
	s_mul_i32 s20, s17, s18
	s_mul_hi_u32 s17, s17, s21
	s_add_u32 s17, s17, s20
	s_addc_u32 s19, 0, s19
	s_mul_hi_u32 s22, s16, s21
	s_mul_i32 s21, s16, s21
	s_add_u32 s17, s17, s21
	s_mul_hi_u32 s20, s16, s18
	s_addc_u32 s17, s19, s22
	s_addc_u32 s19, s20, 0
	s_mul_i32 s18, s16, s18
	s_add_u32 s17, s17, s18
	s_addc_u32 s18, 0, s19
	v_add_co_u32_e32 v1, vcc, s17, v1
	s_cmp_lg_u64 vcc, 0
	s_addc_u32 s16, s16, s18
	v_readfirstlane_b32 s18, v1
	s_mul_i32 s17, s10, s16
	s_mul_hi_u32 s19, s10, s18
	s_add_i32 s17, s19, s17
	s_mul_i32 s11, s11, s18
	s_add_i32 s17, s17, s11
	s_mul_i32 s10, s10, s18
	s_mul_hi_u32 s19, s16, s10
	s_mul_i32 s20, s16, s10
	s_mul_i32 s22, s18, s17
	s_mul_hi_u32 s10, s18, s10
	s_mul_hi_u32 s21, s18, s17
	s_add_u32 s10, s10, s22
	s_addc_u32 s18, 0, s21
	s_add_u32 s10, s10, s20
	s_mul_hi_u32 s11, s16, s17
	s_addc_u32 s10, s18, s19
	s_addc_u32 s11, s11, 0
	s_mul_i32 s17, s16, s17
	s_add_u32 s10, s10, s17
	s_addc_u32 s11, 0, s11
	v_add_co_u32_e32 v1, vcc, s10, v1
	s_cmp_lg_u64 vcc, 0
	s_addc_u32 s18, s16, s11
	s_ashr_i32 s10, s3, 31
	s_add_u32 s16, s2, s10
	s_mov_b32 s11, s10
	s_addc_u32 s17, s3, s10
	s_xor_b64 s[16:17], s[16:17], s[10:11]
	v_readfirstlane_b32 s20, v1
	s_mul_i32 s19, s16, s18
	s_mul_hi_u32 s21, s16, s20
	s_mul_hi_u32 s3, s16, s18
	s_add_u32 s19, s21, s19
	s_addc_u32 s3, 0, s3
	s_mul_hi_u32 s22, s17, s20
	s_mul_i32 s20, s17, s20
	s_add_u32 s19, s19, s20
	s_mul_hi_u32 s21, s17, s18
	s_addc_u32 s3, s3, s22
	s_addc_u32 s19, s21, 0
	s_mul_i32 s18, s17, s18
	s_add_u32 s3, s3, s18
	s_addc_u32 s18, 0, s19
	s_add_u32 s19, s3, 1
	s_addc_u32 s20, s18, 0
	s_add_u32 s21, s3, 2
	s_mul_i32 s23, s9, s18
	s_mul_hi_u32 s24, s9, s3
	s_addc_u32 s22, s18, 0
	s_add_i32 s24, s24, s23
	s_mul_i32 s23, s9, s3
	v_mov_b32_e32 v1, s23
	v_sub_co_u32_e32 v1, vcc, s16, v1
	s_cmp_lg_u64 vcc, 0
	s_subb_u32 s16, s17, s24
	v_subrev_co_u32_e32 v2, vcc, s9, v1
	s_cmp_lg_u64 vcc, 0
	s_subb_u32 s17, s16, 0
	v_readfirstlane_b32 s23, v2
	s_cmp_ge_u32 s23, s9
	s_cselect_b32 s23, -1, 0
	s_cmp_eq_u32 s17, 0
	s_cselect_b32 s17, s23, -1
	s_cmp_lg_u32 s17, 0
	s_cselect_b32 s17, s22, s20
	v_readfirstlane_b32 s20, v1
	s_cselect_b32 s19, s21, s19
	s_cmp_ge_u32 s20, s9
	s_cselect_b32 s20, -1, 0
	s_cmp_eq_u32 s16, 0
	s_cselect_b32 s16, s20, -1
	s_cmp_lg_u32 s16, 0
	s_cselect_b32 s17, s17, s18
	s_cselect_b32 s16, s19, s3
	s_xor_b64 s[16:17], s[16:17], s[10:11]
	s_sub_u32 s20, s16, s10
	s_load_dwordx4 s[16:19], s[4:5], 0x44
	s_cbranch_execnz .LBB27_3
.LBB27_2:
	v_cvt_f32_u32_e32 v1, s9
	s_sub_i32 s0, 0, s9
	v_rcp_iflag_f32_e32 v1, v1
	v_mul_f32_e32 v1, 0x4f7ffffe, v1
	v_cvt_u32_f32_e32 v1, v1
	v_readfirstlane_b32 s1, v1
	s_mul_i32 s0, s0, s1
	s_mul_hi_u32 s0, s1, s0
	s_add_i32 s1, s1, s0
	s_mul_hi_u32 s0, s2, s1
	s_mul_i32 s3, s0, s9
	s_sub_i32 s2, s2, s3
	s_add_i32 s1, s0, 1
	s_sub_i32 s3, s2, s9
	s_cmp_ge_u32 s2, s9
	s_cselect_b32 s0, s1, s0
	s_cselect_b32 s2, s3, s2
	s_add_i32 s1, s0, 1
	s_cmp_ge_u32 s2, s9
	s_cselect_b32 s20, s1, s0
.LBB27_3:
	s_add_i32 s0, s6, 1
	s_mul_hi_i32 s3, s15, s0
	s_mov_b32 s2, 0
	s_cmp_lg_u64 s[2:3], 0
	s_mul_i32 s2, s15, s0
	s_cbranch_scc0 .LBB27_22
; %bb.4:
	v_cvt_f32_u32_e32 v1, s9
	v_cvt_f32_ubyte0_e32 v2, 0
	s_sub_u32 s10, 0, s9
	s_subb_u32 s11, 0, 0
	v_madmk_f32 v1, v2, 0x4f800000, v1
	v_rcp_f32_e32 v1, v1
	v_mul_f32_e32 v1, 0x5f7ffffc, v1
	v_mul_f32_e32 v2, 0x2f800000, v1
	v_trunc_f32_e32 v2, v2
	v_madmk_f32 v1, v2, 0xcf800000, v1
	v_cvt_u32_f32_e32 v2, v2
	v_cvt_u32_f32_e32 v1, v1
	s_waitcnt lgkmcnt(0)
	v_readfirstlane_b32 s19, v2
	v_readfirstlane_b32 s21, v1
	s_mul_i32 s22, s10, s19
	s_mul_hi_u32 s24, s10, s21
	s_mul_i32 s23, s11, s21
	s_add_i32 s22, s24, s22
	s_add_i32 s22, s22, s23
	s_mul_i32 s25, s10, s21
	s_mul_hi_u32 s23, s21, s22
	s_mul_i32 s24, s21, s22
	s_mul_hi_u32 s21, s21, s25
	s_add_u32 s21, s21, s24
	s_addc_u32 s23, 0, s23
	s_mul_hi_u32 s26, s19, s25
	s_mul_i32 s25, s19, s25
	s_add_u32 s21, s21, s25
	s_mul_hi_u32 s24, s19, s22
	s_addc_u32 s21, s23, s26
	s_addc_u32 s23, s24, 0
	s_mul_i32 s22, s19, s22
	s_add_u32 s21, s21, s22
	s_addc_u32 s22, 0, s23
	v_add_co_u32_e32 v1, vcc, s21, v1
	s_cmp_lg_u64 vcc, 0
	s_addc_u32 s19, s19, s22
	v_readfirstlane_b32 s22, v1
	s_mul_i32 s21, s10, s19
	s_mul_hi_u32 s23, s10, s22
	s_add_i32 s21, s23, s21
	s_mul_i32 s11, s11, s22
	s_add_i32 s21, s21, s11
	s_mul_i32 s10, s10, s22
	s_mul_hi_u32 s23, s19, s10
	s_mul_i32 s24, s19, s10
	s_mul_i32 s26, s22, s21
	s_mul_hi_u32 s10, s22, s10
	s_mul_hi_u32 s25, s22, s21
	s_add_u32 s10, s10, s26
	s_addc_u32 s22, 0, s25
	s_add_u32 s10, s10, s24
	s_mul_hi_u32 s11, s19, s21
	s_addc_u32 s10, s22, s23
	s_addc_u32 s11, s11, 0
	s_mul_i32 s21, s19, s21
	s_add_u32 s10, s10, s21
	s_addc_u32 s11, 0, s11
	v_add_co_u32_e32 v1, vcc, s10, v1
	s_cmp_lg_u64 vcc, 0
	s_addc_u32 s19, s19, s11
	s_ashr_i32 s10, s3, 31
	s_add_u32 s22, s2, s10
	s_mov_b32 s11, s10
	s_addc_u32 s23, s3, s10
	s_xor_b64 s[22:23], s[22:23], s[10:11]
	v_readfirstlane_b32 s21, v1
	s_mul_i32 s11, s22, s19
	s_mul_hi_u32 s24, s22, s21
	s_mul_hi_u32 s3, s22, s19
	s_add_u32 s11, s24, s11
	s_addc_u32 s3, 0, s3
	s_mul_hi_u32 s25, s23, s21
	s_mul_i32 s21, s23, s21
	s_add_u32 s11, s11, s21
	s_mul_hi_u32 s24, s23, s19
	s_addc_u32 s3, s3, s25
	s_addc_u32 s11, s24, 0
	s_mul_i32 s19, s23, s19
	s_add_u32 s3, s3, s19
	s_addc_u32 s11, 0, s11
	s_mul_i32 s11, s9, s11
	s_mul_hi_u32 s24, s9, s3
	s_add_i32 s24, s24, s11
	s_mul_i32 s11, s9, s3
	v_mov_b32_e32 v1, s11
	s_add_u32 s19, s3, 1
	s_add_u32 s21, s3, 2
	v_sub_co_u32_e32 v1, vcc, s22, v1
	s_cmp_lg_u64 vcc, 0
	s_subb_u32 s11, s23, s24
	v_subrev_co_u32_e32 v2, vcc, s9, v1
	s_cmp_lg_u64 vcc, 0
	s_subb_u32 s22, s11, 0
	v_cmp_le_u32_e32 vcc, s9, v2
	s_cmp_eq_u32 s22, 0
	v_cndmask_b32_e64 v2, 0, -1, vcc
	s_cselect_b64 vcc, -1, 0
	v_cndmask_b32_e32 v2, -1, v2, vcc
	v_mov_b32_e32 v3, s19
	v_mov_b32_e32 v4, s21
	v_cmp_ne_u32_e32 vcc, 0, v2
	v_cndmask_b32_e32 v2, v3, v4, vcc
	v_cmp_le_u32_e32 vcc, s9, v1
	s_cmp_eq_u32 s11, 0
	v_cndmask_b32_e64 v1, 0, -1, vcc
	s_cselect_b64 vcc, -1, 0
	v_cndmask_b32_e32 v1, -1, v1, vcc
	v_mov_b32_e32 v3, s3
	v_cmp_ne_u32_e32 vcc, 0, v1
	v_cndmask_b32_e32 v1, v3, v2, vcc
	v_xor_b32_e32 v1, s10, v1
	v_subrev_co_u32_e32 v2, vcc, s10, v1
	s_cbranch_execnz .LBB27_6
.LBB27_5:
	v_cvt_f32_u32_e32 v1, s9
	s_sub_i32 s0, 0, s9
	s_mov_b32 s1, 0
	v_rcp_iflag_f32_e32 v1, v1
	v_mul_f32_e32 v1, 0x4f7ffffe, v1
	v_cvt_u32_f32_e32 v1, v1
	v_readfirstlane_b32 s3, v1
	s_mul_i32 s0, s0, s3
	s_mul_hi_u32 s0, s3, s0
	s_add_i32 s3, s3, s0
	s_mul_hi_u32 s0, s2, s3
	s_mul_i32 s10, s0, s9
	s_sub_i32 s2, s2, s10
	s_add_i32 s3, s0, 1
	s_sub_i32 s10, s2, s9
	s_cmp_ge_u32 s2, s9
	s_cselect_b32 s0, s3, s0
	s_cselect_b32 s2, s10, s2
	s_add_i32 s3, s0, 1
	s_cmp_ge_u32 s2, s9
	s_cselect_b32 s0, s3, s0
	v_pk_mov_b32 v[2:3], s[0:1], s[0:1] op_sel:[0,1]
.LBB27_6:
	s_waitcnt lgkmcnt(0)
	s_mul_hi_u32 s0, s20, s16
	s_add_i32 s0, s0, s20
	v_mul_hi_u32 v1, v2, s16
	s_lshr_b32 s19, s0, s17
	v_add_u32_e32 v1, v1, v2
	s_mul_i32 s0, s19, s18
	v_lshrrev_b32_e32 v1, s17, v1
	s_cmp_eq_u32 s0, s20
	v_cmp_eq_u32_e64 s[0:1], s19, v1
	v_mul_lo_u32 v1, v1, s18
	v_cmp_eq_u32_e32 vcc, s20, v2
	s_cselect_b64 s[10:11], -1, 0
	v_cmp_ne_u32_e64 s[2:3], v1, v2
	s_and_b64 s[0:1], s[0:1], s[2:3]
	s_or_b64 s[2:3], vcc, s[10:11]
	s_or_b64 s[0:1], s[2:3], s[0:1]
	s_and_b64 vcc, exec, s[0:1]
	s_cbranch_vccnz .LBB27_24
; %bb.7:
	s_load_dwordx8 s[24:31], s[4:5], 0x20
	s_load_dword s0, s[4:5], 0x40
	s_mov_b32 s10, 0
	s_waitcnt lgkmcnt(0)
	s_mul_hi_u32 s1, s20, s24
	s_add_i32 s1, s1, s20
	s_lshr_b32 s11, s1, s25
	s_mul_i32 s1, s11, s26
	s_sub_i32 s1, s20, s1
	s_mul_hi_u32 s2, s1, s27
	s_add_i32 s2, s1, s2
	s_lshr_b32 s25, s2, s28
	s_mul_i32 s2, s25, s29
	s_sub_i32 s1, s1, s2
	;; [unrolled: 5-line block ×3, first 2 shown]
	s_mul_hi_u32 s1, s0, s16
	s_add_i32 s0, s0, s1
	s_lshr_b32 s26, s0, s17
	s_lshl_b32 s0, s26, 5
	s_add_i32 s0, s0, s7
	s_cmp_lt_i32 s0, s12
	s_cselect_b64 s[0:1], -1, 0
	s_add_i32 s2, s24, s8
	s_cmp_lt_i32 s2, s14
	s_cselect_b64 s[2:3], -1, 0
	s_and_b64 s[0:1], s[0:1], s[2:3]
	s_andn2_b64 vcc, exec, s[0:1]
	s_cbranch_vccnz .LBB27_24
; %bb.8:
	s_load_dwordx4 s[0:3], s[4:5], 0x0
	s_lshl_b32 s4, s9, 7
	s_mov_b32 s5, s10
	s_add_i32 s21, s7, s8
	s_lshl_b64 s[4:5], s[4:5], 2
	s_waitcnt lgkmcnt(0)
	s_add_u32 s22, s2, s4
	s_mul_i32 s4, s11, s12
	s_addc_u32 s23, s3, s5
	s_add_i32 s4, s4, s7
	s_mul_i32 s4, s4, s13
	s_mul_i32 s25, s25, s14
	s_add_i32 s4, s4, s8
	s_add_i32 s4, s4, s25
	s_mul_i32 s5, s13, s26
	s_add_i32 s4, s4, s24
	s_lshl_b32 s5, s5, 12
	s_lshl_b32 s4, s4, 7
	s_add_i32 s5, s5, s4
	v_or_b32_e32 v2, s5, v0
	v_ashrrev_i32_e32 v3, 31, v2
	v_lshlrev_b64 v[2:3], 2, v[2:3]
	v_mov_b32_e32 v1, s1
	v_add_co_u32_e32 v2, vcc, s0, v2
	v_addc_co_u32_e32 v3, vcc, v1, v3, vcc
	global_load_dword v5, v[2:3], off
	v_lshl_or_b32 v4, s21, 7, v0
	v_cvt_f32_u32_e32 v0, s9
	v_cvt_f32_ubyte0_e32 v1, 0
	s_lshl_b32 s0, s6, 5
	s_add_i32 s0, s0, s21
	v_mac_f32_e32 v0, 0x4f800000, v1
	v_rcp_f32_e32 v0, v0
	v_cvt_f32_u32_e32 v1, s9
	s_ashr_i32 s1, s0, 31
	s_lshl_b64 s[0:1], s[0:1], 3
	v_mul_f32_e32 v0, 0x5f7ffffc, v0
	v_rcp_iflag_f32_e32 v1, v1
	s_add_u32 s0, s2, s0
	v_mul_f32_e32 v9, 0x2f800000, v0
	s_addc_u32 s1, s3, s1
	v_trunc_f32_e32 v10, v9
	s_load_dwordx2 s[0:1], s[0:1], 0x0
	v_mac_f32_e32 v0, 0xcf800000, v10
	v_cvt_u32_f32_e32 v9, v0
	v_mul_f32_e32 v0, 0x4f7ffffe, v1
	v_cvt_u32_f32_e32 v10, v10
	v_cvt_u32_f32_e32 v11, v0
	s_add_i32 s8, s6, -1
	s_waitcnt lgkmcnt(0)
	v_mov_b32_e32 v6, s1
	v_mov_b32_e32 v7, s0
	;; [unrolled: 1-line block ×3, first 2 shown]
	s_mov_b32 s6, 0x3fb8aa3b
	s_mov_b32 s7, 0xc2ce8ed0
	;; [unrolled: 1-line block ×4, first 2 shown]
	v_mov_b32_e32 v12, 0x7f800000
	s_mul_hi_i32 s11, s8, s15
	s_cmp_lg_u64 s[10:11], 0
	s_mul_i32 s4, s8, s15
	s_cbranch_scc0 .LBB27_15
.LBB27_9:
	s_sub_u32 s0, 0, s9
	v_readfirstlane_b32 s5, v9
	v_readfirstlane_b32 s24, v10
	s_subb_u32 s1, 0, 0
	s_mul_hi_u32 s20, s0, s5
	s_mul_i32 s25, s0, s24
	s_mul_i32 s14, s1, s5
	s_add_i32 s20, s20, s25
	s_add_i32 s20, s20, s14
	s_mul_i32 s26, s0, s5
	s_mul_hi_u32 s14, s5, s20
	s_mul_i32 s25, s5, s20
	s_mul_hi_u32 s5, s5, s26
	s_add_u32 s5, s5, s25
	s_addc_u32 s14, 0, s14
	s_mul_hi_u32 s27, s24, s26
	s_mul_i32 s26, s24, s26
	s_add_u32 s5, s5, s26
	s_mul_hi_u32 s25, s24, s20
	s_addc_u32 s5, s14, s27
	s_addc_u32 s14, s25, 0
	s_mul_i32 s20, s24, s20
	s_add_u32 s5, s5, s20
	s_addc_u32 s14, 0, s14
	v_add_co_u32_e32 v0, vcc, s5, v9
	s_cmp_lg_u64 vcc, 0
	s_addc_u32 s5, s24, s14
	v_readfirstlane_b32 s20, v0
	s_mul_i32 s14, s0, s5
	s_mul_hi_u32 s24, s0, s20
	s_add_i32 s14, s24, s14
	s_mul_i32 s1, s1, s20
	s_add_i32 s14, s14, s1
	s_mul_i32 s0, s0, s20
	s_mul_hi_u32 s24, s5, s0
	s_mul_i32 s25, s5, s0
	s_mul_i32 s27, s20, s14
	s_mul_hi_u32 s0, s20, s0
	s_mul_hi_u32 s26, s20, s14
	s_add_u32 s0, s0, s27
	s_addc_u32 s20, 0, s26
	s_add_u32 s0, s0, s25
	s_mul_hi_u32 s1, s5, s14
	s_addc_u32 s0, s20, s24
	s_addc_u32 s1, s1, 0
	s_mul_i32 s14, s5, s14
	s_add_u32 s0, s0, s14
	s_addc_u32 s1, 0, s1
	v_add_co_u32_e32 v0, vcc, s0, v0
	s_cmp_lg_u64 vcc, 0
	s_addc_u32 s5, s5, s1
	s_ashr_i32 s0, s11, 31
	s_add_u32 s24, s4, s0
	s_mov_b32 s1, s0
	s_addc_u32 s25, s11, s0
	s_xor_b64 s[24:25], s[24:25], s[0:1]
	v_readfirstlane_b32 s14, v0
	s_mul_i32 s11, s24, s5
	s_mul_hi_u32 s20, s24, s14
	s_mul_hi_u32 s1, s24, s5
	s_add_u32 s11, s20, s11
	s_addc_u32 s1, 0, s1
	s_mul_hi_u32 s26, s25, s14
	s_mul_i32 s14, s25, s14
	s_add_u32 s11, s11, s14
	s_mul_hi_u32 s20, s25, s5
	s_addc_u32 s1, s1, s26
	s_addc_u32 s11, s20, 0
	s_mul_i32 s5, s25, s5
	s_add_u32 s1, s1, s5
	s_addc_u32 s5, 0, s11
	s_mul_i32 s5, s9, s5
	s_mul_hi_u32 s20, s9, s1
	s_add_i32 s20, s20, s5
	s_mul_i32 s5, s9, s1
	v_mov_b32_e32 v0, s5
	s_add_u32 s11, s1, 1
	s_add_u32 s14, s1, 2
	v_sub_co_u32_e32 v0, vcc, s24, v0
	s_cmp_lg_u64 vcc, 0
	s_subb_u32 s5, s25, s20
	v_subrev_co_u32_e32 v1, vcc, s9, v0
	s_cmp_lg_u64 vcc, 0
	s_subb_u32 s20, s5, 0
	v_cmp_le_u32_e32 vcc, s9, v1
	s_cmp_eq_u32 s20, 0
	v_cndmask_b32_e64 v1, 0, -1, vcc
	s_cselect_b64 vcc, -1, 0
	v_cndmask_b32_e32 v1, -1, v1, vcc
	v_mov_b32_e32 v13, s11
	v_mov_b32_e32 v14, s14
	v_cmp_ne_u32_e32 vcc, 0, v1
	v_cndmask_b32_e32 v1, v13, v14, vcc
	v_cmp_le_u32_e32 vcc, s9, v0
	s_cmp_eq_u32 s5, 0
	v_cndmask_b32_e64 v0, 0, -1, vcc
	s_cselect_b64 vcc, -1, 0
	v_cndmask_b32_e32 v0, -1, v0, vcc
	v_mov_b32_e32 v13, s1
	v_cmp_ne_u32_e32 vcc, 0, v0
	v_cndmask_b32_e32 v0, v13, v1, vcc
	v_xor_b32_e32 v0, s0, v0
	v_subrev_co_u32_e32 v0, vcc, s0, v0
	s_cbranch_execnz .LBB27_11
.LBB27_10:
	s_sub_i32 s0, 0, s9
	v_mul_lo_u32 v0, s0, v11
	v_mul_hi_u32 v0, v11, v0
	v_add_u32_e32 v0, v11, v0
	v_mul_hi_u32 v0, s4, v0
	v_mul_lo_u32 v13, v0, s9
	v_sub_u32_e32 v13, s4, v13
	v_add_u32_e32 v1, 1, v0
	v_subrev_u32_e32 v14, s9, v13
	v_cmp_le_u32_e32 vcc, s9, v13
	v_cndmask_b32_e32 v13, v13, v14, vcc
	v_cndmask_b32_e32 v0, v0, v1, vcc
	v_add_u32_e32 v1, 1, v0
	v_cmp_le_u32_e32 vcc, s9, v13
	v_cndmask_b32_e32 v0, v0, v1, vcc
.LBB27_11:
	v_cmp_ne_u32_e32 vcc, v8, v0
	s_cbranch_vccz .LBB27_14
; %bb.12:
	s_add_i32 s0, s8, s9
	s_lshl_b32 s0, s0, 5
	v_mul_hi_u32 v1, v0, s16
	s_add_i32 s0, s0, s21
	s_mov_b32 s1, s10
	v_add_u32_e32 v1, v1, v0
	s_lshl_b64 s[0:1], s[0:1], 3
	v_lshrrev_b32_e32 v1, s17, v1
	s_add_u32 s4, s2, s0
	v_mul_lo_u32 v13, v1, s18
	s_addc_u32 s5, s3, s1
	v_cmp_eq_u32_e32 vcc, v13, v0
	v_cmp_gt_u32_e64 s[0:1], s19, v1
	s_or_b64 s[0:1], s[0:1], vcc
	s_and_b64 vcc, exec, s[0:1]
	s_cbranch_vccnz .LBB27_16
; %bb.13:
	s_add_i32 s11, s8, -1
	s_mov_b64 s[0:1], 0
	s_branch .LBB27_17
.LBB27_14:
                                        ; implicit-def: $sgpr0_sgpr1
                                        ; implicit-def: $vgpr14
                                        ; implicit-def: $vgpr1
                                        ; implicit-def: $vgpr13
                                        ; implicit-def: $sgpr11
                                        ; implicit-def: $vgpr0
	s_branch .LBB27_18
.LBB27_15:
                                        ; implicit-def: $vgpr0_vgpr1
	s_branch .LBB27_10
.LBB27_16:
	s_mov_b64 s[0:1], -1
	s_mov_b32 s11, s8
	v_mov_b32_e32 v0, v8
.LBB27_17:
	v_lshl_add_u32 v14, s8, 12, v4
	v_ashrrev_i32_e32 v15, 31, v14
	v_lshlrev_b64 v[14:15], 2, v[14:15]
	v_mov_b32_e32 v1, s23
	v_add_co_u32_e32 v14, vcc, s22, v14
	v_addc_co_u32_e32 v15, vcc, v1, v15, vcc
	global_load_dword v14, v[14:15], off
	s_load_dwordx2 s[4:5], s[4:5], 0x0
	v_max_f32_e32 v1, v7, v7
	s_waitcnt lgkmcnt(0)
	v_max_f32_e64 v13, s4, s4
	v_max_f32_e32 v1, v1, v13
	v_sub_f32_e32 v13, v7, v1
	v_sub_f32_e32 v15, s4, v1
	v_mul_f32_e32 v16, 0x3fb8aa3b, v13
	v_mul_f32_e32 v17, 0x3fb8aa3b, v15
	v_fma_f32 v18, v13, s6, -v16
	v_rndne_f32_e32 v19, v16
	v_fma_f32 v20, v15, s6, -v17
	v_rndne_f32_e32 v21, v17
	v_fmac_f32_e32 v18, 0x32a5705f, v13
	v_sub_f32_e32 v16, v16, v19
	v_fmac_f32_e32 v20, 0x32a5705f, v15
	v_sub_f32_e32 v17, v17, v21
	v_add_f32_e32 v16, v16, v18
	v_cvt_i32_f32_e32 v19, v19
	v_add_f32_e32 v17, v17, v20
	v_exp_f32_e32 v16, v16
	v_cvt_i32_f32_e32 v21, v21
	v_exp_f32_e32 v17, v17
	v_cmp_ngt_f32_e32 vcc, s7, v13
	v_ldexp_f32 v16, v16, v19
	v_cndmask_b32_e32 v16, 0, v16, vcc
	v_ldexp_f32 v17, v17, v21
	v_cmp_ngt_f32_e32 vcc, s7, v15
	v_cndmask_b32_e32 v17, 0, v17, vcc
	v_cmp_nlt_f32_e32 vcc, s12, v13
	v_cndmask_b32_e32 v16, v12, v16, vcc
	v_cmp_nlt_f32_e32 vcc, s12, v15
	v_cndmask_b32_e32 v17, v12, v17, vcc
	v_cmp_le_f32_e32 vcc, s13, v13
	v_cndmask_b32_e32 v16, 0, v16, vcc
	v_cmp_le_f32_e32 vcc, s13, v15
	v_cndmask_b32_e32 v15, 0, v17, vcc
	v_mul_f32_e32 v13, s5, v15
	v_fmac_f32_e32 v13, v6, v16
	s_waitcnt vmcnt(0)
	v_mul_f32_e32 v14, v14, v15
	v_fmac_f32_e32 v14, v5, v16
	s_cbranch_execnz .LBB27_19
.LBB27_18:
	s_add_i32 s11, s8, -1
	s_mov_b64 s[0:1], 0
	v_mov_b32_e32 v0, v8
	v_mov_b32_e32 v13, v6
	;; [unrolled: 1-line block ×3, first 2 shown]
	s_waitcnt vmcnt(0)
	v_mov_b32_e32 v14, v5
.LBB27_19:
	s_andn2_b64 vcc, exec, s[0:1]
	s_cbranch_vccz .LBB27_23
; %bb.20:
	v_mov_b32_e32 v8, v0
	s_mov_b32 s8, s11
	v_mov_b32_e32 v6, v13
	v_mov_b32_e32 v7, v1
	s_waitcnt vmcnt(0)
	v_mov_b32_e32 v5, v14
	s_mul_hi_i32 s11, s8, s15
	s_cmp_lg_u64 s[10:11], 0
	s_mul_i32 s4, s8, s15
	s_cbranch_scc1 .LBB27_9
	s_branch .LBB27_15
.LBB27_21:
                                        ; implicit-def: $sgpr20_sgpr21
	s_load_dwordx4 s[16:19], s[4:5], 0x44
	s_branch .LBB27_2
.LBB27_22:
                                        ; implicit-def: $vgpr2_vgpr3
	s_branch .LBB27_5
.LBB27_23:
	v_div_scale_f32 v0, s[0:1], v13, v13, v14
	v_rcp_f32_e32 v1, v0
	v_div_scale_f32 v4, vcc, v14, v13, v14
	s_waitcnt vmcnt(0)
	v_fma_f32 v5, -v0, v1, 1.0
	v_fmac_f32_e32 v1, v5, v1
	v_mul_f32_e32 v5, v4, v1
	v_fma_f32 v6, -v0, v5, v4
	v_fmac_f32_e32 v5, v6, v1
	v_fma_f32 v0, -v0, v5, v4
	v_div_fmas_f32 v0, v0, v1, v5
	v_div_fixup_f32 v0, v0, v13, v14
	global_store_dword v[2:3], v0, off
.LBB27_24:
	s_endpgm
	.section	.rodata,"a",@progbits
	.p2align	6, 0x0
	.amdhsa_kernel _ZL33flash_attn_stream_k_fixup_generalILi128ELi32ELi1EEvPfPK15HIP_vector_typeIfLj2EEiiiiS1_IjLj3EES5_S5_S5_
		.amdhsa_group_segment_fixed_size 0
		.amdhsa_private_segment_fixed_size 0
		.amdhsa_kernarg_size 336
		.amdhsa_user_sgpr_count 6
		.amdhsa_user_sgpr_private_segment_buffer 1
		.amdhsa_user_sgpr_dispatch_ptr 0
		.amdhsa_user_sgpr_queue_ptr 0
		.amdhsa_user_sgpr_kernarg_segment_ptr 1
		.amdhsa_user_sgpr_dispatch_id 0
		.amdhsa_user_sgpr_flat_scratch_init 0
		.amdhsa_user_sgpr_kernarg_preload_length 0
		.amdhsa_user_sgpr_kernarg_preload_offset 0
		.amdhsa_user_sgpr_private_segment_size 0
		.amdhsa_uses_dynamic_stack 0
		.amdhsa_system_sgpr_private_segment_wavefront_offset 0
		.amdhsa_system_sgpr_workgroup_id_x 1
		.amdhsa_system_sgpr_workgroup_id_y 1
		.amdhsa_system_sgpr_workgroup_id_z 1
		.amdhsa_system_sgpr_workgroup_info 0
		.amdhsa_system_vgpr_workitem_id 0
		.amdhsa_next_free_vgpr 22
		.amdhsa_next_free_sgpr 32
		.amdhsa_accum_offset 24
		.amdhsa_reserve_vcc 1
		.amdhsa_reserve_flat_scratch 0
		.amdhsa_float_round_mode_32 0
		.amdhsa_float_round_mode_16_64 0
		.amdhsa_float_denorm_mode_32 3
		.amdhsa_float_denorm_mode_16_64 3
		.amdhsa_dx10_clamp 1
		.amdhsa_ieee_mode 1
		.amdhsa_fp16_overflow 0
		.amdhsa_tg_split 0
		.amdhsa_exception_fp_ieee_invalid_op 0
		.amdhsa_exception_fp_denorm_src 0
		.amdhsa_exception_fp_ieee_div_zero 0
		.amdhsa_exception_fp_ieee_overflow 0
		.amdhsa_exception_fp_ieee_underflow 0
		.amdhsa_exception_fp_ieee_inexact 0
		.amdhsa_exception_int_div_zero 0
	.end_amdhsa_kernel
	.section	.text._ZL33flash_attn_stream_k_fixup_generalILi128ELi32ELi1EEvPfPK15HIP_vector_typeIfLj2EEiiiiS1_IjLj3EES5_S5_S5_,"axG",@progbits,_ZL33flash_attn_stream_k_fixup_generalILi128ELi32ELi1EEvPfPK15HIP_vector_typeIfLj2EEiiiiS1_IjLj3EES5_S5_S5_,comdat
.Lfunc_end27:
	.size	_ZL33flash_attn_stream_k_fixup_generalILi128ELi32ELi1EEvPfPK15HIP_vector_typeIfLj2EEiiiiS1_IjLj3EES5_S5_S5_, .Lfunc_end27-_ZL33flash_attn_stream_k_fixup_generalILi128ELi32ELi1EEvPfPK15HIP_vector_typeIfLj2EEiiiiS1_IjLj3EES5_S5_S5_
                                        ; -- End function
	.section	.AMDGPU.csdata,"",@progbits
; Kernel info:
; codeLenInByte = 2816
; NumSgprs: 36
; NumVgprs: 22
; NumAgprs: 0
; TotalNumVgprs: 22
; ScratchSize: 0
; MemoryBound: 0
; FloatMode: 240
; IeeeMode: 1
; LDSByteSize: 0 bytes/workgroup (compile time only)
; SGPRBlocks: 4
; VGPRBlocks: 2
; NumSGPRsForWavesPerEU: 36
; NumVGPRsForWavesPerEU: 22
; AccumOffset: 24
; Occupancy: 8
; WaveLimiterHint : 0
; COMPUTE_PGM_RSRC2:SCRATCH_EN: 0
; COMPUTE_PGM_RSRC2:USER_SGPR: 6
; COMPUTE_PGM_RSRC2:TRAP_HANDLER: 0
; COMPUTE_PGM_RSRC2:TGID_X_EN: 1
; COMPUTE_PGM_RSRC2:TGID_Y_EN: 1
; COMPUTE_PGM_RSRC2:TGID_Z_EN: 1
; COMPUTE_PGM_RSRC2:TIDIG_COMP_CNT: 0
; COMPUTE_PGM_RSRC3_GFX90A:ACCUM_OFFSET: 5
; COMPUTE_PGM_RSRC3_GFX90A:TG_SPLIT: 0
	.section	.text._ZL26flash_attn_combine_resultsILi128EEvPKfPK15HIP_vector_typeIfLj2EEPfi,"axG",@progbits,_ZL26flash_attn_combine_resultsILi128EEvPKfPK15HIP_vector_typeIfLj2EEPfi,comdat
	.globl	_ZL26flash_attn_combine_resultsILi128EEvPKfPK15HIP_vector_typeIfLj2EEPfi ; -- Begin function _ZL26flash_attn_combine_resultsILi128EEvPKfPK15HIP_vector_typeIfLj2EEPfi
	.p2align	8
	.type	_ZL26flash_attn_combine_resultsILi128EEvPKfPK15HIP_vector_typeIfLj2EEPfi,@function
_ZL26flash_attn_combine_resultsILi128EEvPKfPK15HIP_vector_typeIfLj2EEPfi: ; @_ZL26flash_attn_combine_resultsILi128EEvPKfPK15HIP_vector_typeIfLj2EEPfi
; %bb.0:
	s_load_dwordx2 s[10:11], s[4:5], 0x20
	s_load_dword s17, s[4:5], 0x18
	s_load_dwordx4 s[0:3], s[4:5], 0x0
	s_load_dwordx2 s[14:15], s[4:5], 0x10
	s_waitcnt lgkmcnt(0)
	s_mul_i32 s4, s10, s8
	s_add_i32 s4, s4, s6
	s_mul_i32 s16, s4, s11
	s_add_i32 s16, s16, s7
	s_lshl_b32 s18, s17, 1
	s_mul_i32 s4, s16, s17
	v_cmp_gt_i32_e32 vcc, s18, v0
	s_and_saveexec_b64 s[6:7], vcc
	s_cbranch_execz .LBB28_13
; %bb.1:
	v_xad_u32 v1, v0, -1, s18
	s_movk_i32 s8, 0x7f
	s_ashr_i32 s5, s4, 31
	v_cmp_lt_u32_e32 vcc, s8, v1
	s_mov_b64 s[10:11], -1
	v_mov_b32_e32 v2, v0
	s_and_saveexec_b64 s[8:9], vcc
	s_cbranch_execz .LBB28_10
; %bb.2:
	v_lshrrev_b32_e32 v6, 7, v1
	s_lshl_b64 s[10:11], s[4:5], 3
	v_add_u32_e32 v2, -1, v6
	s_add_u32 s19, s2, s10
	v_or_b32_e32 v1, 0x80, v0
	v_lshrrev_b32_e32 v3, 1, v2
	s_addc_u32 s20, s3, s11
	v_add_u32_e32 v7, 1, v3
	v_cmp_lt_u32_e32 vcc, 13, v2
	v_mov_b32_e32 v4, 0
	v_pk_mov_b32 v[2:3], v[0:1], v[0:1] op_sel:[0,1]
	s_and_saveexec_b64 s[10:11], vcc
	s_cbranch_execz .LBB28_6
; %bb.3:
	v_and_b32_e32 v8, -8, v7
	s_mov_b32 s21, 0
	v_lshl_add_u32 v9, v0, 2, 0
	s_mov_b64 s[12:13], 0
	v_mov_b32_e32 v10, s20
	v_mov_b32_e32 v5, 0
	v_pk_mov_b32 v[2:3], v[0:1], v[0:1] op_sel:[0,1]
.LBB28_4:                               ; =>This Inner Loop Header: Depth=1
	v_mov_b32_e32 v4, v2
	v_lshlrev_b64 v[26:27], 2, v[4:5]
	v_add_u32_e32 v12, 0x100, v3
	v_mov_b32_e32 v13, v5
	v_add_co_u32_e32 v26, vcc, s19, v26
	v_lshlrev_b64 v[12:13], 2, v[12:13]
	v_addc_co_u32_e32 v27, vcc, v10, v27, vcc
	v_add_u32_e32 v14, 0x200, v3
	v_mov_b32_e32 v15, v5
	v_add_co_u32_e32 v12, vcc, s19, v12
	v_lshlrev_b64 v[14:15], 2, v[14:15]
	v_addc_co_u32_e32 v13, vcc, v10, v13, vcc
	;; [unrolled: 5-line block ×7, first 2 shown]
	v_mov_b32_e32 v4, v3
	v_add_co_u32_e32 v24, vcc, s19, v24
	v_lshlrev_b64 v[28:29], 2, v[4:5]
	v_addc_co_u32_e32 v25, vcc, v10, v25, vcc
	v_add_u32_e32 v4, 0x100, v2
	v_add_co_u32_e32 v28, vcc, s19, v28
	v_addc_co_u32_e32 v29, vcc, v10, v29, vcc
	global_load_dword v1, v[26:27], off
	v_lshlrev_b64 v[26:27], 2, v[4:5]
	v_add_u32_e32 v4, 0x200, v2
	v_add_co_u32_e32 v26, vcc, s19, v26
	v_addc_co_u32_e32 v27, vcc, v10, v27, vcc
	v_lshlrev_b64 v[30:31], 2, v[4:5]
	v_add_u32_e32 v4, 0x300, v2
	global_load_dword v11, v[28:29], off
	global_load_dword v32, v[26:27], off
	;; [unrolled: 1-line block ×3, first 2 shown]
	v_add_co_u32_e32 v12, vcc, s19, v30
	v_addc_co_u32_e32 v13, vcc, v10, v31, vcc
	v_lshlrev_b64 v[26:27], 2, v[4:5]
	v_add_u32_e32 v4, 0x400, v2
	v_add_co_u32_e32 v26, vcc, s19, v26
	v_addc_co_u32_e32 v27, vcc, v10, v27, vcc
	v_lshlrev_b64 v[28:29], 2, v[4:5]
	v_add_u32_e32 v4, 0x500, v2
	global_load_dword v30, v[12:13], off
	global_load_dword v31, v[14:15], off
	;; [unrolled: 1-line block ×4, first 2 shown]
	v_add_co_u32_e32 v12, vcc, s19, v28
	v_addc_co_u32_e32 v13, vcc, v10, v29, vcc
	v_lshlrev_b64 v[14:15], 2, v[4:5]
	v_add_u32_e32 v4, 0x600, v2
	v_add_co_u32_e32 v14, vcc, s19, v14
	v_addc_co_u32_e32 v15, vcc, v10, v15, vcc
	v_lshlrev_b64 v[16:17], 2, v[4:5]
	v_add_u32_e32 v4, 0x700, v2
	global_load_dword v26, v[12:13], off
	global_load_dword v27, v[18:19], off
	;; [unrolled: 1-line block ×4, first 2 shown]
	v_add_co_u32_e32 v12, vcc, s19, v16
	v_addc_co_u32_e32 v13, vcc, v10, v17, vcc
	v_lshlrev_b64 v[14:15], 2, v[4:5]
	v_add_co_u32_e32 v14, vcc, s19, v14
	v_addc_co_u32_e32 v15, vcc, v10, v15, vcc
	global_load_dword v16, v[12:13], off
	global_load_dword v17, v[22:23], off
	;; [unrolled: 1-line block ×4, first 2 shown]
	v_add_u32_e32 v8, -8, v8
	s_add_i32 s21, s21, 16
	v_cmp_eq_u32_e32 vcc, 0, v8
	v_add_u32_e32 v3, 0x800, v3
	v_mov_b32_e32 v4, s21
	s_or_b64 s[12:13], vcc, s[12:13]
	v_add_u32_e32 v2, 0x800, v2
	s_waitcnt vmcnt(14)
	ds_write2st64_b32 v9, v1, v11 offset1:2
	s_waitcnt vmcnt(12)
	ds_write2st64_b32 v9, v32, v33 offset0:4 offset1:6
	s_waitcnt vmcnt(10)
	ds_write2st64_b32 v9, v30, v31 offset0:8 offset1:10
	;; [unrolled: 2-line block ×7, first 2 shown]
	v_add_u32_e32 v9, 0x2000, v9
	s_andn2_b64 exec, exec, s[12:13]
	s_cbranch_execnz .LBB28_4
; %bb.5:
	s_or_b64 exec, exec, s[12:13]
.LBB28_6:
	s_or_b64 exec, exec, s[10:11]
	v_and_b32_e32 v1, 7, v7
	v_cmp_ne_u32_e32 vcc, 0, v1
	s_and_saveexec_b64 s[10:11], vcc
	s_cbranch_execz .LBB28_9
; %bb.7:
	v_lshlrev_b32_e32 v5, 2, v0
	v_lshl_or_b32 v4, v4, 9, v5
	v_add_u32_e32 v7, 0, v4
	s_mov_b64 s[12:13], 0
	v_mov_b32_e32 v8, s20
	v_mov_b32_e32 v5, 0
.LBB28_8:                               ; =>This Inner Loop Header: Depth=1
	v_mov_b32_e32 v4, v2
	v_lshlrev_b64 v[10:11], 2, v[4:5]
	v_mov_b32_e32 v4, v3
	v_add_co_u32_e32 v10, vcc, s19, v10
	v_addc_co_u32_e32 v11, vcc, v8, v11, vcc
	v_lshlrev_b64 v[12:13], 2, v[4:5]
	v_add_co_u32_e32 v12, vcc, s19, v12
	v_addc_co_u32_e32 v13, vcc, v8, v13, vcc
	global_load_dword v4, v[10:11], off
	global_load_dword v9, v[12:13], off
	v_add_u32_e32 v1, -1, v1
	v_cmp_eq_u32_e32 vcc, 0, v1
	v_add_u32_e32 v2, 0x100, v2
	v_add_u32_e32 v3, 0x100, v3
	s_or_b64 s[12:13], vcc, s[12:13]
	s_waitcnt vmcnt(0)
	ds_write2st64_b32 v7, v4, v9 offset1:2
	v_add_u32_e32 v7, 0x400, v7
	s_andn2_b64 exec, exec, s[12:13]
	s_cbranch_execnz .LBB28_8
.LBB28_9:
	s_or_b64 exec, exec, s[10:11]
	v_add_u32_e32 v1, 1, v6
	v_and_b32_e32 v3, 0x3fffffe, v1
	v_cmp_ne_u32_e32 vcc, v1, v3
	v_lshl_or_b32 v2, v3, 7, v0
	s_orn2_b64 s[10:11], vcc, exec
.LBB28_10:
	s_or_b64 exec, exec, s[8:9]
	s_and_b64 exec, exec, s[10:11]
	s_cbranch_execz .LBB28_13
; %bb.11:
	s_lshl_b64 s[8:9], s[4:5], 3
	v_mov_b32_e32 v3, 0
	s_add_u32 s2, s2, s8
	v_lshlrev_b64 v[4:5], 2, v[2:3]
	s_addc_u32 s3, s3, s9
	v_mov_b32_e32 v1, s3
	v_add_co_u32_e32 v4, vcc, s2, v4
	v_addc_co_u32_e32 v5, vcc, v1, v5, vcc
	v_lshl_add_u32 v1, v2, 2, 0
	s_mov_b64 s[2:3], 0
.LBB28_12:                              ; =>This Inner Loop Header: Depth=1
	global_load_dword v3, v[4:5], off
	v_add_co_u32_e32 v4, vcc, 0x200, v4
	v_add_u32_e32 v2, 0x80, v2
	v_addc_co_u32_e32 v5, vcc, 0, v5, vcc
	v_cmp_le_i32_e32 vcc, s18, v2
	s_or_b64 s[2:3], vcc, s[2:3]
	s_waitcnt vmcnt(0)
	ds_write_b32 v1, v3
	v_add_u32_e32 v1, 0x200, v1
	s_andn2_b64 exec, exec, s[2:3]
	s_cbranch_execnz .LBB28_12
.LBB28_13:
	s_or_b64 exec, exec, s[6:7]
	v_mov_b32_e32 v1, 0
	s_waitcnt lgkmcnt(0)
	s_barrier
	ds_read_b32 v1, v1
	s_cmp_lt_i32 s17, 2
	s_cbranch_scc1 .LBB28_21
; %bb.14:
	s_add_i32 s2, s17, -1
	s_add_i32 s3, s17, -2
	s_cmp_lt_u32 s3, 7
	s_cbranch_scc1 .LBB28_18
; %bb.15:
	s_mov_b32 s6, 0
	s_add_i32 s3, 0, 8
	s_and_b32 s5, s2, -8
.LBB28_16:                              ; =>This Inner Loop Header: Depth=1
	v_mov_b32_e32 v8, s3
	ds_read2_b32 v[2:3], v8 offset1:2
	ds_read2_b32 v[4:5], v8 offset0:4 offset1:6
	ds_read2_b32 v[6:7], v8 offset0:8 offset1:10
	;; [unrolled: 1-line block ×3, first 2 shown]
	s_mov_b32 s7, s6
	s_waitcnt lgkmcnt(3)
	v_max3_f32 v1, v1, v2, v3
	s_waitcnt lgkmcnt(2)
	v_max3_f32 v1, v1, v4, v5
	s_add_i32 s3, s3, 64
	s_add_i32 s6, s6, 8
	s_waitcnt lgkmcnt(1)
	v_max3_f32 v1, v1, v6, v7
	s_cmp_eq_u32 s5, s6
	s_waitcnt lgkmcnt(0)
	v_max3_f32 v1, v1, v8, v9
	s_cbranch_scc0 .LBB28_16
; %bb.17:
	s_add_i32 s3, s7, 9
	s_and_b32 s2, s2, 7
	s_cmp_eq_u32 s2, 0
	s_cbranch_scc0 .LBB28_19
	s_branch .LBB28_21
.LBB28_18:
	s_mov_b32 s3, 1
	s_and_b32 s2, s2, 7
	s_cmp_eq_u32 s2, 0
	s_cbranch_scc1 .LBB28_21
.LBB28_19:
	s_lshl_b32 s3, s3, 3
	s_add_i32 s3, s3, 0
.LBB28_20:                              ; =>This Inner Loop Header: Depth=1
	v_mov_b32_e32 v2, s3
	ds_read_b32 v2, v2
	s_waitcnt lgkmcnt(1)
	v_max_f32_e32 v1, v1, v1
	s_add_i32 s3, s3, 8
	s_add_i32 s2, s2, -1
	s_cmp_lg_u32 s2, 0
	s_waitcnt lgkmcnt(0)
	v_max_f32_e32 v2, v2, v2
	v_max_f32_e32 v1, v1, v2
	s_cbranch_scc1 .LBB28_20
.LBB28_21:
	s_cmp_lt_i32 s17, 1
	s_cbranch_scc1 .LBB28_26
; %bb.22:
	s_lshl_b32 s2, s4, 7
	s_ashr_i32 s3, s2, 31
	s_lshl_b64 s[2:3], s[2:3], 2
	s_add_u32 s18, s0, s2
	s_addc_u32 s19, s1, s3
	s_cmp_lt_u32 s17, 8
	v_mov_b32_e32 v6, 0
	s_cbranch_scc1 .LBB28_27
; %bb.23:
	s_and_b32 s20, s17, 0x7ffffff8
	v_or_b32_e32 v2, 0x380, v0
	s_mov_b32 s21, 0
	v_mov_b32_e32 v5, 0
	s_mov_b32 s22, 0x3fb8aa3b
	s_mov_b32 s23, 0xc2ce8ed0
	;; [unrolled: 1-line block ×3, first 2 shown]
	v_mov_b32_e32 v8, 0x7f800000
	v_mov_b32_e32 v9, s19
	s_mov_b32 s25, 0
	v_mov_b32_e32 v7, 0
	v_mov_b32_e32 v6, 0
.LBB28_24:                              ; =>This Inner Loop Header: Depth=1
	v_add_u32_e32 v4, 0xfffffc80, v2
	v_lshlrev_b64 v[26:27], 2, v[4:5]
	v_mov_b32_e32 v3, v5
	v_add_co_u32_e32 v26, vcc, s18, v26
	v_lshlrev_b64 v[28:29], 2, v[2:3]
	v_addc_co_u32_e32 v27, vcc, v9, v27, vcc
	v_add_u32_e32 v4, 0xfffffd00, v2
	v_add_co_u32_e32 v28, vcc, s18, v28
	v_mov_b32_e32 v22, s21
	v_lshlrev_b64 v[30:31], 2, v[4:5]
	v_addc_co_u32_e32 v29, vcc, v9, v29, vcc
	ds_read2_b64 v[10:13], v22 offset1:1
	ds_read2_b64 v[14:17], v22 offset0:2 offset1:3
	ds_read2_b64 v[18:21], v22 offset0:4 offset1:5
	;; [unrolled: 1-line block ×3, first 2 shown]
	v_add_u32_e32 v4, 0xfffffd80, v2
	global_load_dword v3, v[26:27], off
	v_add_co_u32_e32 v26, vcc, s18, v30
	v_addc_co_u32_e32 v27, vcc, v9, v31, vcc
	v_lshlrev_b64 v[30:31], 2, v[4:5]
	v_add_u32_e32 v4, 0xfffffe00, v2
	v_add_co_u32_e32 v30, vcc, s18, v30
	v_addc_co_u32_e32 v31, vcc, v9, v31, vcc
	v_lshlrev_b64 v[32:33], 2, v[4:5]
	v_add_u32_e32 v4, 0xfffffe80, v2
	global_load_dword v34, v[26:27], off
	global_load_dword v35, v[30:31], off
	v_add_co_u32_e32 v26, vcc, s18, v32
	v_addc_co_u32_e32 v27, vcc, v9, v33, vcc
	v_lshlrev_b64 v[30:31], 2, v[4:5]
	v_add_u32_e32 v4, 0xffffff00, v2
	v_add_co_u32_e32 v30, vcc, s18, v30
	v_addc_co_u32_e32 v31, vcc, v9, v31, vcc
	v_lshlrev_b64 v[32:33], 2, v[4:5]
	global_load_dword v36, v[26:27], off
	v_add_u32_e32 v4, 0xffffff80, v2
	global_load_dword v28, v[28:29], off
	v_add_co_u32_e32 v26, vcc, s18, v32
	v_addc_co_u32_e32 v27, vcc, v9, v33, vcc
	global_load_dword v42, v[30:31], off
	s_waitcnt lgkmcnt(3)
	v_sub_f32_e32 v12, v12, v1
	global_load_dword v26, v[26:27], off
	v_lshlrev_b64 v[30:31], 2, v[4:5]
	v_add_co_u32_e32 v30, vcc, s18, v30
	v_addc_co_u32_e32 v31, vcc, v9, v31, vcc
	global_load_dword v30, v[30:31], off
	s_waitcnt lgkmcnt(2)
	v_sub_f32_e32 v14, v14, v1
	v_sub_f32_e32 v10, v10, v1
	v_mul_f32_e32 v38, 0x3fb8aa3b, v12
	v_mul_f32_e32 v39, 0x3fb8aa3b, v14
	s_waitcnt lgkmcnt(1)
	v_sub_f32_e32 v18, v18, v1
	s_waitcnt lgkmcnt(0)
	v_sub_f32_e32 v22, v22, v1
	v_mul_f32_e32 v37, 0x3fb8aa3b, v10
	v_fma_f32 v45, v12, s22, -v38
	v_rndne_f32_e32 v46, v38
	v_fma_f32 v47, v14, s22, -v39
	v_rndne_f32_e32 v48, v39
	v_sub_f32_e32 v16, v16, v1
	v_sub_f32_e32 v20, v20, v1
	v_mul_f32_e32 v41, 0x3fb8aa3b, v18
	v_mul_f32_e32 v32, 0x3fb8aa3b, v22
	v_fma_f32 v33, v10, s22, -v37
	v_rndne_f32_e32 v44, v37
	v_fmac_f32_e32 v45, 0x32a5705f, v12
	v_sub_f32_e32 v38, v38, v46
	v_fmac_f32_e32 v47, 0x32a5705f, v14
	v_sub_f32_e32 v39, v39, v48
	v_mul_f32_e32 v40, 0x3fb8aa3b, v16
	v_mul_f32_e32 v43, 0x3fb8aa3b, v20
	v_fma_f32 v27, v18, s22, -v41
	v_rndne_f32_e32 v31, v41
	v_fmac_f32_e32 v33, 0x32a5705f, v10
	v_sub_f32_e32 v37, v37, v44
	v_add_f32_e32 v38, v38, v45
	v_fma_f32 v45, v22, s22, -v32
	v_add_f32_e32 v39, v39, v47
	v_rndne_f32_e32 v47, v32
	v_fma_f32 v49, v16, s22, -v40
	v_rndne_f32_e32 v50, v40
	v_fma_f32 v29, v20, s22, -v43
	v_add_f32_e32 v33, v37, v33
	v_rndne_f32_e32 v37, v43
	v_fmac_f32_e32 v27, 0x32a5705f, v18
	v_sub_f32_e32 v41, v41, v31
	v_fmac_f32_e32 v45, 0x32a5705f, v22
	v_sub_f32_e32 v32, v32, v47
	;; [unrolled: 2-line block ×3, first 2 shown]
	v_add_f32_e32 v27, v41, v27
	v_cvt_i32_f32_e32 v44, v44
	v_fmac_f32_e32 v29, 0x32a5705f, v20
	v_sub_f32_e32 v43, v43, v37
	v_add_f32_e32 v32, v32, v45
	v_exp_f32_e32 v33, v33
	v_add_f32_e32 v40, v40, v49
	v_cvt_i32_f32_e32 v46, v46
	v_cvt_i32_f32_e32 v31, v31
	;; [unrolled: 1-line block ×3, first 2 shown]
	v_add_f32_e32 v29, v43, v29
	v_exp_f32_e32 v38, v38
	v_exp_f32_e32 v27, v27
	v_exp_f32_e32 v32, v32
	v_sub_f32_e32 v24, v24, v1
	v_cvt_i32_f32_e32 v48, v48
	v_cvt_i32_f32_e32 v50, v50
	;; [unrolled: 1-line block ×3, first 2 shown]
	v_exp_f32_e32 v39, v39
	v_exp_f32_e32 v40, v40
	;; [unrolled: 1-line block ×3, first 2 shown]
	v_mul_f32_e32 v4, 0x3fb8aa3b, v24
	v_fma_f32 v49, v24, s22, -v4
	v_rndne_f32_e32 v41, v4
	v_ldexp_f32 v33, v33, v44
	v_cmp_ngt_f32_e64 s[12:13], s23, v10
	v_fmac_f32_e32 v49, 0x32a5705f, v24
	v_sub_f32_e32 v4, v4, v41
	v_ldexp_f32 v38, v38, v46
	v_cmp_ngt_f32_e32 vcc, s23, v12
	v_ldexp_f32 v27, v27, v31
	v_ldexp_f32 v31, v32, v47
	v_cndmask_b32_e64 v32, 0, v33, s[12:13]
	v_cmp_nlt_f32_e64 s[12:13], s24, v10
	v_add_f32_e32 v4, v4, v49
	v_ldexp_f32 v39, v39, v48
	v_cmp_ngt_f32_e64 s[0:1], s23, v14
	v_ldexp_f32 v40, v40, v50
	v_cmp_ngt_f32_e64 s[2:3], s23, v16
	v_cmp_ngt_f32_e64 s[4:5], s23, v18
	v_ldexp_f32 v29, v29, v37
	v_cmp_ngt_f32_e64 s[6:7], s23, v20
	v_cmp_ngt_f32_e64 s[8:9], s23, v22
	v_cndmask_b32_e32 v33, 0, v38, vcc
	v_cmp_nlt_f32_e32 vcc, s24, v12
	v_cndmask_b32_e64 v10, v8, v32, s[12:13]
	v_cvt_i32_f32_e32 v41, v41
	v_exp_f32_e32 v4, v4
	v_cndmask_b32_e64 v12, 0, v39, s[0:1]
	v_cmp_nlt_f32_e64 s[0:1], s24, v14
	v_cndmask_b32_e64 v14, 0, v40, s[2:3]
	v_cmp_nlt_f32_e64 s[2:3], s24, v16
	;; [unrolled: 2-line block ×5, first 2 shown]
	v_cndmask_b32_e32 v22, v8, v33, vcc
	v_fmac_f32_e32 v7, v10, v11
	s_waitcnt vmcnt(7)
	v_fmac_f32_e32 v6, v3, v10
	v_cndmask_b32_e64 v12, v8, v12, s[0:1]
	v_fmac_f32_e32 v7, v22, v13
	s_waitcnt vmcnt(6)
	v_fmac_f32_e32 v6, v34, v22
	v_cndmask_b32_e64 v14, v8, v14, s[2:3]
	;; [unrolled: 4-line block ×3, first 2 shown]
	v_fmac_f32_e32 v7, v14, v17
	s_waitcnt vmcnt(4)
	v_fmac_f32_e32 v6, v36, v14
	v_ldexp_f32 v4, v4, v41
	v_cmp_ngt_f32_e64 s[10:11], s23, v24
	v_cndmask_b32_e64 v18, v8, v18, s[6:7]
	v_fmac_f32_e32 v7, v16, v19
	s_waitcnt vmcnt(2)
	v_fmac_f32_e32 v6, v42, v16
	v_cndmask_b32_e64 v4, 0, v4, s[10:11]
	v_cmp_nlt_f32_e64 s[10:11], s24, v24
	v_cndmask_b32_e64 v20, v8, v20, s[8:9]
	v_fmac_f32_e32 v7, v18, v21
	s_waitcnt vmcnt(1)
	v_fmac_f32_e32 v6, v26, v18
	s_add_i32 s25, s25, 8
	s_add_i32 s21, s21, 64
	v_cndmask_b32_e64 v4, v8, v4, s[10:11]
	v_fmac_f32_e32 v7, v20, v23
	s_waitcnt vmcnt(0)
	v_fmac_f32_e32 v6, v30, v20
	s_cmp_eq_u32 s20, s25
	v_add_u32_e32 v2, 0x400, v2
	v_fmac_f32_e32 v7, v4, v25
	v_fmac_f32_e32 v6, v28, v4
	s_cbranch_scc0 .LBB28_24
; %bb.25:
	s_and_b32 s0, s17, 7
	s_cmp_eq_u32 s0, 0
	s_cbranch_scc0 .LBB28_28
	s_branch .LBB28_30
.LBB28_26:
	s_waitcnt lgkmcnt(0)
	v_mov_b32_e32 v1, 0x7fc00000
	s_branch .LBB28_31
.LBB28_27:
	s_mov_b32 s20, 0
	v_mov_b32_e32 v7, 0
	s_and_b32 s0, s17, 7
	s_cmp_eq_u32 s0, 0
	s_cbranch_scc1 .LBB28_30
.LBB28_28:
	s_lshl_b32 s1, s20, 3
	v_lshl_or_b32 v2, s20, 7, v0
	s_add_i32 s1, s1, 0
	s_mov_b32 s2, 0x3fb8aa3b
	s_mov_b32 s3, 0xc2ce8ed0
	;; [unrolled: 1-line block ×3, first 2 shown]
	v_mov_b32_e32 v4, 0x7f800000
	v_mov_b32_e32 v3, 0
	;; [unrolled: 1-line block ×3, first 2 shown]
.LBB28_29:                              ; =>This Inner Loop Header: Depth=1
	v_lshlrev_b64 v[8:9], 2, v[2:3]
	v_add_co_u32_e32 v8, vcc, s18, v8
	v_addc_co_u32_e32 v9, vcc, v5, v9, vcc
	global_load_dword v10, v[8:9], off
	v_mov_b32_e32 v8, s1
	ds_read_b64 v[8:9], v8
	s_add_i32 s1, s1, 8
	s_add_i32 s0, s0, -1
	v_add_u32_e32 v2, 0x80, v2
	s_cmp_lg_u32 s0, 0
	s_waitcnt lgkmcnt(0)
	v_sub_f32_e32 v8, v8, v1
	v_mul_f32_e32 v11, 0x3fb8aa3b, v8
	v_fma_f32 v12, v8, s2, -v11
	v_rndne_f32_e32 v13, v11
	v_fmac_f32_e32 v12, 0x32a5705f, v8
	v_sub_f32_e32 v11, v11, v13
	v_add_f32_e32 v11, v11, v12
	v_cvt_i32_f32_e32 v13, v13
	v_exp_f32_e32 v11, v11
	v_cmp_ngt_f32_e32 vcc, s3, v8
	v_ldexp_f32 v11, v11, v13
	v_cndmask_b32_e32 v11, 0, v11, vcc
	v_cmp_nlt_f32_e32 vcc, s4, v8
	v_cndmask_b32_e32 v8, v4, v11, vcc
	v_fmac_f32_e32 v7, v8, v9
	s_waitcnt vmcnt(0)
	v_fmac_f32_e32 v6, v10, v8
	s_cbranch_scc1 .LBB28_29
.LBB28_30:
	s_waitcnt lgkmcnt(0)
	v_div_scale_f32 v1, s[0:1], v7, v7, v6
	v_rcp_f32_e32 v2, v1
	v_div_scale_f32 v3, vcc, v6, v7, v6
	v_fma_f32 v4, -v1, v2, 1.0
	v_fmac_f32_e32 v2, v4, v2
	v_mul_f32_e32 v4, v3, v2
	v_fma_f32 v5, -v1, v4, v3
	v_fmac_f32_e32 v4, v5, v2
	v_fma_f32 v1, -v1, v4, v3
	v_div_fmas_f32 v1, v1, v2, v4
	v_div_fixup_f32 v1, v1, v7, v6
.LBB28_31:
	s_lshl_b32 s0, s16, 7
	s_ashr_i32 s1, s0, 31
	s_lshl_b64 s[0:1], s[0:1], 2
	s_add_u32 s0, s14, s0
	s_addc_u32 s1, s15, s1
	v_lshlrev_b32_e32 v0, 2, v0
	global_store_dword v0, v1, s[0:1]
	s_endpgm
	.section	.rodata,"a",@progbits
	.p2align	6, 0x0
	.amdhsa_kernel _ZL26flash_attn_combine_resultsILi128EEvPKfPK15HIP_vector_typeIfLj2EEPfi
		.amdhsa_group_segment_fixed_size 0
		.amdhsa_private_segment_fixed_size 0
		.amdhsa_kernarg_size 288
		.amdhsa_user_sgpr_count 6
		.amdhsa_user_sgpr_private_segment_buffer 1
		.amdhsa_user_sgpr_dispatch_ptr 0
		.amdhsa_user_sgpr_queue_ptr 0
		.amdhsa_user_sgpr_kernarg_segment_ptr 1
		.amdhsa_user_sgpr_dispatch_id 0
		.amdhsa_user_sgpr_flat_scratch_init 0
		.amdhsa_user_sgpr_kernarg_preload_length 0
		.amdhsa_user_sgpr_kernarg_preload_offset 0
		.amdhsa_user_sgpr_private_segment_size 0
		.amdhsa_uses_dynamic_stack 0
		.amdhsa_system_sgpr_private_segment_wavefront_offset 0
		.amdhsa_system_sgpr_workgroup_id_x 1
		.amdhsa_system_sgpr_workgroup_id_y 1
		.amdhsa_system_sgpr_workgroup_id_z 1
		.amdhsa_system_sgpr_workgroup_info 0
		.amdhsa_system_vgpr_workitem_id 0
		.amdhsa_next_free_vgpr 51
		.amdhsa_next_free_sgpr 26
		.amdhsa_accum_offset 52
		.amdhsa_reserve_vcc 1
		.amdhsa_reserve_flat_scratch 0
		.amdhsa_float_round_mode_32 0
		.amdhsa_float_round_mode_16_64 0
		.amdhsa_float_denorm_mode_32 3
		.amdhsa_float_denorm_mode_16_64 3
		.amdhsa_dx10_clamp 1
		.amdhsa_ieee_mode 1
		.amdhsa_fp16_overflow 0
		.amdhsa_tg_split 0
		.amdhsa_exception_fp_ieee_invalid_op 0
		.amdhsa_exception_fp_denorm_src 0
		.amdhsa_exception_fp_ieee_div_zero 0
		.amdhsa_exception_fp_ieee_overflow 0
		.amdhsa_exception_fp_ieee_underflow 0
		.amdhsa_exception_fp_ieee_inexact 0
		.amdhsa_exception_int_div_zero 0
	.end_amdhsa_kernel
	.section	.text._ZL26flash_attn_combine_resultsILi128EEvPKfPK15HIP_vector_typeIfLj2EEPfi,"axG",@progbits,_ZL26flash_attn_combine_resultsILi128EEvPKfPK15HIP_vector_typeIfLj2EEPfi,comdat
.Lfunc_end28:
	.size	_ZL26flash_attn_combine_resultsILi128EEvPKfPK15HIP_vector_typeIfLj2EEPfi, .Lfunc_end28-_ZL26flash_attn_combine_resultsILi128EEvPKfPK15HIP_vector_typeIfLj2EEPfi
                                        ; -- End function
	.section	.AMDGPU.csdata,"",@progbits
; Kernel info:
; codeLenInByte = 3048
; NumSgprs: 30
; NumVgprs: 51
; NumAgprs: 0
; TotalNumVgprs: 51
; ScratchSize: 0
; MemoryBound: 0
; FloatMode: 240
; IeeeMode: 1
; LDSByteSize: 0 bytes/workgroup (compile time only)
; SGPRBlocks: 3
; VGPRBlocks: 6
; NumSGPRsForWavesPerEU: 30
; NumVGPRsForWavesPerEU: 51
; AccumOffset: 52
; Occupancy: 8
; WaveLimiterHint : 0
; COMPUTE_PGM_RSRC2:SCRATCH_EN: 0
; COMPUTE_PGM_RSRC2:USER_SGPR: 6
; COMPUTE_PGM_RSRC2:TRAP_HANDLER: 0
; COMPUTE_PGM_RSRC2:TGID_X_EN: 1
; COMPUTE_PGM_RSRC2:TGID_Y_EN: 1
; COMPUTE_PGM_RSRC2:TGID_Z_EN: 1
; COMPUTE_PGM_RSRC2:TIDIG_COMP_CNT: 0
; COMPUTE_PGM_RSRC3_GFX90A:ACCUM_OFFSET: 12
; COMPUTE_PGM_RSRC3_GFX90A:TG_SPLIT: 0
	.section	.text._ZL18flash_attn_ext_f16ILi256ELi256ELi32ELi1ELb0ELb0EEvPKcS1_S1_S1_S1_PKiPfP15HIP_vector_typeIfLj2EEffffjfiS5_IjLj3EEiiiiiiiiiiiliiliiiiil,"axG",@progbits,_ZL18flash_attn_ext_f16ILi256ELi256ELi32ELi1ELb0ELb0EEvPKcS1_S1_S1_S1_PKiPfP15HIP_vector_typeIfLj2EEffffjfiS5_IjLj3EEiiiiiiiiiiiliiliiiiil,comdat
	.globl	_ZL18flash_attn_ext_f16ILi256ELi256ELi32ELi1ELb0ELb0EEvPKcS1_S1_S1_S1_PKiPfP15HIP_vector_typeIfLj2EEffffjfiS5_IjLj3EEiiiiiiiiiiiliiliiiiil ; -- Begin function _ZL18flash_attn_ext_f16ILi256ELi256ELi32ELi1ELb0ELb0EEvPKcS1_S1_S1_S1_PKiPfP15HIP_vector_typeIfLj2EEffffjfiS5_IjLj3EEiiiiiiiiiiiliiliiiiil
	.p2align	8
	.type	_ZL18flash_attn_ext_f16ILi256ELi256ELi32ELi1ELb0ELb0EEvPKcS1_S1_S1_S1_PKiPfP15HIP_vector_typeIfLj2EEffffjfiS5_IjLj3EEiiiiiiiiiiiliiliiiiil,@function
_ZL18flash_attn_ext_f16ILi256ELi256ELi32ELi1ELb0ELb0EEvPKcS1_S1_S1_S1_PKiPfP15HIP_vector_typeIfLj2EEffffjfiS5_IjLj3EEiiiiiiiiiiiliiliiiiil: ; @_ZL18flash_attn_ext_f16ILi256ELi256ELi32ELi1ELb0ELb0EEvPKcS1_S1_S1_S1_PKiPfP15HIP_vector_typeIfLj2EEffffjfiS5_IjLj3EEiiiiiiiiiiiliiliiiiil
; %bb.0:
	s_load_dwordx2 s[14:15], s[4:5], 0x80
	s_load_dwordx4 s[24:27], s[4:5], 0x64
	s_add_u32 flat_scratch_lo, s6, s9
	s_addc_u32 flat_scratch_hi, s7, 0
	s_add_u32 s0, s0, s9
	s_addc_u32 s1, s1, 0
	s_waitcnt lgkmcnt(0)
	s_abs_i32 s6, s15
	v_mov_b32_e32 v19, v0
	v_cvt_f32_u32_e32 v0, s6
	s_sub_i32 s10, 0, s6
	s_abs_i32 s9, s25
	s_xor_b32 s7, s25, s15
	v_rcp_iflag_f32_e32 v0, v0
	s_ashr_i32 s7, s7, 31
                                        ; implicit-def: $vgpr254 : SGPR spill to VGPR lane
	s_load_dword s69, s[4:5], 0xd0
	s_mov_b32 s68, s8
	v_mul_f32_e32 v0, 0x4f7ffffe, v0
	v_cvt_u32_f32_e32 v0, v0
	s_mov_b32 s8, 0
	s_waitcnt lgkmcnt(0)
	v_cvt_f32_u32_e32 v1, s69
	v_cvt_f32_ubyte0_e32 v2, 0
	v_readfirstlane_b32 s11, v0
	s_mul_i32 s10, s10, s11
	s_mul_hi_u32 s10, s11, s10
	s_add_i32 s11, s11, s10
	s_mul_hi_u32 s10, s9, s11
	s_mul_i32 s11, s10, s6
	s_sub_i32 s9, s9, s11
	s_add_i32 s12, s10, 1
	s_sub_i32 s11, s9, s6
	s_cmp_ge_u32 s9, s6
	s_cselect_b32 s10, s12, s10
	s_cselect_b32 s9, s11, s9
	s_add_i32 s11, s10, 1
	s_cmp_ge_u32 s9, s6
	s_cselect_b32 s6, s11, s10
	s_add_i32 s9, s14, 63
	s_xor_b32 s6, s6, s7
	s_ashr_i32 s10, s9, 31
	s_sub_i32 s7, s6, s7
	s_lshr_b32 s6, s10, 26
	s_add_i32 s9, s9, s6
	s_add_i32 s6, s24, 31
	s_lshr_b32 s6, s6, 5
	s_ashr_i32 s9, s9, 6
	v_writelane_b32 v254, s6, 0
	v_writelane_b32 v254, s9, 1
	s_mul_i32 s6, s6, s9
	v_writelane_b32 v254, s7, 2
	v_writelane_b32 v254, s6, 3
	s_mul_i32 s7, s6, s7
	s_mov_b32 s6, s14
	v_writelane_b32 v254, s6, 4
	v_writelane_b32 v254, s7, 5
	s_mul_i32 s6, s7, s15
	s_mul_i32 s10, s6, s26
	v_writelane_b32 v254, s7, 6
	s_ashr_i32 s11, s10, 31
	v_writelane_b32 v254, s6, 7
	s_mul_i32 s6, s11, s68
	s_mul_hi_u32 s7, s10, s68
	s_add_i32 s9, s7, s6
	s_mul_i32 s12, s10, s68
	s_cmp_lg_u64 s[8:9], 0
	s_cbranch_scc0 .LBB29_2
; %bb.1:
	v_madmk_f32 v0, v2, 0x4f800000, v1
	v_rcp_f32_e32 v0, v0
	s_sub_u32 s8, 0, s69
	s_subb_u32 s13, 0, 0
	s_mov_b64 s[6:7], 0
	v_mul_f32_e32 v0, 0x5f7ffffc, v0
	v_mul_f32_e32 v3, 0x2f800000, v0
	v_trunc_f32_e32 v3, v3
	v_madmk_f32 v0, v3, 0xcf800000, v0
	v_cvt_u32_f32_e32 v3, v3
	v_cvt_u32_f32_e32 v0, v0
	v_readfirstlane_b32 s14, v3
	v_readfirstlane_b32 s15, v0
	s_mul_hi_u32 s17, s8, s15
	s_mul_i32 s18, s8, s14
	s_mul_i32 s16, s13, s15
	s_add_i32 s17, s17, s18
	s_add_i32 s17, s17, s16
	s_mul_i32 s19, s8, s15
	s_mul_hi_u32 s16, s15, s17
	s_mul_i32 s18, s15, s17
	s_mul_hi_u32 s15, s15, s19
	s_add_u32 s15, s15, s18
	s_addc_u32 s16, 0, s16
	s_mul_hi_u32 s20, s14, s19
	s_mul_i32 s19, s14, s19
	s_add_u32 s15, s15, s19
	s_mul_hi_u32 s18, s14, s17
	s_addc_u32 s15, s16, s20
	s_addc_u32 s16, s18, 0
	s_mul_i32 s17, s14, s17
	s_add_u32 s15, s15, s17
	s_addc_u32 s16, 0, s16
	v_add_co_u32_e32 v0, vcc, s15, v0
	s_cmp_lg_u64 vcc, 0
	s_addc_u32 s14, s14, s16
	v_readfirstlane_b32 s16, v0
	s_mul_i32 s15, s8, s14
	s_mul_hi_u32 s17, s8, s16
	s_add_i32 s15, s17, s15
	s_mul_i32 s13, s13, s16
	s_add_i32 s15, s15, s13
	s_mul_i32 s8, s8, s16
	s_mul_hi_u32 s17, s14, s8
	s_mul_i32 s18, s14, s8
	s_mul_i32 s20, s16, s15
	s_mul_hi_u32 s8, s16, s8
	s_mul_hi_u32 s19, s16, s15
	s_add_u32 s8, s8, s20
	s_addc_u32 s16, 0, s19
	s_add_u32 s8, s8, s18
	s_mul_hi_u32 s13, s14, s15
	s_addc_u32 s8, s16, s17
	s_addc_u32 s13, s13, 0
	s_mul_i32 s15, s14, s15
	s_add_u32 s8, s8, s15
	s_addc_u32 s13, 0, s13
	v_add_co_u32_e32 v0, vcc, s8, v0
	s_cmp_lg_u64 vcc, 0
	s_addc_u32 s13, s14, s13
	s_ashr_i32 s14, s9, 31
	s_add_u32 s8, s12, s14
	s_mov_b32 s15, s14
	s_addc_u32 s9, s9, s14
	s_xor_b64 s[8:9], s[8:9], s[14:15]
	v_readfirstlane_b32 s18, v0
	s_mul_i32 s17, s8, s13
	s_mul_hi_u32 s19, s8, s18
	s_mul_hi_u32 s16, s8, s13
	s_add_u32 s17, s19, s17
	s_addc_u32 s16, 0, s16
	s_mul_hi_u32 s20, s9, s18
	s_mul_i32 s18, s9, s18
	s_add_u32 s17, s17, s18
	s_mul_hi_u32 s19, s9, s13
	s_addc_u32 s16, s16, s20
	s_addc_u32 s17, s19, 0
	s_mul_i32 s13, s9, s13
	s_add_u32 s13, s16, s13
	s_addc_u32 s16, 0, s17
	s_add_u32 s17, s13, 1
	s_addc_u32 s18, s16, 0
	s_add_u32 s19, s13, 2
	s_mul_i32 s21, s69, s16
	s_mul_hi_u32 s22, s69, s13
	s_addc_u32 s20, s16, 0
	s_add_i32 s22, s22, s21
	s_mul_i32 s21, s69, s13
	v_mov_b32_e32 v0, s21
	v_sub_co_u32_e32 v0, vcc, s8, v0
	s_cmp_lg_u64 vcc, 0
	s_subb_u32 s8, s9, s22
	v_subrev_co_u32_e32 v3, vcc, s69, v0
	s_cmp_lg_u64 vcc, 0
	s_subb_u32 s9, s8, 0
	v_readfirstlane_b32 s21, v3
	s_cmp_ge_u32 s21, s69
	s_cselect_b32 s21, -1, 0
	s_cmp_eq_u32 s9, 0
	s_cselect_b32 s9, s21, -1
	s_cmp_lg_u32 s9, 0
	s_cselect_b32 s9, s20, s18
	v_readfirstlane_b32 s18, v0
	s_cselect_b32 s17, s19, s17
	s_cmp_ge_u32 s18, s69
	s_cselect_b32 s18, -1, 0
	s_cmp_eq_u32 s8, 0
	s_cselect_b32 s8, s18, -1
	s_cmp_lg_u32 s8, 0
	s_cselect_b32 s9, s9, s16
	s_cselect_b32 s8, s17, s13
	s_xor_b64 s[8:9], s[8:9], s[14:15]
	s_sub_u32 s50, s8, s14
	s_branch .LBB29_3
.LBB29_2:
	s_mov_b64 s[6:7], -1
                                        ; implicit-def: $sgpr50_sgpr51
.LBB29_3:
	s_load_dwordx2 s[8:9], s[4:5], 0x74
	v_cvt_f32_u32_e32 v0, s69
	s_andn2_b64 vcc, exec, s[6:7]
	s_waitcnt lgkmcnt(0)
	v_writelane_b32 v254, s8, 8
	v_writelane_b32 v254, s9, 9
	s_cbranch_vccnz .LBB29_5
; %bb.4:
	v_rcp_iflag_f32_e32 v3, v0
	s_sub_i32 s6, 0, s69
	v_mul_f32_e32 v3, 0x4f7ffffe, v3
	v_cvt_u32_f32_e32 v3, v3
	v_readfirstlane_b32 s7, v3
	s_mul_i32 s6, s6, s7
	s_mul_hi_u32 s6, s7, s6
	s_add_i32 s7, s7, s6
	s_mul_hi_u32 s6, s12, s7
	s_mul_i32 s8, s6, s69
	s_sub_i32 s8, s12, s8
	s_add_i32 s7, s6, 1
	s_sub_i32 s9, s8, s69
	s_cmp_ge_u32 s8, s69
	s_cselect_b32 s6, s7, s6
	s_cselect_b32 s8, s9, s8
	s_add_i32 s7, s6, 1
	s_cmp_ge_u32 s8, s69
	s_cselect_b32 s50, s7, s6
.LBB29_5:
	s_add_i32 s6, s68, 1
	s_mul_i32 s7, s11, s6
	s_mul_hi_u32 s8, s10, s6
	s_add_i32 s9, s8, s7
	s_mov_b32 s8, 0
	s_cmp_lg_u64 s[8:9], 0
	s_mul_i32 s8, s10, s6
	s_cbranch_scc0 .LBB29_7
; %bb.6:
	v_madmk_f32 v1, v2, 0x4f800000, v1
	v_rcp_f32_e32 v1, v1
	s_sub_u32 s10, 0, s69
	s_subb_u32 s11, 0, 0
	s_mov_b64 s[6:7], 0
	v_mul_f32_e32 v1, 0x5f7ffffc, v1
	v_mul_f32_e32 v2, 0x2f800000, v1
	v_trunc_f32_e32 v2, v2
	v_madmk_f32 v1, v2, 0xcf800000, v1
	v_cvt_u32_f32_e32 v2, v2
	v_cvt_u32_f32_e32 v1, v1
	v_readfirstlane_b32 s12, v2
	v_readfirstlane_b32 s13, v1
	s_mul_hi_u32 s15, s10, s13
	s_mul_i32 s16, s10, s12
	s_mul_i32 s14, s11, s13
	s_add_i32 s15, s15, s16
	s_add_i32 s15, s15, s14
	s_mul_i32 s17, s10, s13
	s_mul_hi_u32 s14, s13, s15
	s_mul_i32 s16, s13, s15
	s_mul_hi_u32 s13, s13, s17
	s_add_u32 s13, s13, s16
	s_addc_u32 s14, 0, s14
	s_mul_hi_u32 s18, s12, s17
	s_mul_i32 s17, s12, s17
	s_add_u32 s13, s13, s17
	s_mul_hi_u32 s16, s12, s15
	s_addc_u32 s13, s14, s18
	s_addc_u32 s14, s16, 0
	s_mul_i32 s15, s12, s15
	s_add_u32 s13, s13, s15
	s_addc_u32 s14, 0, s14
	v_add_co_u32_e32 v1, vcc, s13, v1
	s_cmp_lg_u64 vcc, 0
	s_addc_u32 s12, s12, s14
	v_readfirstlane_b32 s14, v1
	s_mul_i32 s13, s10, s12
	s_mul_hi_u32 s15, s10, s14
	s_add_i32 s13, s15, s13
	s_mul_i32 s11, s11, s14
	s_add_i32 s13, s13, s11
	s_mul_i32 s10, s10, s14
	s_mul_hi_u32 s15, s12, s10
	s_mul_i32 s16, s12, s10
	s_mul_i32 s18, s14, s13
	s_mul_hi_u32 s10, s14, s10
	s_mul_hi_u32 s17, s14, s13
	s_add_u32 s10, s10, s18
	s_addc_u32 s14, 0, s17
	s_add_u32 s10, s10, s16
	s_mul_hi_u32 s11, s12, s13
	s_addc_u32 s10, s14, s15
	s_addc_u32 s11, s11, 0
	s_mul_i32 s13, s12, s13
	s_add_u32 s10, s10, s13
	s_addc_u32 s11, 0, s11
	v_add_co_u32_e32 v1, vcc, s10, v1
	s_cmp_lg_u64 vcc, 0
	s_addc_u32 s14, s12, s11
	s_ashr_i32 s10, s9, 31
	s_add_u32 s12, s8, s10
	s_mov_b32 s11, s10
	s_addc_u32 s13, s9, s10
	s_xor_b64 s[12:13], s[12:13], s[10:11]
	v_readfirstlane_b32 s16, v1
	s_mul_i32 s15, s12, s14
	s_mul_hi_u32 s17, s12, s16
	s_mul_hi_u32 s9, s12, s14
	s_add_u32 s15, s17, s15
	s_addc_u32 s9, 0, s9
	s_mul_hi_u32 s18, s13, s16
	s_mul_i32 s16, s13, s16
	s_add_u32 s15, s15, s16
	s_mul_hi_u32 s17, s13, s14
	s_addc_u32 s9, s9, s18
	s_addc_u32 s15, s17, 0
	s_mul_i32 s14, s13, s14
	s_add_u32 s9, s9, s14
	s_addc_u32 s14, 0, s15
	s_add_u32 s15, s9, 1
	s_addc_u32 s16, s14, 0
	s_add_u32 s17, s9, 2
	s_mul_i32 s19, s69, s14
	s_mul_hi_u32 s20, s69, s9
	s_addc_u32 s18, s14, 0
	s_add_i32 s20, s20, s19
	s_mul_i32 s19, s69, s9
	v_mov_b32_e32 v1, s19
	v_sub_co_u32_e32 v1, vcc, s12, v1
	s_cmp_lg_u64 vcc, 0
	s_subb_u32 s12, s13, s20
	v_subrev_co_u32_e32 v2, vcc, s69, v1
	s_cmp_lg_u64 vcc, 0
	s_subb_u32 s13, s12, 0
	v_readfirstlane_b32 s19, v2
	s_cmp_ge_u32 s19, s69
	s_cselect_b32 s19, -1, 0
	s_cmp_eq_u32 s13, 0
	s_cselect_b32 s13, s19, -1
	s_cmp_lg_u32 s13, 0
	s_cselect_b32 s13, s18, s16
	v_readfirstlane_b32 s16, v1
	s_cselect_b32 s15, s17, s15
	s_cmp_ge_u32 s16, s69
	s_cselect_b32 s16, -1, 0
	s_cmp_eq_u32 s12, 0
	s_cselect_b32 s12, s16, -1
	s_cmp_lg_u32 s12, 0
	s_cselect_b32 s13, s13, s14
	s_cselect_b32 s12, s15, s9
	s_xor_b64 s[12:13], s[12:13], s[10:11]
	s_sub_u32 s10, s12, s10
	v_writelane_b32 v254, s10, 16
	v_writelane_b32 v254, s11, 17
	s_branch .LBB29_8
.LBB29_7:
	s_mov_b64 s[6:7], -1
                                        ; implicit-def: $sgpr10_sgpr11
                                        ; kill: killed $sgpr10_sgpr11
.LBB29_8:
	s_load_dwordx2 s[10:11], s[4:5], 0x5c
	v_writelane_b32 v254, s24, 10
	v_writelane_b32 v254, s25, 11
	;; [unrolled: 1-line block ×4, first 2 shown]
	s_waitcnt lgkmcnt(0)
	v_writelane_b32 v254, s10, 14
	v_writelane_b32 v254, s11, 15
	s_andn2_b64 vcc, exec, s[6:7]
	s_cbranch_vccnz .LBB29_10
; %bb.9:
	v_rcp_iflag_f32_e32 v0, v0
	s_sub_i32 s6, 0, s69
	v_mul_f32_e32 v0, 0x4f7ffffe, v0
	v_cvt_u32_f32_e32 v0, v0
	v_readfirstlane_b32 s7, v0
	s_mul_i32 s6, s6, s7
	s_mul_hi_u32 s6, s7, s6
	s_add_i32 s7, s7, s6
	s_mul_hi_u32 s6, s8, s7
	s_mul_i32 s9, s6, s69
	s_sub_i32 s8, s8, s9
	s_add_i32 s7, s6, 1
	s_sub_i32 s9, s8, s69
	s_cmp_ge_u32 s8, s69
	s_cselect_b32 s6, s7, s6
	s_cselect_b32 s8, s9, s8
	s_add_i32 s7, s6, 1
	s_cmp_ge_u32 s8, s69
	s_cselect_b32 s6, s7, s6
	v_writelane_b32 v254, s6, 16
	v_writelane_b32 v254, s7, 17
.LBB29_10:
	s_load_dwordx16 s[76:91], s[4:5], 0x0
	s_load_dwordx4 s[36:39], s[4:5], 0x40
	s_load_dword s6, s[4:5], 0x50
	v_bfe_u32 v165, v19, 10, 10
	s_mov_b32 s43, 0
	v_lshlrev_b32_e32 v91, 3, v165
	v_add_u32_e32 v191, 4, v165
	s_waitcnt lgkmcnt(0)
	v_writelane_b32 v254, s6, 18
	s_load_dwordx2 s[6:7], s[4:5], 0x8c
	s_load_dwordx4 s[8:11], s[4:5], 0x98
	s_load_dwordx2 s[12:13], s[4:5], 0xa8
	s_load_dwordx2 s[34:35], s[4:5], 0xb8
	s_nop 0
	s_load_dwordx2 s[4:5], s[4:5], 0xc8
	v_add_u32_e32 v190, 8, v165
	v_add_u32_e32 v187, 12, v165
	;; [unrolled: 1-line block ×3, first 2 shown]
	s_waitcnt lgkmcnt(0)
	v_writelane_b32 v254, s12, 19
	v_writelane_b32 v254, s13, 20
	;; [unrolled: 1-line block ×4, first 2 shown]
	v_readlane_b32 s12, v254, 1
	s_abs_i32 s99, s12
	v_cvt_f32_u32_e32 v0, s99
	v_readlane_b32 s44, v254, 10
	v_readlane_b32 s47, v254, 13
	s_ashr_i32 s4, s47, 3
	v_rcp_iflag_f32_e32 v0, v0
	v_readlane_b32 s45, v254, 11
	v_readlane_b32 s46, v254, 12
	v_writelane_b32 v254, s4, 23
	s_mov_b32 s5, s7
	v_writelane_b32 v254, s4, 24
	v_mul_f32_e32 v0, 0x4f7ffffe, v0
	v_writelane_b32 v254, s5, 25
	s_mov_b64 s[4:5], s[8:9]
	s_mov_b32 s7, s11
	v_cvt_u32_f32_e32 v0, v0
	s_ashr_i32 s46, s6, 2
	v_writelane_b32 v254, s4, 26
	v_writelane_b32 v254, s5, 27
	;; [unrolled: 1-line block ×4, first 2 shown]
	s_sub_i32 s6, 0, s99
	v_readfirstlane_b32 s7, v0
	s_mul_i32 s6, s6, s7
	s_ashr_i32 s5, s12, 31
	s_mul_hi_u32 s6, s7, s6
	v_writelane_b32 v254, s5, 30
	s_abs_i32 s5, s50
	s_add_i32 s6, s7, s6
	v_writelane_b32 v254, s6, 31
	s_mul_hi_u32 s6, s5, s6
	s_mul_i32 s6, s6, s99
	s_sub_i32 s5, s5, s6
	s_ashr_i32 s92, s35, 1
	s_ashr_i32 s8, s10, 2
	;; [unrolled: 1-line block ×3, first 2 shown]
	s_sub_i32 s6, s5, s99
	s_cmp_ge_u32 s5, s99
	s_cselect_b32 s5, s6, s5
	s_sub_i32 s6, s5, s99
	s_cmp_ge_u32 s5, s99
	s_cselect_b32 s5, s6, s5
	s_xor_b32 s5, s5, s4
	s_sub_i32 s58, s5, s4
	v_readlane_b32 s4, v254, 16
	v_readlane_b32 s5, v254, 17
	v_writelane_b32 v254, s76, 32
	v_writelane_b32 v254, s77, 33
	;; [unrolled: 1-line block ×7, first 2 shown]
	s_mov_b32 s10, s4
	s_sub_i32 s4, s4, s50
	v_writelane_b32 v254, s83, 39
	s_add_i32 s6, s4, s58
	v_writelane_b32 v254, s84, 40
	s_min_i32 s40, s12, s6
	v_writelane_b32 v254, s85, 41
	s_cmp_gt_i32 s10, s50
	v_writelane_b32 v254, s86, 42
	s_cselect_b64 s[48:49], -1, 0
	s_cmp_le_i32 s10, s50
	v_cvt_f16_f32_e32 v0, s36
	v_writelane_b32 v254, s87, 43
	s_cselect_b64 s[4:5], -1, 0
	s_cmp_gt_i32 s12, s6
	v_writelane_b32 v254, s88, 44
	s_cselect_b64 s[6:7], -1, 0
	v_writelane_b32 v254, s89, 45
	s_or_b64 s[4:5], s[6:7], s[4:5]
	v_writelane_b32 v254, s90, 46
	s_and_b64 vcc, exec, s[4:5]
	v_pack_b32_f16 v166, v0, v0
	v_add_u32_e32 v181, 20, v165
	v_add_u32_e32 v180, 24, v165
	v_add_u32_e32 v171, 28, v165
	v_lshlrev_b32_e32 v90, 4, v165
	v_and_b32_e32 v92, 1, v165
	v_writelane_b32 v254, s91, 47
	v_accvgpr_write_b32 a8, v165
	s_cbranch_vccz .LBB29_13
; %bb.11:
	s_andn2_b64 vcc, exec, s[48:49]
	s_cbranch_vccz .LBB29_322
.LBB29_12:
	s_endpgm
.LBB29_13:
	v_and_b32_e32 v100, 0x3ff, v19
	v_lshrrev_b32_e32 v2, 3, v100
	v_and_b32_e32 v0, 15, v100
	v_and_b32_e32 v2, 30, v2
	v_mul_u32_u24_e32 v1, 0x210, v0
	v_lshlrev_b32_e32 v3, 2, v2
	s_cmp_lg_u64 s[82:83], 0
	v_add3_u32 v1, 0, v1, v3
	v_lshrrev_b32_e32 v3, 5, v100
	v_lshlrev_b32_e32 v4, 2, v100
	v_writelane_b32 v254, s69, 48
	s_cselect_b64 s[4:5], -1, 0
	v_lshl_add_u32 v197, v165, 1, v3
	v_and_b32_e32 v202, 0x7c, v4
	v_writelane_b32 v254, s4, 49
	s_cmp_eq_u64 s[84:85], 0
	v_mul_u32_u24_e32 v3, 0x210, v197
	v_lshlrev_b32_e32 v4, 2, v202
	v_writelane_b32 v254, s5, 50
	s_cselect_b64 s[4:5], -1, 0
	v_add3_u32 v148, 0, v3, v4
	v_lshrrev_b32_e32 v3, 2, v100
	v_writelane_b32 v254, s4, 51
	s_cmp_lg_u64 s[86:87], 0
	v_and_b32_e32 v4, 60, v3
	v_writelane_b32 v254, s5, 52
	s_cselect_b64 s[4:5], -1, 0
	v_and_b32_e32 v5, 8, v91
	v_mul_u32_u24_e32 v6, 0x108, v4
	s_movk_i32 s6, 0x420
	v_writelane_b32 v254, s4, 53
	v_or_b32_e32 v6, v6, v0
	v_mul_u32_u24_e32 v7, 0x210, v4
	v_or_b32_e32 v3, 3, v3
	v_mul_u32_u24_e32 v8, 0x420, v5
	v_mad_u32_u24 v9, v5, s6, 0
	v_lshlrev_b32_e32 v10, 1, v0
	v_writelane_b32 v254, s5, 54
	s_movk_i32 s4, 0x210
	v_mul_u32_u24_e32 v3, 0x210, v3
	v_lshlrev_b32_e32 v6, 1, v6
	v_add3_u32 v150, v9, v7, v10
	v_add3_u32 v7, 0, 32, v8
	v_add_u32_e32 v149, v9, v6
	v_add3_u32 v151, v9, v3, v10
	v_add_u32_e32 v199, v7, v6
	v_mad_u32_u24 v9, v4, s4, v7
	v_add3_u32 v217, v7, v3, v10
	v_add3_u32 v7, 0, 64, v8
	s_add_i32 s7, 0, 0x60
	v_add_u32_e32 v219, v7, v6
	v_mad_u32_u24 v8, v4, s4, v7
	v_add3_u32 v224, v7, v3, v10
	v_mov_b32_e32 v7, s7
	s_movk_i32 s5, 0x4200
	v_mad_u32_u24 v7, v5, s6, v7
	s_add_i32 s7, 0, 0x80
	v_add3_u32 v221, v8, v10, s5
	v_add_u32_e32 v228, v7, v6
	v_mad_u32_u24 v8, v4, s4, v7
	v_add3_u32 v231, v7, v3, v10
	v_mov_b32_e32 v7, s7
	v_mad_u32_u24 v7, v5, s6, v7
	s_add_i32 s7, 0, 0xa0
	v_add3_u32 v229, v8, v10, s5
	v_add_u32_e32 v232, v7, v6
	v_mad_u32_u24 v8, v4, s4, v7
	v_add3_u32 v220, v7, v3, v10
	v_mov_b32_e32 v7, s7
	v_mad_u32_u24 v7, v5, s6, v7
	s_add_i32 s7, 0, 0xc0
	v_add3_u32 v218, v8, v10, s5
	v_add_u32_e32 v164, v7, v6
	v_mad_u32_u24 v8, v4, s4, v7
	v_add3_u32 v233, v7, v3, v10
	v_mov_b32_e32 v7, s7
	v_mad_u32_u24 v7, v5, s6, v7
	s_add_i32 s7, 0, 0xe0
	v_add3_u32 v225, v8, v10, s5
	v_add_u32_e32 v167, v7, v6
	v_mad_u32_u24 v8, v4, s4, v7
	v_add3_u32 v249, v7, v3, v10
	v_mov_b32_e32 v7, s7
	v_mad_u32_u24 v7, v5, s6, v7
	v_add3_u32 v247, v8, v10, s5
	v_add_u32_e32 v170, v7, v6
	v_mad_u32_u24 v8, v4, s4, v7
	v_add3_u32 v7, v7, v3, v10
	s_add_i32 s7, 0, 0x100
	v_accvgpr_write_b32 a41, v7
	v_mov_b32_e32 v7, s7
	v_add3_u32 v8, v8, v10, s5
	v_mad_u32_u24 v7, v5, s6, v7
	v_accvgpr_write_b32 a40, v8
	v_add_u32_e32 v152, v7, v6
	v_mad_u32_u24 v8, v4, s4, v7
	v_add3_u32 v7, v7, v3, v10
	s_add_i32 s7, 0, 0x120
	v_accvgpr_write_b32 a43, v7
	v_mov_b32_e32 v7, s7
	v_add3_u32 v8, v8, v10, s5
	v_mad_u32_u24 v7, v5, s6, v7
	v_accvgpr_write_b32 a42, v8
	;; [unrolled: 9-line block ×4, first 2 shown]
	v_mad_u32_u24 v8, v4, s4, v7
	s_add_i32 s7, 0, 0x180
	v_add_u32_e32 v182, v7, v6
	v_add3_u32 v8, v8, v10, s5
	v_add3_u32 v184, v7, v3, v10
	v_mov_b32_e32 v7, s7
	s_add_i32 s7, 0, 0x1a0
	v_accvgpr_write_b32 a48, v8
	v_mov_b32_e32 v8, s7
	s_add_i32 s7, 0, 0x1c0
	v_add3_u32 v216, v9, v10, s5
	v_mov_b32_e32 v9, s7
	s_add_i32 s7, 0, 0x1e0
	v_mov_b32_e32 v11, s7
	v_mad_u32_u24 v7, v5, s6, v7
	v_mad_u32_u24 v8, v5, s6, v8
	;; [unrolled: 1-line block ×4, first 2 shown]
	v_add_u32_e32 v185, v7, v6
	v_mad_u32_u24 v11, v4, s4, v7
	v_add3_u32 v158, v7, v3, v10
	v_mad_u32_u24 v7, v4, s4, v8
	v_add3_u32 v155, v8, v3, v10
	v_add3_u32 v193, v9, v3, v10
	;; [unrolled: 1-line block ×3, first 2 shown]
	v_mad_u32_u24 v3, v4, s4, v5
	s_lshl_b32 s42, s68, 5
	v_add3_u32 v188, v7, v10, s5
	v_mad_u32_u24 v7, v4, s4, v9
	v_add3_u32 v196, v3, v10, s5
	s_ashr_i32 s93, s92, 31
	s_ashr_i32 s47, s46, 31
	s_ashr_i32 s9, s8, 31
	s_lshl_b32 s24, s46, 3
	s_lshl_b32 s23, s8, 3
	s_lshl_b64 s[6:7], s[42:43], 3
	v_or_b32_e32 v3, v91, v100
	v_add3_u32 v178, v11, v10, s5
	v_add3_u32 v161, v7, v10, s5
	s_add_u32 s5, s90, s6
	v_lshlrev_b32_e32 v3, 3, v3
	v_add_u32_e32 v189, v8, v6
	v_add_u32_e32 v192, v9, v6
	;; [unrolled: 1-line block ×3, first 2 shown]
	v_add_co_u32_e32 v6, vcc, s5, v3
	v_and_b32_e32 v3, 16, v90
	v_add_u32_e32 v101, v3, v4
	v_add_u16_e32 v16, v3, v4
	v_mad_u32_u24 v198, v3, s4, v1
	v_and_b32_e32 v3, 0x7f0, v91
	v_lshrrev_b32_e32 v50, 1, v165
	v_mad_u32_u24 v102, v3, s4, v1
	v_or_b32_e32 v17, v3, v0
	v_or_b32_e32 v0, v90, v0
	s_movk_i32 s22, 0x84
	v_add_u32_e32 v1, 2, v50
	v_mad_u32_u24 v32, v0, s22, v2
	s_movk_i32 s25, 0x1e0
	v_lshlrev_b32_e32 v0, 1, v1
	v_accvgpr_write_b32 a54, v1
	v_and_b32_e32 v1, 15, v1
	v_and_or_b32 v33, v0, s25, v1
	v_add_u32_e32 v1, 4, v50
	v_lshlrev_b32_e32 v0, 1, v1
	v_accvgpr_write_b32 a55, v1
	v_and_b32_e32 v1, 15, v1
	v_and_or_b32 v34, v0, s25, v1
	v_add_u32_e32 v1, 6, v50
	;; [unrolled: 5-line block ×5, first 2 shown]
	s_movk_i32 s29, 0x90
	v_lshlrev_b32_e32 v0, 1, v1
	v_accvgpr_write_b32 a59, v1
	v_and_b32_e32 v1, 15, v1
	v_mad_u32_u24 v17, v17, s29, 0
	v_lshrrev_b16_e32 v16, 1, v16
	v_and_or_b32 v38, v0, s25, v1
	v_add_u32_e32 v1, 14, v50
	v_lshl_add_u32 v16, v16, 2, v17
	v_add_u32_e32 v103, 32, v101
	v_lshlrev_b32_e32 v0, 1, v1
	v_accvgpr_write_b32 a60, v1
	v_and_b32_e32 v1, 15, v1
	v_accvgpr_write_b32 a70, v16
	v_lshl_add_u32 v16, v103, 1, v17
	v_add_u32_e32 v104, 34, v101
	v_and_or_b32 v39, v0, s25, v1
	v_add_u32_e32 v1, 18, v50
	v_accvgpr_write_b32 a72, v16
	v_lshl_add_u32 v16, v104, 1, v17
	v_lshlrev_b32_e32 v0, 1, v1
	v_accvgpr_write_b32 a61, v1
	v_and_b32_e32 v1, 15, v1
	v_accvgpr_write_b32 a74, v16
	v_mul_lo_u32 v16, s8, v197
	v_and_or_b32 v40, v0, s25, v1
	v_add_u32_e32 v1, 20, v50
	v_add_u32_e32 v18, s23, v16
	v_lshlrev_b32_e32 v0, 1, v1
	v_accvgpr_write_b32 a62, v1
	v_and_b32_e32 v1, 15, v1
	v_add_u32_e32 v20, s23, v18
	v_add_u32_e32 v47, v90, v100
	v_and_or_b32 v41, v0, s25, v1
	v_add_u32_e32 v1, 22, v50
	v_add_u32_e32 v22, s23, v20
	v_mul_u32_u24_e32 v47, 0x210, v47
	v_and_b32_e32 v49, 31, v100
	v_lshlrev_b32_e32 v0, 1, v1
	v_accvgpr_write_b32 a63, v1
	v_and_b32_e32 v1, 15, v1
	v_add_u32_e32 v24, s23, v22
	v_accvgpr_write_b32 a75, v47
	v_add_u32_e32 v47, v90, v49
	v_and_or_b32 v42, v0, s25, v1
	v_add_u32_e32 v1, 24, v50
	v_add_u32_e32 v26, s23, v24
	v_mul_u32_u24_e32 v47, 0x210, v47
	v_lshlrev_b32_e32 v0, 1, v1
	v_accvgpr_write_b32 a64, v1
	v_and_b32_e32 v1, 15, v1
	v_add_u32_e32 v28, s23, v26
	v_accvgpr_write_b32 a76, v47
	v_lshl_add_u32 v105, v32, 2, 0
	v_mad_u32_u24 v32, v165, s22, v100
	v_add_u32_e32 v47, 16, v50
	v_and_or_b32 v43, v0, s25, v1
	v_add_u32_e32 v1, 26, v50
	v_add_u32_e32 v30, s23, v28
	s_movk_i32 s23, 0xe0
	v_lshl_add_u32 v118, v32, 2, 0
	v_bfe_u32 v32, v165, 1, 4
	v_accvgpr_write_b32 a79, v47
	v_lshlrev_b32_e32 v47, 1, v47
	v_lshlrev_b32_e32 v0, 1, v1
	v_accvgpr_write_b32 a65, v1
	v_and_b32_e32 v1, 15, v1
	v_and_or_b32 v47, v47, s25, v32
	v_and_or_b32 v32, v165, s23, v32
	;; [unrolled: 1-line block ×3, first 2 shown]
	v_add_u32_e32 v1, 28, v50
	v_add_u32_e32 v2, 30, v50
	v_accvgpr_write_b32 a53, v50
	v_mad_u32_u24 v50, v32, s22, v100
	v_lshl_add_u32 v50, v50, 2, 0
	v_accvgpr_write_b32 a80, v50
	v_add_u32_e32 v50, 64, v100
	v_mul_u32_u24_e32 v51, 0x210, v32
	v_mad_u32_u24 v32, v32, s22, v50
	v_lshl_add_u32 v32, v32, 2, 0
	v_accvgpr_write_b32 a82, v32
	v_mad_u32_u24 v32, v33, s22, v100
	v_lshl_add_u32 v32, v32, 2, 0
	v_accvgpr_write_b32 a83, v32
	v_mul_u32_u24_e32 v32, 0x210, v33
	v_accvgpr_write_b32 a84, v32
	v_mad_u32_u24 v32, v33, s22, v50
	v_lshl_add_u32 v32, v32, 2, 0
	v_accvgpr_write_b32 a85, v32
	v_mad_u32_u24 v32, v34, s22, v100
	v_lshl_add_u32 v32, v32, 2, 0
	v_accvgpr_write_b32 a86, v32
	v_mul_u32_u24_e32 v32, 0x210, v34
	v_accvgpr_write_b32 a87, v32
	;; [unrolled: 8-line block ×9, first 2 shown]
	v_mad_u32_u24 v32, v40, s22, v50
	v_lshl_add_u32 v32, v32, 2, 0
	v_writelane_b32 v254, s68, 55
	v_accvgpr_write_b32 a109, v32
	v_mad_u32_u24 v32, v41, s22, v100
	v_readlane_b32 s33, v254, 7
	v_lshl_add_u32 v32, v32, 2, 0
	s_addc_u32 s6, s91, s7
	v_lshlrev_b32_e32 v0, 1, v1
	v_accvgpr_write_b32 a66, v1
	v_and_b32_e32 v1, 15, v1
	s_abs_i32 s35, s33
	v_accvgpr_write_b32 a110, v32
	v_mul_u32_u24_e32 v32, 0x210, v41
	v_and_or_b32 v45, v0, s25, v1
	v_cvt_f32_u32_e32 v0, s35
	v_accvgpr_write_b32 a111, v32
	v_mad_u32_u24 v32, v41, s22, v50
	v_lshl_add_u32 v32, v32, 2, 0
	v_accvgpr_write_b32 a112, v32
	v_mad_u32_u24 v32, v42, s22, v100
	v_readlane_b32 s31, v254, 6
	v_lshl_add_u32 v32, v32, 2, 0
	v_rcp_iflag_f32_e32 v0, v0
	s_abs_i32 s36, s31
	v_accvgpr_write_b32 a113, v32
	v_mul_u32_u24_e32 v32, 0x210, v42
	v_cvt_f32_u32_e32 v3, s36
	v_accvgpr_write_b32 a114, v32
	v_mad_u32_u24 v32, v42, s22, v50
	s_mov_b32 s4, s34
	v_lshl_add_u32 v32, v32, 2, 0
	v_readlane_b32 s30, v254, 3
	v_writelane_b32 v254, s4, 56
	v_accvgpr_write_b32 a115, v32
	v_mad_u32_u24 v32, v43, s22, v100
	v_lshlrev_b32_e32 v1, 1, v2
	v_accvgpr_write_b32 a67, v2
	v_and_b32_e32 v2, 15, v2
	v_mul_f32_e32 v0, 0x4f7ffffe, v0
	s_abs_i32 s41, s30
	v_writelane_b32 v254, s5, 57
	s_abs_i32 s4, s34
	v_lshl_add_u32 v32, v32, 2, 0
	v_and_or_b32 v46, v1, s25, v2
	v_cvt_u32_f32_e32 v0, v0
	v_rcp_iflag_f32_e32 v1, v3
	v_cvt_f32_u32_e32 v2, s41
	v_cvt_f32_u32_e32 v3, s4
	v_accvgpr_write_b32 a116, v32
	v_mul_u32_u24_e32 v32, 0x210, v43
	v_accvgpr_write_b32 a117, v32
	v_mad_u32_u24 v32, v43, s22, v50
	v_lshl_add_u32 v32, v32, 2, 0
	v_accvgpr_write_b32 a118, v32
	v_mad_u32_u24 v32, v44, s22, v100
	v_readfirstlane_b32 s26, v0
	v_rcp_iflag_f32_e32 v0, v2
	v_rcp_iflag_f32_e32 v2, v3
	v_lshl_add_u32 v32, v32, 2, 0
	v_accvgpr_write_b32 a119, v32
	v_mul_u32_u24_e32 v32, 0x210, v44
	v_accvgpr_write_b32 a120, v32
	v_mad_u32_u24 v32, v44, s22, v50
	v_lshl_add_u32 v32, v32, 2, 0
	v_mul_f32_e32 v0, 0x4f7ffffe, v0
	v_mul_f32_e32 v2, 0x4f7ffffe, v2
	v_accvgpr_write_b32 a121, v32
	v_mad_u32_u24 v32, v45, s22, v100
	v_cvt_u32_f32_e32 v0, v0
	v_cvt_u32_f32_e32 v2, v2
	v_lshl_add_u32 v32, v32, 2, 0
	v_accvgpr_write_b32 a122, v32
	v_mul_u32_u24_e32 v32, 0x210, v45
	v_accvgpr_write_b32 a123, v32
	v_mad_u32_u24 v32, v45, s22, v50
	v_mov_b32_e32 v5, s6
	v_writelane_b32 v254, s4, 58
	s_sub_i32 s4, 0, s4
	v_ashrrev_i32_e32 v17, 31, v16
	v_lshl_add_u32 v32, v32, 2, 0
	v_addc_co_u32_e32 v7, vcc, 0, v5, vcc
	v_readfirstlane_b32 s28, v0
	v_mul_lo_u32 v0, s4, v2
	v_accvgpr_write_b32 a81, v51
	v_accvgpr_write_b32 a124, v32
	v_mad_u32_u24 v32, v46, s22, v50
	v_lshlrev_b64 v[50:51], 2, v[16:17]
	v_accvgpr_write_b32 a12, v19
	v_mul_hi_u32 v0, v2, v0
	v_ashrrev_i32_e32 v19, 31, v18
	v_mov_b32_e32 v16, s81
	v_add_co_u32_e32 v17, vcc, s80, v50
	v_add_u32_e32 v0, v2, v0
	v_addc_co_u32_e32 v16, vcc, v16, v51, vcc
	v_lshlrev_b64 v[52:53], 2, v[18:19]
	v_accvgpr_write_b32 a68, v0
	v_mul_u32_u24_e32 v0, 0x90, v165
	v_lshlrev_b32_e32 v48, 1, v100
	v_ashrrev_i32_e32 v21, 31, v20
	v_accvgpr_write_b32 a128, v17
	v_accvgpr_write_b32 a129, v16
	v_mov_b32_e32 v16, s81
	v_add_co_u32_e32 v17, vcc, s80, v52
	s_mul_i32 s4, s44, s45
	v_add3_u32 v82, 0, v0, v48
	v_mul_lo_u32 v0, s46, v197
	v_addc_co_u32_e32 v16, vcc, v16, v53, vcc
	v_lshlrev_b64 v[54:55], 2, v[20:21]
	v_writelane_b32 v254, s4, 59
	s_mov_b64 s[6:7], s[38:39]
	s_mov_b32 s5, s37
	v_add_u32_e32 v2, s24, v0
	v_ashrrev_i32_e32 v23, 31, v22
	v_accvgpr_write_b32 a130, v17
	v_accvgpr_write_b32 a131, v16
	v_mov_b32_e32 v16, s81
	v_add_co_u32_e32 v17, vcc, s80, v54
	v_accvgpr_write_b32 a51, v7
	v_writelane_b32 v254, s4, 60
	v_add_u32_e32 v4, s24, v2
	v_addc_co_u32_e32 v16, vcc, v16, v55, vcc
	v_lshlrev_b64 v[56:57], 2, v[22:23]
	v_accvgpr_write_b32 a50, v6
	v_writelane_b32 v254, s5, 61
	v_add_u32_e32 v6, s24, v4
	v_ashrrev_i32_e32 v25, 31, v24
	v_accvgpr_write_b32 a132, v17
	v_accvgpr_write_b32 a133, v16
	v_mov_b32_e32 v16, s81
	v_add_co_u32_e32 v17, vcc, s80, v56
	v_writelane_b32 v254, s6, 62
	v_add_u32_e32 v8, s24, v6
	v_addc_co_u32_e32 v16, vcc, v16, v57, vcc
	v_lshlrev_b64 v[58:59], 2, v[24:25]
	v_writelane_b32 v254, s7, 63
	v_cmp_nle_f32_e64 s[4:5], s37, 0
                                        ; implicit-def: $vgpr255 : SGPR spill to VGPR lane
	v_add_u32_e32 v10, s24, v8
	v_ashrrev_i32_e32 v27, 31, v26
	v_accvgpr_write_b32 a134, v17
	v_accvgpr_write_b32 a135, v16
	v_mov_b32_e32 v16, s81
	v_add_co_u32_e32 v17, vcc, s80, v58
	v_mul_f32_e32 v1, 0x4f7ffffe, v1
	v_writelane_b32 v255, s4, 0
	v_add_u32_e32 v12, s24, v10
	v_addc_co_u32_e32 v16, vcc, v16, v59, vcc
	v_lshlrev_b64 v[60:61], 2, v[26:27]
	v_cvt_u32_f32_e32 v1, v1
	v_writelane_b32 v255, s5, 1
	v_add_u32_e32 v14, s24, v12
	v_ashrrev_i32_e32 v29, 31, v28
	s_lshl_b32 s24, s45, 7
	v_mul_u32_u24_e32 v33, 0x210, v46
	v_accvgpr_write_b32 a136, v17
	v_accvgpr_write_b32 a137, v16
	v_mov_b32_e32 v16, s81
	v_add_co_u32_e32 v17, vcc, s80, v60
	v_writelane_b32 v255, s24, 2
	v_accvgpr_write_b32 a125, v33
	v_mad_u32_u24 v33, v46, s22, v100
	s_ashr_i32 s22, s33, 31
	v_addc_co_u32_e32 v16, vcc, v16, v61, vcc
	v_lshlrev_b64 v[62:63], 2, v[28:29]
	v_ashrrev_i32_e32 v31, 31, v30
	v_writelane_b32 v255, s22, 3
	s_sub_i32 s22, 0, s35
	v_accvgpr_write_b32 a138, v17
	v_accvgpr_write_b32 a139, v16
	v_mov_b32_e32 v16, s81
	v_add_co_u32_e32 v17, vcc, s80, v62
	s_mul_i32 s22, s22, s26
	v_addc_co_u32_e32 v16, vcc, v16, v63, vcc
	v_lshlrev_b64 v[64:65], 2, v[30:31]
	v_readfirstlane_b32 s27, v1
	v_ashrrev_i32_e32 v1, 31, v0
	s_mul_hi_u32 s22, s26, s22
	v_accvgpr_write_b32 a140, v17
	v_accvgpr_write_b32 a141, v16
	v_mov_b32_e32 v16, s81
	v_add_co_u32_e32 v17, vcc, s80, v64
	v_writelane_b32 v255, s35, 4
	s_add_i32 s22, s26, s22
	v_addc_co_u32_e32 v16, vcc, v16, v65, vcc
	v_lshlrev_b64 v[66:67], 2, v[0:1]
	v_ashrrev_i32_e32 v3, 31, v2
	v_writelane_b32 v255, s22, 5
	s_ashr_i32 s22, s31, 31
	v_mov_b32_e32 v0, s79
	v_add_co_u32_e32 v1, vcc, s78, v66
	v_writelane_b32 v255, s22, 6
	s_sub_i32 s22, 0, s36
	v_addc_co_u32_e32 v0, vcc, v0, v67, vcc
	v_lshlrev_b64 v[68:69], 2, v[2:3]
	v_ashrrev_i32_e32 v5, 31, v4
	s_mul_i32 s22, s22, s27
	v_accvgpr_write_b32 a144, v1
	v_accvgpr_write_b32 a145, v0
	v_mov_b32_e32 v0, s79
	v_add_co_u32_e32 v1, vcc, s78, v68
	s_mul_hi_u32 s22, s27, s22
	v_addc_co_u32_e32 v0, vcc, v0, v69, vcc
	v_lshlrev_b64 v[70:71], 2, v[4:5]
	v_ashrrev_i32_e32 v7, 31, v6
	v_writelane_b32 v255, s36, 7
	s_add_i32 s22, s27, s22
	v_accvgpr_write_b32 a146, v1
	v_accvgpr_write_b32 a147, v0
	v_mov_b32_e32 v0, s79
	v_add_co_u32_e32 v1, vcc, s78, v70
	v_writelane_b32 v255, s22, 8
	s_ashr_i32 s22, s30, 31
	v_addc_co_u32_e32 v0, vcc, v0, v71, vcc
	v_lshlrev_b64 v[72:73], 2, v[6:7]
	v_ashrrev_i32_e32 v9, 31, v8
	v_writelane_b32 v255, s22, 9
	s_sub_i32 s22, 0, s41
	v_accvgpr_write_b32 a148, v1
	v_accvgpr_write_b32 a149, v0
	v_mov_b32_e32 v0, s79
	v_add_co_u32_e32 v1, vcc, s78, v72
	s_mul_i32 s22, s22, s28
	v_addc_co_u32_e32 v0, vcc, v0, v73, vcc
	v_lshlrev_b64 v[74:75], 2, v[8:9]
	v_ashrrev_i32_e32 v11, 31, v10
	s_mul_hi_u32 s22, s28, s22
	v_accvgpr_write_b32 a150, v1
	v_accvgpr_write_b32 a151, v0
	v_mov_b32_e32 v0, s79
	v_add_co_u32_e32 v1, vcc, s78, v74
	v_writelane_b32 v255, s41, 10
	s_add_i32 s22, s28, s22
	v_addc_co_u32_e32 v0, vcc, v0, v75, vcc
	v_lshlrev_b64 v[76:77], 2, v[10:11]
	v_ashrrev_i32_e32 v13, 31, v12
	v_writelane_b32 v255, s22, 11
	v_accvgpr_write_b32 a152, v1
	v_accvgpr_write_b32 a153, v0
	v_mov_b32_e32 v0, s79
	v_add_co_u32_e32 v1, vcc, s78, v76
	v_cmp_eq_u32_e64 s[48:49], 0, v92
	v_addc_co_u32_e32 v0, vcc, v0, v77, vcc
	v_lshlrev_b64 v[78:79], 2, v[12:13]
	v_writelane_b32 v255, s48, 12
	v_ashrrev_i32_e32 v15, 31, v14
	v_accvgpr_write_b32 a154, v1
	v_accvgpr_write_b32 a155, v0
	v_mov_b32_e32 v0, s79
	v_add_co_u32_e32 v1, vcc, s78, v78
	v_writelane_b32 v255, s49, 13
	v_cmp_eq_u32_e64 s[48:49], 1, v92
	v_addc_co_u32_e32 v0, vcc, v0, v79, vcc
	v_lshlrev_b64 v[80:81], 2, v[14:15]
	v_writelane_b32 v255, s48, 14
	v_accvgpr_write_b32 a156, v1
	v_accvgpr_write_b32 a157, v0
	v_mov_b32_e32 v0, s79
	v_add_co_u32_e32 v1, vcc, s78, v80
	v_writelane_b32 v255, s49, 15
	v_cmp_gt_u32_e64 s[48:49], 16, v100
	v_accvgpr_write_b32 a158, v1
	v_addc_co_u32_e32 v0, vcc, v0, v81, vcc
	v_add_u32_e32 v1, 32, v197
	v_writelane_b32 v255, s48, 16
	v_accvgpr_write_b32 a159, v0
	v_mbcnt_lo_u32_b32 v0, -1, 0
	v_accvgpr_write_b32 a171, v1
	v_add_u32_e32 v1, 40, v197
	v_writelane_b32 v255, s49, 17
	v_cmp_gt_u32_e64 s[48:49], 32, v100
	v_mbcnt_hi_u32_b32 v123, -1, v0
	v_add_u32_e32 v0, 0x240, v82
	v_accvgpr_write_b32 a172, v1
	v_add_u32_e32 v1, 48, v197
	v_writelane_b32 v255, s48, 18
	v_accvgpr_write_b32 a161, v0
	v_add_u32_e32 v0, 0x480, v82
	v_accvgpr_write_b32 a173, v1
	v_add_u32_e32 v1, 56, v197
	v_writelane_b32 v255, s49, 19
	s_mov_b32 s42, s92
	v_accvgpr_write_b32 a162, v0
	v_add_u32_e32 v0, 0x6c0, v82
	v_accvgpr_write_b32 a174, v1
	v_writelane_b32 v255, s42, 20
	v_or_b32_e32 v1, 1, v101
	v_accvgpr_write_b32 a163, v0
	v_add_u32_e32 v0, 0x900, v82
	v_writelane_b32 v255, s43, 21
	s_lshl_b64 s[48:49], s[92:93], 1
	v_accvgpr_write_b32 a175, v1
	v_or_b32_e32 v1, 2, v101
	v_cmp_lt_u32_e64 s[38:39], 63, v100
	v_accvgpr_write_b32 a164, v0
	v_add_u32_e32 v0, 0xb40, v82
	v_writelane_b32 v255, s48, 22
	v_accvgpr_write_b32 a176, v1
	v_or_b32_e32 v1, 3, v101
	s_mov_b64 s[80:81], s[38:39]
	v_accvgpr_write_b32 a165, v0
	v_add_u32_e32 v0, 0xd80, v82
	v_writelane_b32 v255, s49, 23
	v_accvgpr_write_b32 a177, v1
	v_add_u32_e32 v1, 33, v101
	s_mov_b64 s[4:5], src_private_base
	v_lshl_add_u32 v33, v33, 2, 0
	v_lshl_add_u32 v32, v32, 2, 0
	v_accvgpr_write_b32 a166, v0
	v_add_u32_e32 v0, 0xfc0, v82
	v_add_u32_e32 v120, 8, v197
	v_add_u32_e32 v122, 16, v197
	v_add_u32_e32 v129, 24, v197
	v_accvgpr_write_b32 a178, v1
	v_add_u32_e32 v1, 35, v101
	v_add_u32_e32 v144, 0x840, v118
	v_writelane_b32 v255, s80, 24
	v_accvgpr_write_b32 a10, v91
	s_mov_b32 s4, 0
	v_cmp_gt_u32_e64 s[6:7], 64, v197
	v_cmp_gt_u32_e64 s[84:85], 56, v197
	;; [unrolled: 1-line block ×8, first 2 shown]
	s_movk_i32 s97, 0x80
	v_accvgpr_write_b32 a9, v90
	v_accvgpr_write_b32 a126, v33
	;; [unrolled: 1-line block ×5, first 2 shown]
	s_mov_b32 s45, 0x42b17218
	s_mov_b32 s91, 0x3fb8aa3b
	;; [unrolled: 1-line block ×5, first 2 shown]
	v_mov_b32_e32 v203, 0
	v_accvgpr_write_b32 a69, v82
	v_accvgpr_write_b32 a167, v0
	v_add_u32_e32 v117, 0x1080, v148
	v_add_u32_e32 v0, 0x2100, v148
	;; [unrolled: 1-line block ×30, first 2 shown]
	v_cmp_gt_u32_e64 s[22:23], 64, v101
	v_cmp_gt_u32_e64 s[24:25], 63, v101
	;; [unrolled: 1-line block ×8, first 2 shown]
	v_accvgpr_write_b32 a11, v92
	s_lshl_b64 s[86:87], s[8:9], 8
	s_lshl_b64 s[88:89], s[46:47], 8
	v_add_u32_e32 v204, 0x180, v150
	v_add_u32_e32 v222, 0x4200, v185
	;; [unrolled: 1-line block ×8, first 2 shown]
	v_accvgpr_write_b32 a179, v1
	v_lshlrev_b32_e32 v82, 4, v49
	v_mov_b32_e32 v253, 0x7f800000
	s_mov_b32 s76, s44
	v_writelane_b32 v255, s81, 25
	v_accvgpr_write_b32 a22, v100
	v_accvgpr_write_b32 a49, v101
	;; [unrolled: 1-line block ×12, first 2 shown]
.LBB29_14:                              ; =>This Loop Header: Depth=1
                                        ;     Child Loop BB29_212 Depth 2
                                        ;     Child Loop BB29_57 Depth 2
	s_ashr_i32 s41, s50, 31
	v_readlane_b32 s42, v255, 3
	s_xor_b32 s41, s41, s42
	s_abs_i32 s42, s50
	v_readlane_b32 s44, v255, 5
	s_mul_hi_u32 s44, s42, s44
	v_readlane_b32 s51, v255, 4
	s_mul_i32 s48, s44, s51
	s_sub_i32 s42, s42, s48
	s_add_i32 s48, s44, 1
	s_sub_i32 s49, s42, s51
	s_cmp_ge_u32 s42, s51
	s_cselect_b32 s44, s48, s44
	s_cselect_b32 s42, s49, s42
	s_add_i32 s48, s44, 1
	s_cmp_ge_u32 s42, s51
	s_cselect_b32 s42, s48, s44
	s_xor_b32 s42, s42, s41
	v_readlane_b32 s48, v254, 49
	s_sub_i32 s44, s42, s41
	v_readlane_b32 s49, v254, 50
	s_andn2_b64 vcc, exec, s[48:49]
	s_ashr_i32 s56, s44, 31
	s_cbranch_vccnz .LBB29_16
; %bb.15:                               ;   in Loop: Header=BB29_14 Depth=1
	s_abs_i32 s41, s44
	v_accvgpr_read_b32 v1, a68
	v_mul_hi_u32 v1, s41, v1
	v_readlane_b32 s42, v254, 58
	v_mul_lo_u32 v1, v1, s42
	v_sub_u32_e32 v1, s41, v1
	v_subrev_u32_e32 v2, s42, v1
	v_cmp_le_u32_e32 vcc, s42, v1
	v_cndmask_b32_e32 v1, v1, v2, vcc
	v_subrev_u32_e32 v2, s42, v1
	v_cmp_le_u32_e32 vcc, s42, v1
	v_cndmask_b32_e32 v1, v1, v2, vcc
	v_xor_b32_e32 v1, s56, v1
	v_readlane_b32 s48, v254, 21
	v_subrev_u32_e32 v1, s56, v1
	v_readlane_b32 s49, v254, 22
	v_ashrrev_i32_e32 v2, 31, v1
	v_mul_lo_u32 v3, v1, s49
	v_mul_hi_u32 v4, v1, s48
	v_readlane_b32 s60, v254, 32
	v_add_u32_e32 v3, v4, v3
	v_mul_lo_u32 v2, v2, s48
	v_mul_lo_u32 v1, v1, s48
	v_readlane_b32 s66, v254, 38
	v_readlane_b32 s67, v254, 39
	v_add_u32_e32 v2, v3, v2
	v_mov_b32_e32 v3, s67
	v_add_co_u32_e32 v86, vcc, s66, v1
	v_addc_co_u32_e32 v87, vcc, v3, v2, vcc
	v_readlane_b32 s61, v254, 33
	v_readlane_b32 s62, v254, 34
	v_readlane_b32 s63, v254, 35
	v_readlane_b32 s64, v254, 36
	v_readlane_b32 s65, v254, 37
	v_readlane_b32 s68, v254, 40
	v_readlane_b32 s69, v254, 41
	v_readlane_b32 s70, v254, 42
	v_readlane_b32 s71, v254, 43
	v_readlane_b32 s72, v254, 44
	v_readlane_b32 s73, v254, 45
	v_readlane_b32 s74, v254, 46
	v_readlane_b32 s75, v254, 47
	s_branch .LBB29_17
.LBB29_16:                              ;   in Loop: Header=BB29_14 Depth=1
	v_pk_mov_b32 v[86:87], 0, 0
.LBB29_17:                              ;   in Loop: Header=BB29_14 Depth=1
	v_readlane_b32 s41, v254, 7
	s_mov_b32 s42, s50
	s_mul_i32 s41, s44, s41
	v_writelane_b32 v255, s42, 26
	v_writelane_b32 v255, s43, 27
	s_sub_i32 s41, s50, s41
	s_ashr_i32 s42, s41, 31
	v_readlane_b32 s48, v255, 6
	s_xor_b32 s42, s42, s48
	s_abs_i32 s48, s41
	v_readlane_b32 s49, v255, 8
	s_mul_hi_u32 s49, s48, s49
	v_readlane_b32 s52, v255, 7
	s_mul_i32 s50, s49, s52
	s_sub_i32 s48, s48, s50
	s_add_i32 s50, s49, 1
	s_sub_i32 s51, s48, s52
	s_cmp_ge_u32 s48, s52
	s_cselect_b32 s49, s50, s49
	s_cselect_b32 s48, s51, s48
	s_add_i32 s50, s49, 1
	s_cmp_ge_u32 s48, s52
	s_cselect_b32 s48, s50, s49
	s_xor_b32 s48, s48, s42
	s_sub_i32 s57, s48, s42
	v_readlane_b32 s42, v254, 6
	s_mul_i32 s42, s57, s42
	s_sub_i32 s41, s41, s42
	s_ashr_i32 s42, s41, 31
	v_readlane_b32 s48, v255, 9
	s_xor_b32 s42, s42, s48
	s_abs_i32 s48, s41
	v_readlane_b32 s49, v255, 11
	s_mul_hi_u32 s49, s48, s49
	v_readlane_b32 s52, v255, 10
	s_mul_i32 s50, s49, s52
	s_sub_i32 s48, s48, s50
	s_add_i32 s50, s49, 1
	s_sub_i32 s51, s48, s52
	s_cmp_ge_u32 s48, s52
	s_cselect_b32 s49, s50, s49
	s_cselect_b32 s48, s51, s48
	s_add_i32 s50, s49, 1
	s_cmp_ge_u32 s48, s52
	s_cselect_b32 s48, s50, s49
	s_xor_b32 s48, s48, s42
	s_sub_i32 s42, s48, s42
	v_readlane_b32 s48, v254, 2
	s_mul_i32 s48, s57, s48
	s_add_i32 s54, s48, s42
	v_readlane_b32 s48, v255, 0
	v_readlane_b32 s49, v255, 1
	s_andn2_b64 vcc, exec, s[48:49]
	v_mov_b32_e32 v84, 1.0
	s_cbranch_vccnz .LBB29_19
; %bb.18:                               ;   in Loop: Header=BB29_14 Depth=1
	v_readlane_b32 s49, v254, 18
	s_sub_i32 s48, s54, s49
	s_lshl_b32 s48, s48, 1
	s_add_i32 s50, s54, 1
	s_or_b32 s51, s48, 1
	s_cmp_lt_u32 s54, s49
	v_readlane_b32 s60, v254, 60
	s_cselect_b64 vcc, -1, 0
	v_readlane_b32 s62, v254, 62
	v_readlane_b32 s63, v254, 63
	s_and_b64 s[48:49], vcc, exec
	v_mov_b32_e32 v1, s63
	v_mov_b32_e32 v2, s62
	s_cselect_b32 s48, s50, s51
	v_cndmask_b32_e32 v18, v1, v2, vcc
	v_cvt_f32_i32_e32 v1, s48
	v_cmp_neq_f32_e32 vcc, 1.0, v18
	s_mov_b32 s48, 0x3f2aaaab
	s_movk_i32 s50, 0x204
	v_cndmask_b32_e32 v19, 1.0, v1, vcc
	v_cmp_eq_f32_e32 vcc, 0, v19
	v_cndmask_b32_e64 v20, |v18|, 1.0, vcc
	v_frexp_mant_f32_e32 v1, v20
	v_cmp_gt_f32_e64 s[48:49], s48, v1
	v_cndmask_b32_e64 v2, 1.0, 2.0, s[48:49]
	v_mul_f32_e32 v1, v1, v2
	v_add_f32_e32 v2, 1.0, v1
	v_rcp_f32_e32 v10, v2
	v_add_f32_e32 v3, -1.0, v2
	v_sub_f32_e32 v5, v1, v3
	v_add_f32_e32 v3, -1.0, v1
	v_mul_f32_e32 v1, v3, v10
	v_mul_f32_e32 v4, v2, v1
	v_fma_f32 v6, v1, v2, -v4
	v_fmac_f32_e32 v6, v1, v5
	v_add_f32_e32 v2, v4, v6
	v_sub_f32_e32 v5, v3, v2
	v_pk_add_f32 v[8:9], v[2:3], v[4:5] neg_lo:[0,1] neg_hi:[0,1]
	v_mov_b32_e32 v7, v2
	v_pk_add_f32 v[2:3], v[8:9], v[6:7] neg_lo:[0,1] neg_hi:[0,1]
	v_add_f32_e32 v2, v2, v3
	v_add_f32_e32 v2, v5, v2
	v_mul_f32_e32 v3, v10, v2
	v_add_f32_e32 v2, v1, v3
	v_sub_f32_e32 v1, v2, v1
	v_sub_f32_e32 v1, v3, v1
	v_mul_f32_e32 v3, v2, v2
	v_fma_f32 v5, v2, v2, -v3
	v_add_f32_e32 v4, v1, v1
	v_fmac_f32_e32 v5, v2, v4
	v_add_f32_e32 v4, v3, v5
	v_mov_b32_e32 v6, 0x3e91f4c4
	v_fmac_f32_e32 v6, 0x3e76c4e1, v4
	v_mov_b32_e32 v7, 0x3ecccdef
	v_fma_f32 v6, v4, v6, v7
	v_sub_f32_e32 v3, v4, v3
	v_sub_f32_e32 v12, v5, v3
	v_mul_f32_e32 v3, v4, v6
	v_fma_f32 v5, v4, v6, -v3
	v_fmac_f32_e32 v5, v12, v6
	v_add_f32_e32 v6, v3, v5
	v_add_f32_e32 v7, 0x3f2aaaaa, v6
	v_sub_f32_e32 v3, v6, v3
	v_sub_f32_e32 v3, v5, v3
	v_add_f32_e32 v5, 0xbf2aaaaa, v7
	v_add_f32_e32 v3, 0x31739010, v3
	v_sub_f32_e32 v5, v6, v5
	v_pk_mul_f32 v[8:9], v[2:3], v[4:5]
	v_fma_f32 v6, v4, v2, -v8
	v_pk_add_f32 v[10:11], v[2:3], v[4:5]
	v_fmac_f32_e32 v6, v4, v1
	v_mov_b32_e32 v9, v11
	v_fmac_f32_e32 v6, v12, v2
	v_pk_add_f32 v[4:5], v[8:9], v[6:7]
	v_sub_f32_e32 v3, v4, v8
	v_sub_f32_e32 v3, v6, v3
	;; [unrolled: 1-line block ×3, first 2 shown]
	v_add_f32_e32 v10, v11, v6
	v_mov_b32_e32 v6, v5
	v_pk_mul_f32 v[6:7], v[4:5], v[6:7]
	v_cvt_f64_f32_e32 v[8:9], v20
	v_frexp_exp_i32_f64_e32 v7, v[8:9]
	v_subbrev_co_u32_e64 v7, s[48:49], 0, v7, s[48:49]
	v_cvt_f32_i32_e32 v7, v7
	v_fma_f32 v8, v4, v5, -v6
	v_fmac_f32_e32 v8, v4, v10
	s_mov_b32 s48, 0x3f317218
	v_mul_f32_e32 v4, 0x3f317218, v7
	v_fmac_f32_e32 v8, v3, v5
	v_fma_f32 v10, v7, s48, -v4
	v_fmac_f32_e32 v10, 0xb102e308, v7
	v_ldexp_f32 v11, v2, 1
	v_add_f32_e32 v5, v6, v8
	v_pk_add_f32 v[2:3], v[4:5], v[10:11]
	v_mov_b32_e32 v12, v5
	v_mov_b32_e32 v13, v3
	v_mov_b32_e32 v7, v11
	v_pk_add_f32 v[6:7], v[12:13], v[6:7] neg_lo:[0,1] neg_hi:[0,1]
	v_mov_b32_e32 v9, v5
	v_ldexp_f32 v1, v1, 1
	v_pk_add_f32 v[6:7], v[8:9], v[6:7] neg_lo:[0,1] neg_hi:[0,1]
	v_add_f32_e32 v1, v1, v6
	v_add_f32_e32 v5, v1, v7
	v_pk_add_f32 v[6:7], v[2:3], v[4:5] neg_lo:[0,1] neg_hi:[0,1]
	v_pk_add_f32 v[8:9], v[2:3], v[4:5]
	v_mov_b32_e32 v12, v6
	v_mov_b32_e32 v13, v9
	;; [unrolled: 1-line block ×3, first 2 shown]
	v_pk_add_f32 v[12:13], v[10:11], v[12:13]
	v_mov_b32_e32 v4, v13
	v_pk_add_f32 v[14:15], v[4:5], v[2:3] neg_lo:[0,1] neg_hi:[0,1]
	v_mov_b32_e32 v1, v14
	v_mov_b32_e32 v12, v9
	;; [unrolled: 1-line block ×4, first 2 shown]
	v_pk_add_f32 v[6:7], v[10:11], v[6:7] neg_lo:[0,1] neg_hi:[0,1]
	v_pk_add_f32 v[16:17], v[8:9], v[0:1] neg_lo:[0,1] neg_hi:[0,1]
	;; [unrolled: 1-line block ×3, first 2 shown]
	v_mov_b32_e32 v10, v5
	v_pk_add_f32 v[2:3], v[10:11], v[2:3] neg_lo:[0,1] neg_hi:[0,1]
	v_mov_b32_e32 v16, v6
	v_pk_add_f32 v[8:9], v[16:17], v[2:3]
	v_mov_b32_e32 v10, v9
	v_pk_add_f32 v[10:11], v[8:9], v[10:11]
	v_pk_add_f32 v[4:5], v[4:5], v[10:11]
	v_mov_b32_e32 v7, v13
	v_mov_b32_e32 v9, v4
	v_pk_add_f32 v[12:13], v[8:9], v[6:7] neg_lo:[0,1] neg_hi:[0,1]
	v_mov_b32_e32 v3, v10
	v_sub_f32_e32 v1, v8, v12
	v_pk_add_f32 v[2:3], v[2:3], v[12:13] neg_lo:[0,1] neg_hi:[0,1]
	v_sub_f32_e32 v1, v6, v1
	v_add_f32_e32 v1, v2, v1
	v_add_f32_e32 v1, v1, v3
	;; [unrolled: 1-line block ×3, first 2 shown]
	v_sub_f32_e32 v3, v2, v4
	v_sub_f32_e32 v1, v1, v3
	v_mul_f32_e32 v3, v19, v2
	v_fma_f32 v2, v19, v2, -v3
	v_fmac_f32_e32 v2, v19, v1
	v_add_f32_e32 v1, v3, v2
	v_cmp_class_f32_e64 s[48:49], v3, s50
	v_sub_f32_e32 v4, v1, v3
	v_cndmask_b32_e64 v1, v1, v3, s[48:49]
	v_cmp_eq_f32_e64 s[48:49], s45, v1
	v_mov_b32_e32 v3, 0x37000000
	v_cndmask_b32_e64 v3, 0, v3, s[48:49]
	v_sub_f32_e32 v2, v2, v4
	v_sub_f32_e32 v4, v1, v3
	v_mul_f32_e32 v5, 0x3fb8aa3b, v4
	v_fma_f32 v6, v4, s91, -v5
	v_rndne_f32_e32 v7, v5
	v_fmac_f32_e32 v6, 0x32a5705f, v4
	v_sub_f32_e32 v5, v5, v7
	v_add_f32_e32 v5, v5, v6
	v_exp_f32_e32 v5, v5
	v_cvt_i32_f32_e32 v6, v7
	s_mov_b32 s51, 0x7f800000
	v_cmp_neq_f32_e64 s[48:49], |v1|, s51
	v_cndmask_b32_e64 v1, 0, v2, s[48:49]
	v_ldexp_f32 v2, v5, v6
	v_cmp_ngt_f32_e64 s[48:49], s96, v4
	v_cndmask_b32_e64 v2, 0, v2, s[48:49]
	v_cmp_nlt_f32_e64 s[48:49], s45, v4
	v_add_f32_e32 v1, v3, v1
	v_cndmask_b32_e64 v2, v253, v2, s[48:49]
	v_fma_f32 v1, v2, v1, v2
	v_cmp_class_f32_e64 s[48:49], v2, s50
	v_trunc_f32_e32 v3, v19
	v_cndmask_b32_e64 v1, v1, v2, s[48:49]
	v_cndmask_b32_e64 v2, v18, 1.0, vcc
	v_cmp_eq_f32_e32 vcc, v3, v19
	v_mul_f32_e32 v3, 0.5, v19
	v_trunc_f32_e32 v4, v3
	v_cmp_neq_f32_e64 s[48:49], v4, v3
	s_and_b64 s[48:49], vcc, s[48:49]
	v_cndmask_b32_e64 v3, 1.0, v2, s[48:49]
	s_brev_b32 s55, -2
	v_bfi_b32 v1, s55, v1, v3
	v_mov_b32_e32 v5, 0x7fc00000
	v_cndmask_b32_e32 v3, v5, v1, vcc
	v_cmp_gt_f32_e32 vcc, 0, v2
	v_cndmask_b32_e32 v1, v1, v3, vcc
	v_cmp_eq_f32_e32 vcc, s51, v20
	v_cmp_eq_f32_e64 s[50:51], 0, v2
	v_cmp_gt_f32_e64 s[52:53], 0, v19
	s_xor_b64 s[52:53], s[52:53], s[50:51]
	v_cndmask_b32_e64 v3, v253, 0, s[52:53]
	v_cndmask_b32_e64 v4, 0, v2, s[48:49]
	v_bfi_b32 v3, s55, v3, v4
	s_or_b64 vcc, vcc, s[50:51]
	v_cndmask_b32_e32 v1, v1, v3, vcc
	v_cmp_o_f32_e32 vcc, v2, v2
	v_cndmask_b32_e32 v84, v5, v1, vcc
	v_readlane_b32 s61, v254, 61
.LBB29_19:                              ;   in Loop: Header=BB29_14 Depth=1
	v_readlane_b32 s48, v254, 3
	s_mul_i32 s42, s42, s48
	s_sub_i32 s41, s41, s42
	s_ashr_i32 s42, s41, 31
	v_readlane_b32 s48, v254, 30
	s_xor_b32 s42, s42, s48
	s_abs_i32 s41, s41
	v_readlane_b32 s48, v254, 31
	s_mul_hi_u32 s48, s41, s48
	s_mul_i32 s49, s48, s99
	s_sub_i32 s41, s41, s49
	s_add_i32 s49, s48, 1
	s_sub_i32 s50, s41, s99
	s_cmp_ge_u32 s41, s99
	s_cselect_b32 s48, s49, s48
	s_cselect_b32 s41, s50, s41
	s_add_i32 s49, s48, 1
	s_cmp_ge_u32 s41, s99
	s_cselect_b32 s41, s49, s48
	v_readlane_b32 s48, v254, 53
	s_xor_b32 s41, s41, s42
	v_readlane_b32 s49, v254, 54
	s_andn2_b64 vcc, exec, s[48:49]
	s_sub_i32 s59, s41, s42
	s_cbranch_vccnz .LBB29_21
; %bb.20:                               ;   in Loop: Header=BB29_14 Depth=1
	v_readlane_b32 s41, v254, 0
	s_mul_i32 s41, s44, s41
	s_add_i32 s48, s59, s41
	s_ashr_i32 s49, s48, 31
	v_readlane_b32 s60, v254, 32
	s_lshl_b64 s[48:49], s[48:49], 2
	v_readlane_b32 s70, v254, 42
	v_readlane_b32 s71, v254, 43
	s_add_u32 s48, s70, s48
	s_addc_u32 s49, s71, s49
	global_load_dword v1, v203, s[48:49]
	v_readlane_b32 s61, v254, 33
	v_readlane_b32 s62, v254, 34
	;; [unrolled: 1-line block ×13, first 2 shown]
	s_waitcnt vmcnt(0)
	v_readfirstlane_b32 s41, v1
	s_ashr_i32 s42, s41, 31
	s_lshr_b32 s42, s42, 26
	s_add_i32 s41, s41, s42
	s_ashr_i32 s41, s41, 6
	s_min_i32 s40, s40, s41
	s_branch .LBB29_22
.LBB29_21:                              ;   in Loop: Header=BB29_14 Depth=1
	v_readlane_b32 s60, v254, 32
	v_readlane_b32 s61, v254, 33
	;; [unrolled: 1-line block ×16, first 2 shown]
.LBB29_22:                              ;   in Loop: Header=BB29_14 Depth=1
	v_readlane_b32 s41, v254, 59
	s_mul_i32 s41, s41, s44
	s_add_i32 s41, s54, s41
	s_lshl_b32 s42, s41, 7
	s_lshl_b64 s[48:49], s[42:43], 3
	s_add_u32 s75, s72, s48
	s_addc_u32 s74, s73, s49
	v_readlane_b32 s48, v254, 19
	v_readlane_b32 s49, v254, 20
	s_mul_i32 s41, s44, s49
	s_mul_hi_u32 s42, s44, s48
	s_add_i32 s41, s42, s41
	s_mul_i32 s42, s56, s48
	s_add_i32 s42, s41, s42
	s_mul_i32 s41, s44, s48
	v_readlane_b32 s48, v254, 26
	v_readlane_b32 s49, v254, 27
	;; [unrolled: 1-line block ×3, first 2 shown]
	v_writelane_b32 v255, s41, 28
	s_add_u32 s41, s64, s41
	s_mov_b64 s[52:53], s[48:49]
	s_mul_i32 s48, s57, s51
	v_writelane_b32 v255, s42, 29
	s_addc_u32 s42, s65, s42
	s_ashr_i32 s49, s48, 31
	s_add_u32 s90, s41, s48
	v_writelane_b32 v255, s48, 30
	s_addc_u32 s41, s42, s49
	s_ashr_i32 s55, s54, 31
	v_writelane_b32 v255, s49, 31
	s_lshl_b64 s[48:49], s[54:55], 2
	v_readlane_b32 s50, v254, 28
	s_add_u32 s42, s68, s48
	s_addc_u32 s50, s69, s49
	v_readlane_b32 s48, v254, 51
	v_readlane_b32 s49, v254, 52
	s_and_b64 s[48:49], s[48:49], exec
	s_cselect_b32 s65, 0, s50
	v_readlane_b32 s50, v254, 8
	v_readlane_b32 s51, v254, 9
	s_cselect_b32 s64, 0, s42
	s_mul_i32 s42, s44, s51
	s_ashr_i32 s48, s42, 31
	s_add_u32 s42, s60, s42
	s_mul_i32 s49, s54, s50
	s_addc_u32 s48, s61, s48
	s_ashr_i32 s50, s49, 31
	s_add_u32 s83, s42, s49
	s_addc_u32 s42, s48, s50
	s_mul_i32 s48, s44, s53
	s_mul_hi_u32 s49, s44, s52
	s_add_i32 s48, s49, s48
	s_mul_i32 s56, s56, s52
	v_readlane_b32 s50, v254, 24
	s_add_i32 s48, s48, s56
	s_mul_i32 s44, s44, s52
	v_readlane_b32 s51, v254, 25
	v_writelane_b32 v255, s44, 32
	s_add_u32 s44, s62, s44
	s_mul_i32 s49, s57, s51
	v_writelane_b32 v255, s48, 33
	s_addc_u32 s48, s63, s48
	s_ashr_i32 s50, s49, 31
	s_add_u32 s92, s44, s49
	v_writelane_b32 v255, s49, 34
	s_addc_u32 s93, s48, s50
	v_writelane_b32 v255, s50, 35
	s_cmp_lg_u32 s58, 0
	s_cbranch_scc0 .LBB29_67
; %bb.23:                               ;   in Loop: Header=BB29_14 Depth=1
	s_lshl_b32 s44, s59, 5
	v_add_u32_e32 v1, s44, v165
	v_cmp_le_i32_e32 vcc, s76, v1
	s_and_saveexec_b64 s[48:49], vcc
	s_xor_b64 s[48:49], exec, s[48:49]
	s_cbranch_execz .LBB29_25
; %bb.24:                               ;   in Loop: Header=BB29_14 Depth=1
	ds_write2st64_b32 v118, v203, v203 offset1:1
.LBB29_25:                              ;   in Loop: Header=BB29_14 Depth=1
	s_andn2_saveexec_b64 s[48:49], s[48:49]
	s_cbranch_execz .LBB29_27
; %bb.26:                               ;   in Loop: Header=BB29_14 Depth=1
	v_readlane_b32 s50, v254, 23
	v_mad_u64_u32 v[2:3], s[50:51], v1, s50, v[100:101]
	v_ashrrev_i32_e32 v3, 31, v2
	v_lshlrev_b64 v[2:3], 3, v[2:3]
	v_add_co_u32_e32 v2, vcc, s83, v2
	v_mov_b32_e32 v4, s42
	v_addc_co_u32_e32 v3, vcc, v4, v3, vcc
	global_load_dwordx2 v[4:5], v[2:3], off
	s_waitcnt vmcnt(0)
	v_cvt_f16_f32_e32 v4, v4
	global_load_dwordx2 v[2:3], v[2:3], off offset:512
	v_cvt_f16_f32_e32 v5, v5
	v_pack_b32_f16 v4, v4, v5
	v_pk_mul_f16 v4, v166, v4
	s_waitcnt vmcnt(0)
	v_cvt_f16_f32_e32 v2, v2
	v_cvt_f16_f32_e32 v3, v3
	v_pack_b32_f16 v2, v2, v3
	v_pk_mul_f16 v2, v166, v2
	ds_write2st64_b32 v118, v4, v2 offset1:1
.LBB29_27:                              ;   in Loop: Header=BB29_14 Depth=1
	s_or_b64 exec, exec, s[48:49]
	v_add_u32_e32 v43, s44, v191
	v_cmp_le_i32_e32 vcc, s76, v43
	s_and_saveexec_b64 s[48:49], vcc
	s_xor_b64 s[48:49], exec, s[48:49]
	s_cbranch_execz .LBB29_29
; %bb.28:                               ;   in Loop: Header=BB29_14 Depth=1
	ds_write2st64_b32 v144, v203, v203 offset1:1
.LBB29_29:                              ;   in Loop: Header=BB29_14 Depth=1
	s_andn2_saveexec_b64 s[48:49], s[48:49]
	s_cbranch_execz .LBB29_31
; %bb.30:                               ;   in Loop: Header=BB29_14 Depth=1
	v_readlane_b32 s50, v254, 23
	v_mad_u64_u32 v[2:3], s[50:51], v43, s50, v[100:101]
	v_ashrrev_i32_e32 v3, 31, v2
	v_lshlrev_b64 v[2:3], 3, v[2:3]
	v_add_co_u32_e32 v2, vcc, s83, v2
	v_mov_b32_e32 v4, s42
	v_addc_co_u32_e32 v3, vcc, v4, v3, vcc
	global_load_dwordx2 v[4:5], v[2:3], off
	s_waitcnt vmcnt(0)
	v_cvt_f16_f32_e32 v4, v4
	global_load_dwordx2 v[2:3], v[2:3], off offset:512
	v_cvt_f16_f32_e32 v5, v5
	v_pack_b32_f16 v4, v4, v5
	v_pk_mul_f16 v4, v166, v4
	s_waitcnt vmcnt(0)
	v_cvt_f16_f32_e32 v2, v2
	v_cvt_f16_f32_e32 v3, v3
	v_pack_b32_f16 v2, v2, v3
	v_pk_mul_f16 v2, v166, v2
	ds_write2st64_b32 v144, v4, v2 offset1:1
.LBB29_31:                              ;   in Loop: Header=BB29_14 Depth=1
	s_or_b64 exec, exec, s[48:49]
	v_add_u32_e32 v49, s44, v190
	v_cmp_le_i32_e32 vcc, s76, v49
	s_and_saveexec_b64 s[48:49], vcc
	s_xor_b64 s[48:49], exec, s[48:49]
	s_cbranch_execz .LBB29_33
; %bb.32:                               ;   in Loop: Header=BB29_14 Depth=1
	v_add_u32_e32 v2, 64, v144
	ds_write2st64_b32 v2, v203, v203 offset0:8 offset1:9
.LBB29_33:                              ;   in Loop: Header=BB29_14 Depth=1
	s_andn2_saveexec_b64 s[48:49], s[48:49]
	s_cbranch_execz .LBB29_35
; %bb.34:                               ;   in Loop: Header=BB29_14 Depth=1
	v_readlane_b32 s50, v254, 23
	v_mad_u64_u32 v[2:3], s[50:51], v49, s50, v[100:101]
	v_ashrrev_i32_e32 v3, 31, v2
	v_lshlrev_b64 v[2:3], 3, v[2:3]
	v_add_co_u32_e32 v2, vcc, s83, v2
	v_mov_b32_e32 v4, s42
	v_addc_co_u32_e32 v3, vcc, v4, v3, vcc
	global_load_dwordx2 v[4:5], v[2:3], off
	s_waitcnt vmcnt(0)
	v_cvt_f16_f32_e32 v4, v4
	global_load_dwordx2 v[2:3], v[2:3], off offset:512
	v_cvt_f16_f32_e32 v5, v5
	v_pack_b32_f16 v4, v4, v5
	v_pk_mul_f16 v4, v166, v4
	s_waitcnt vmcnt(0)
	v_cvt_f16_f32_e32 v2, v2
	v_cvt_f16_f32_e32 v3, v3
	v_pack_b32_f16 v2, v2, v3
	v_pk_mul_f16 v2, v166, v2
	v_add_u32_e32 v3, 64, v144
	ds_write2st64_b32 v3, v4, v2 offset0:8 offset1:9
.LBB29_35:                              ;   in Loop: Header=BB29_14 Depth=1
	s_or_b64 exec, exec, s[48:49]
	v_add_u32_e32 v83, s44, v187
	v_cmp_le_i32_e32 vcc, s76, v83
	s_and_saveexec_b64 s[48:49], vcc
	s_xor_b64 s[48:49], exec, s[48:49]
	s_cbranch_execz .LBB29_37
; %bb.36:                               ;   in Loop: Header=BB29_14 Depth=1
	v_add_u32_e32 v2, 0x80, v144
	ds_write2st64_b32 v2, v203, v203 offset0:16 offset1:17
.LBB29_37:                              ;   in Loop: Header=BB29_14 Depth=1
	s_andn2_saveexec_b64 s[48:49], s[48:49]
	s_cbranch_execz .LBB29_39
; %bb.38:                               ;   in Loop: Header=BB29_14 Depth=1
	v_readlane_b32 s50, v254, 23
	v_mad_u64_u32 v[2:3], s[50:51], v83, s50, v[100:101]
	v_ashrrev_i32_e32 v3, 31, v2
	v_lshlrev_b64 v[2:3], 3, v[2:3]
	v_add_co_u32_e32 v2, vcc, s83, v2
	v_mov_b32_e32 v4, s42
	v_addc_co_u32_e32 v3, vcc, v4, v3, vcc
	global_load_dwordx2 v[4:5], v[2:3], off
	s_waitcnt vmcnt(0)
	v_cvt_f16_f32_e32 v4, v4
	global_load_dwordx2 v[2:3], v[2:3], off offset:512
	v_cvt_f16_f32_e32 v5, v5
	v_pack_b32_f16 v4, v4, v5
	v_pk_mul_f16 v4, v166, v4
	s_waitcnt vmcnt(0)
	v_cvt_f16_f32_e32 v2, v2
	v_cvt_f16_f32_e32 v3, v3
	v_pack_b32_f16 v2, v2, v3
	v_pk_mul_f16 v2, v166, v2
	v_add_u32_e32 v3, 0x80, v144
	ds_write2st64_b32 v3, v4, v2 offset0:16 offset1:17
.LBB29_39:                              ;   in Loop: Header=BB29_14 Depth=1
	;; [unrolled: 35-line block ×3, first 2 shown]
	s_or_b64 exec, exec, s[48:49]
	v_add_u32_e32 v112, s44, v181
	v_cmp_le_i32_e32 vcc, s76, v112
	s_and_saveexec_b64 s[48:49], vcc
	s_xor_b64 s[48:49], exec, s[48:49]
	s_cbranch_execz .LBB29_45
; %bb.44:                               ;   in Loop: Header=BB29_14 Depth=1
	ds_write2st64_b32 v144, v203, v203 offset0:33 offset1:34
.LBB29_45:                              ;   in Loop: Header=BB29_14 Depth=1
	s_andn2_saveexec_b64 s[48:49], s[48:49]
	s_cbranch_execz .LBB29_47
; %bb.46:                               ;   in Loop: Header=BB29_14 Depth=1
	v_readlane_b32 s50, v254, 23
	v_mad_u64_u32 v[2:3], s[50:51], v112, s50, v[100:101]
	v_ashrrev_i32_e32 v3, 31, v2
	v_lshlrev_b64 v[2:3], 3, v[2:3]
	v_add_co_u32_e32 v2, vcc, s83, v2
	v_mov_b32_e32 v4, s42
	v_addc_co_u32_e32 v3, vcc, v4, v3, vcc
	global_load_dwordx2 v[4:5], v[2:3], off
	s_waitcnt vmcnt(0)
	v_cvt_f16_f32_e32 v4, v4
	global_load_dwordx2 v[2:3], v[2:3], off offset:512
	v_cvt_f16_f32_e32 v5, v5
	v_pack_b32_f16 v4, v4, v5
	v_pk_mul_f16 v4, v166, v4
	s_waitcnt vmcnt(0)
	v_cvt_f16_f32_e32 v2, v2
	v_cvt_f16_f32_e32 v3, v3
	v_pack_b32_f16 v2, v2, v3
	v_pk_mul_f16 v2, v166, v2
	ds_write2st64_b32 v144, v4, v2 offset0:33 offset1:34
.LBB29_47:                              ;   in Loop: Header=BB29_14 Depth=1
	s_or_b64 exec, exec, s[48:49]
	v_add_u32_e32 v113, s44, v180
	v_cmp_le_i32_e32 vcc, s76, v113
	s_and_saveexec_b64 s[48:49], vcc
	s_xor_b64 s[48:49], exec, s[48:49]
	s_cbranch_execz .LBB29_49
; %bb.48:                               ;   in Loop: Header=BB29_14 Depth=1
	v_add_u32_e32 v2, 64, v144
	ds_write2st64_b32 v2, v203, v203 offset0:41 offset1:42
.LBB29_49:                              ;   in Loop: Header=BB29_14 Depth=1
	s_andn2_saveexec_b64 s[48:49], s[48:49]
	s_cbranch_execz .LBB29_51
; %bb.50:                               ;   in Loop: Header=BB29_14 Depth=1
	v_readlane_b32 s50, v254, 23
	v_mad_u64_u32 v[2:3], s[50:51], v113, s50, v[100:101]
	v_ashrrev_i32_e32 v3, 31, v2
	v_lshlrev_b64 v[2:3], 3, v[2:3]
	v_add_co_u32_e32 v2, vcc, s83, v2
	v_mov_b32_e32 v4, s42
	v_addc_co_u32_e32 v3, vcc, v4, v3, vcc
	global_load_dwordx2 v[4:5], v[2:3], off
	s_waitcnt vmcnt(0)
	v_cvt_f16_f32_e32 v4, v4
	global_load_dwordx2 v[2:3], v[2:3], off offset:512
	v_cvt_f16_f32_e32 v5, v5
	v_pack_b32_f16 v4, v4, v5
	v_pk_mul_f16 v4, v166, v4
	s_waitcnt vmcnt(0)
	v_cvt_f16_f32_e32 v2, v2
	v_cvt_f16_f32_e32 v3, v3
	v_pack_b32_f16 v2, v2, v3
	v_pk_mul_f16 v2, v166, v2
	v_add_u32_e32 v3, 64, v144
	ds_write2st64_b32 v3, v4, v2 offset0:41 offset1:42
.LBB29_51:                              ;   in Loop: Header=BB29_14 Depth=1
	s_or_b64 exec, exec, s[48:49]
	v_add_u32_e32 v114, s44, v171
	v_cmp_le_i32_e32 vcc, s76, v114
	s_and_saveexec_b64 s[48:49], vcc
	s_xor_b64 s[48:49], exec, s[48:49]
	s_cbranch_execz .LBB29_53
; %bb.52:                               ;   in Loop: Header=BB29_14 Depth=1
	v_add_u32_e32 v2, 0x80, v144
	ds_write2st64_b32 v2, v203, v203 offset0:49 offset1:50
.LBB29_53:                              ;   in Loop: Header=BB29_14 Depth=1
	s_andn2_saveexec_b64 s[48:49], s[48:49]
	s_cbranch_execz .LBB29_55
; %bb.54:                               ;   in Loop: Header=BB29_14 Depth=1
	v_readlane_b32 s50, v254, 23
	v_mad_u64_u32 v[2:3], s[50:51], v114, s50, v[100:101]
	v_ashrrev_i32_e32 v3, 31, v2
	v_lshlrev_b64 v[2:3], 3, v[2:3]
	v_add_co_u32_e32 v2, vcc, s83, v2
	v_mov_b32_e32 v4, s42
	v_addc_co_u32_e32 v3, vcc, v4, v3, vcc
	global_load_dwordx2 v[4:5], v[2:3], off
	s_waitcnt vmcnt(0)
	v_cvt_f16_f32_e32 v4, v4
	global_load_dwordx2 v[2:3], v[2:3], off offset:512
	v_cvt_f16_f32_e32 v5, v5
	v_pack_b32_f16 v4, v4, v5
	v_pk_mul_f16 v4, v166, v4
	s_waitcnt vmcnt(0)
	v_cvt_f16_f32_e32 v2, v2
	v_cvt_f16_f32_e32 v3, v3
	v_pack_b32_f16 v2, v2, v3
	v_pk_mul_f16 v2, v166, v2
	v_add_u32_e32 v3, 0x80, v144
	ds_write2st64_b32 v3, v4, v2 offset0:49 offset1:50
.LBB29_55:                              ;   in Loop: Header=BB29_14 Depth=1
	s_or_b64 exec, exec, s[48:49]
	s_waitcnt lgkmcnt(0)
	s_barrier
	ds_read2_b64 v[30:33], v102 offset1:4
	ds_read2_b64 v[26:29], v102 offset0:8 offset1:12
	ds_read2_b64 v[22:25], v102 offset0:16 offset1:20
	ds_read2_b64 v[18:21], v102 offset0:24 offset1:28
	ds_read2_b64 v[14:17], v102 offset0:32 offset1:36
	ds_read2_b64 v[10:13], v102 offset0:40 offset1:44
	ds_read2_b64 v[6:9], v102 offset0:48 offset1:52
	ds_read2_b64 v[2:5], v102 offset0:56 offset1:60
	s_add_i32 s56, s40, -1
	v_writelane_b32 v255, s74, 36
	s_cmp_le_i32 s56, s58
	v_mov_b32_e32 v106, 0
	v_writelane_b32 v255, s75, 37
	s_waitcnt lgkmcnt(0)
	s_barrier
	s_cbranch_scc1 .LBB29_68
; %bb.56:                               ;   in Loop: Header=BB29_14 Depth=1
	v_readlane_b32 s52, v254, 14
	v_mul_hi_u32 v42, s52, v45
	v_readlane_b32 s53, v254, 15
	v_add_u32_e32 v42, v45, v42
	v_lshrrev_b32_e32 v42, s53, v42
	v_mul_lo_u32 v42, v42, s76
	v_readlane_b32 s54, v255, 20
	v_sub_u32_e32 v42, v45, v42
	v_mad_i64_i32 v[98:99], s[50:51], v42, s54, 0
	v_mul_hi_u32 v42, s52, v112
	v_add_u32_e32 v42, v112, v42
	v_lshrrev_b32_e32 v42, s53, v42
	v_mul_lo_u32 v42, v42, s76
	v_sub_u32_e32 v42, v112, v42
	v_lshlrev_b32_e32 v34, 1, v100
	v_mad_i64_i32 v[100:101], s[50:51], v42, s54, 0
	v_mul_hi_u32 v42, s52, v113
	v_add_u32_e32 v42, v113, v42
	v_lshrrev_b32_e32 v42, s53, v42
	v_mul_lo_u32 v42, v42, s76
	v_sub_u32_e32 v42, v113, v42
	v_mad_i64_i32 v[102:103], s[50:51], v42, s54, 0
	v_mul_hi_u32 v42, s52, v114
	v_add_u32_e32 v42, v114, v42
	v_lshrrev_b32_e32 v42, s53, v42
	v_mul_lo_u32 v42, v42, s76
	v_sub_u32_e32 v42, v114, v42
	v_add_co_u32_e32 v118, vcc, v86, v34
	v_mad_i64_i32 v[104:105], s[50:51], v42, s54, 0
	v_and_b32_e32 v42, 64, v123
	v_addc_co_u32_e32 v120, vcc, 0, v87, vcc
	v_mul_hi_u32 v34, s52, v1
	v_mul_hi_u32 v36, s52, v43
	v_mul_hi_u32 v38, s52, v49
	v_mul_hi_u32 v40, s52, v83
	v_add_u32_e32 v42, 64, v42
	v_xor_b32_e32 v44, 32, v123
	v_add_u32_e32 v34, v1, v34
	v_add_u32_e32 v36, v43, v36
	;; [unrolled: 1-line block ×4, first 2 shown]
	v_cmp_lt_i32_e32 vcc, v44, v42
	v_lshrrev_b32_e32 v34, s53, v34
	v_lshrrev_b32_e32 v36, s53, v36
	;; [unrolled: 1-line block ×4, first 2 shown]
	v_cndmask_b32_e32 v44, v123, v44, vcc
	v_mul_lo_u32 v34, v34, s76
	v_mul_lo_u32 v36, v36, s76
	;; [unrolled: 1-line block ×4, first 2 shown]
	v_lshlrev_b32_e32 v122, 2, v44
	v_xor_b32_e32 v44, 16, v123
	v_sub_u32_e32 v34, v1, v34
	v_sub_u32_e32 v36, v43, v36
	;; [unrolled: 1-line block ×4, first 2 shown]
	v_cmp_lt_i32_e32 vcc, v44, v42
	v_mad_i64_i32 v[34:35], s[50:51], v34, s54, 0
	v_mad_i64_i32 v[36:37], s[50:51], v36, s54, 0
	;; [unrolled: 1-line block ×4, first 2 shown]
	v_cndmask_b32_e32 v42, v123, v44, vcc
	v_cmp_ne_u64_e64 s[48:49], 0, v[86:87]
	v_mov_b32_e32 v128, 0
	v_lshlrev_b32_e32 v123, 2, v42
	v_mov_b32_e32 v88, v84
	v_mov_b32_e32 v89, v84
	s_lshl_b32 s52, s58, 6
	v_mov_b32_e32 v129, 0
	v_mov_b32_e32 v144, 0xfeffffff
	v_lshlrev_b64 v[90:91], 1, v[34:35]
	v_lshlrev_b64 v[92:93], 1, v[36:37]
	v_lshlrev_b64 v[94:95], 1, v[38:39]
	v_lshlrev_b64 v[96:97], 1, v[40:41]
	v_lshlrev_b64 v[98:99], 1, v[98:99]
	v_lshlrev_b64 v[100:101], 1, v[100:101]
	v_lshlrev_b64 v[102:103], 1, v[102:103]
	v_lshlrev_b64 v[104:105], 1, v[104:105]
	v_mov_b32_e32 v153, 0
	v_mov_b32_e32 v131, 0
	;; [unrolled: 1-line block ×31, first 2 shown]
	v_readlane_b32 s55, v255, 21
.LBB29_57:                              ;   Parent Loop BB29_14 Depth=1
                                        ; =>  This Inner Loop Header: Depth=2
	v_cndmask_b32_e64 v34, 0, 1, s[48:49]
	v_cmp_ne_u32_e64 s[50:51], 1, v34
	s_andn2_b64 vcc, exec, s[48:49]
	s_ashr_i32 s53, s52, 31
	s_cbranch_vccnz .LBB29_63
; %bb.58:                               ;   in Loop: Header=BB29_57 Depth=2
                                        ; implicit-def: $sgpr57
	s_and_saveexec_b64 s[54:55], s[80:81]
	s_xor_b64 s[54:55], exec, s[54:55]
	s_cbranch_execz .LBB29_60
; %bb.59:                               ;   in Loop: Header=BB29_57 Depth=2
	v_accvgpr_read_b32 v34, a69
	ds_write_b16 v34, v203 offset:33792
	v_accvgpr_read_b32 v34, a161
	ds_write_b16 v34, v203 offset:33792
	;; [unrolled: 2-line block ×4, first 2 shown]
	s_mov_b32 s57, 0
.LBB29_60:                              ;   in Loop: Header=BB29_57 Depth=2
	s_or_saveexec_b64 s[54:55], s[54:55]
	v_mov_b32_e32 v34, s57
	v_mov_b32_e32 v35, s57
	;; [unrolled: 1-line block ×4, first 2 shown]
	s_xor_b64 exec, exec, s[54:55]
	s_cbranch_execz .LBB29_62
; %bb.61:                               ;   in Loop: Header=BB29_57 Depth=2
	s_lshl_b64 s[60:61], s[52:53], 1
	v_add_co_u32_e32 v38, vcc, s60, v118
	v_mov_b32_e32 v34, s61
	v_addc_co_u32_e32 v39, vcc, v120, v34, vcc
	v_add_co_u32_e32 v34, vcc, v38, v90
	v_addc_co_u32_e32 v35, vcc, v39, v91, vcc
	flat_load_ushort v36, v[34:35]
	v_add_co_u32_e32 v34, vcc, v38, v92
	v_addc_co_u32_e32 v35, vcc, v39, v93, vcc
	flat_load_ushort v37, v[34:35]
	;; [unrolled: 3-line block ×4, first 2 shown]
	v_accvgpr_read_b32 v35, a69
	s_waitcnt vmcnt(0) lgkmcnt(0)
	ds_write_b16 v35, v36 offset:33792
	v_accvgpr_read_b32 v35, a161
	ds_write_b16 v35, v37 offset:33792
	v_accvgpr_read_b32 v35, a162
	;; [unrolled: 2-line block ×3, first 2 shown]
	ds_write_b16 v35, v34 offset:33792
	v_add_co_u32_e32 v34, vcc, v38, v98
	v_addc_co_u32_e32 v35, vcc, v39, v99, vcc
	v_add_co_u32_e32 v36, vcc, v38, v100
	v_addc_co_u32_e32 v37, vcc, v39, v101, vcc
	flat_load_ushort v34, v[34:35]
	s_nop 0
	flat_load_ushort v35, v[36:37]
	v_add_co_u32_e32 v36, vcc, v38, v102
	v_addc_co_u32_e32 v37, vcc, v39, v103, vcc
	v_add_co_u32_e32 v38, vcc, v38, v104
	v_addc_co_u32_e32 v39, vcc, v39, v105, vcc
	flat_load_ushort v36, v[36:37]
	s_nop 0
	flat_load_ushort v37, v[38:39]
.LBB29_62:                              ;   in Loop: Header=BB29_57 Depth=2
	s_or_b64 exec, exec, s[54:55]
	v_accvgpr_read_b32 v38, a164
	s_waitcnt vmcnt(0) lgkmcnt(0)
	ds_write_b16 v38, v34 offset:33792
	v_accvgpr_read_b32 v34, a165
	ds_write_b16 v34, v35 offset:33792
	v_accvgpr_read_b32 v34, a166
	;; [unrolled: 2-line block ×3, first 2 shown]
	ds_write_b16 v34, v37 offset:33792
.LBB29_63:                              ;   in Loop: Header=BB29_57 Depth=2
	s_mul_hi_i32 s55, s52, s46
	s_mul_i32 s54, s52, s46
	s_lshl_b64 s[54:55], s[54:55], 2
	s_add_u32 s53, s92, s54
	s_addc_u32 s54, s93, s55
	v_mov_b32_e32 v34, s54
	v_add_co_u32_e32 v35, vcc, s53, v66
	v_addc_co_u32_e32 v34, vcc, v34, v67, vcc
	v_lshlrev_b32_e32 v157, 2, v202
	v_add_co_u32_e32 v36, vcc, v35, v157
	v_addc_co_u32_e32 v34, vcc, 0, v34, vcc
	v_mov_b32_e32 v40, s5
	v_mov_b32_e32 v41, s4
	buffer_store_dword v203, off, s[0:3], 0
	buffer_store_dword v203, off, s[0:3], 0 offset:4
	buffer_store_dword v203, off, s[0:3], 0 offset:8
	;; [unrolled: 1-line block ×3, first 2 shown]
	v_cndmask_b32_e64 v35, v40, v34, s[6:7]
	v_cndmask_b32_e64 v34, v41, v36, s[6:7]
	flat_load_dwordx4 v[34:37], v[34:35]
	v_mov_b32_e32 v38, s54
	v_add_co_u32_e32 v39, vcc, s53, v68
	v_addc_co_u32_e32 v38, vcc, v38, v69, vcc
	v_add_co_u32_e32 v39, vcc, v39, v157
	v_addc_co_u32_e32 v85, vcc, 0, v38, vcc
	v_cndmask_b32_e64 v38, v41, v39, s[84:85]
	v_cndmask_b32_e64 v39, v40, v85, s[84:85]
	s_waitcnt vmcnt(0) lgkmcnt(0)
	ds_write_b128 v148, v[34:37]
	flat_load_dwordx4 v[34:37], v[38:39]
	v_mov_b32_e32 v38, s54
	v_add_co_u32_e32 v39, vcc, s53, v70
	v_addc_co_u32_e32 v38, vcc, v38, v71, vcc
	v_add_co_u32_e32 v39, vcc, v39, v157
	v_addc_co_u32_e32 v85, vcc, 0, v38, vcc
	v_cndmask_b32_e64 v38, v41, v39, s[10:11]
	v_cndmask_b32_e64 v39, v40, v85, s[10:11]
	s_waitcnt vmcnt(0) lgkmcnt(0)
	ds_write_b128 v117, v[34:37]
	;; [unrolled: 10-line block ×6, first 2 shown]
	flat_load_dwordx4 v[34:37], v[38:39]
	v_mov_b32_e32 v38, s54
	v_add_co_u32_e32 v39, vcc, s53, v80
	v_addc_co_u32_e32 v38, vcc, v38, v81, vcc
	v_add_co_u32_e32 v39, vcc, v39, v157
	v_addc_co_u32_e32 v85, vcc, 0, v38, vcc
	v_cndmask_b32_e64 v38, v41, v39, s[20:21]
	v_cndmask_b32_e64 v39, v40, v85, s[20:21]
	v_add_u32_e32 v85, 0x4000, v198
	s_and_b64 vcc, exec, s[50:51]
	s_waitcnt vmcnt(0) lgkmcnt(0)
	ds_write_b128 v246, v[34:37]
	flat_load_dwordx4 v[34:37], v[38:39]
	s_waitcnt vmcnt(0) lgkmcnt(0)
	ds_write_b128 v248, v[34:37]
	s_waitcnt lgkmcnt(0)
	s_barrier
	ds_read2_b64 v[34:37], v198 offset1:4
	ds_read2_b64 v[38:41], v85 offset0:64 offset1:68
	s_waitcnt lgkmcnt(1)
	v_mfma_f32_16x16x16f16 a[0:3], v[34:35], v[30:31], 0
	s_waitcnt lgkmcnt(0)
	v_mfma_f32_16x16x16f16 a[4:7], v[38:39], v[30:31], 0
	v_mfma_f32_16x16x16f16 a[0:3], v[36:37], v[32:33], a[0:3]
	ds_read2_b64 v[34:37], v198 offset0:8 offset1:12
	v_mfma_f32_16x16x16f16 a[4:7], v[40:41], v[32:33], a[4:7]
	ds_read2_b64 v[38:41], v85 offset0:72 offset1:76
	s_waitcnt lgkmcnt(1)
	v_mfma_f32_16x16x16f16 a[0:3], v[34:35], v[26:27], a[0:3]
	s_waitcnt lgkmcnt(0)
	v_mfma_f32_16x16x16f16 a[4:7], v[38:39], v[26:27], a[4:7]
	v_mfma_f32_16x16x16f16 a[0:3], v[36:37], v[28:29], a[0:3]
	ds_read2_b64 v[34:37], v198 offset0:16 offset1:20
	v_mfma_f32_16x16x16f16 a[4:7], v[40:41], v[28:29], a[4:7]
	;; [unrolled: 8-line block ×7, first 2 shown]
	ds_read2_b64 v[38:41], v85 offset0:120 offset1:124
	s_waitcnt lgkmcnt(0)
	s_barrier
	v_mfma_f32_16x16x16f16 a[0:3], v[34:35], v[2:3], a[0:3]
	v_mfma_f32_16x16x16f16 a[4:7], v[38:39], v[2:3], a[4:7]
	v_mfma_f32_16x16x16f16 a[0:3], v[36:37], v[4:5], a[0:3]
	v_mfma_f32_16x16x16f16 a[4:7], v[40:41], v[4:5], a[4:7]
	s_cbranch_vccnz .LBB29_65
; %bb.64:                               ;   in Loop: Header=BB29_57 Depth=2
	v_accvgpr_read_b32 v85, a70
	v_add_u32_e32 v85, 0x8400, v85
	ds_read2_b32 v[146:147], v85 offset1:1
	s_nop 5
	v_accvgpr_read_b32 v41, a3
	v_accvgpr_read_b32 v40, a2
	;; [unrolled: 1-line block ×4, first 2 shown]
	s_waitcnt lgkmcnt(0)
	v_cvt_f32_f16_e32 v162, v146
	v_cvt_f32_f16_sdwa v163, v146 dst_sel:DWORD dst_unused:UNUSED_PAD src0_sel:WORD_1
	v_cvt_f32_f16_e32 v146, v147
	v_cvt_f32_f16_sdwa v147, v147 dst_sel:DWORD dst_unused:UNUSED_PAD src0_sel:WORD_1
	v_mov_b32_e32 v85, v84
	v_pk_fma_f32 v[38:39], v[88:89], v[162:163], v[38:39]
	v_accvgpr_write_b32 a0, v38
	v_pk_fma_f32 v[40:41], v[84:85], v[146:147], v[40:41]
	v_accvgpr_write_b32 a2, v40
	v_accvgpr_read_b32 v38, a72
	v_accvgpr_read_b32 v40, a74
	ds_read_b32 v38, v38 offset:33792
	ds_read_b32 v40, v40 offset:33792
	v_accvgpr_write_b32 a1, v39
	v_accvgpr_write_b32 a3, v41
	v_accvgpr_read_b32 v37, a7
	s_waitcnt lgkmcnt(1)
	v_cvt_f32_f16_sdwa v39, v38 dst_sel:DWORD dst_unused:UNUSED_PAD src0_sel:WORD_1
	v_cvt_f32_f16_e32 v38, v38
	s_waitcnt lgkmcnt(0)
	v_cvt_f32_f16_sdwa v41, v40 dst_sel:DWORD dst_unused:UNUSED_PAD src0_sel:WORD_1
	v_cvt_f32_f16_e32 v40, v40
	v_accvgpr_read_b32 v36, a6
	v_accvgpr_read_b32 v35, a5
	v_accvgpr_read_b32 v34, a4
	v_pk_fma_f32 v[36:37], v[84:85], v[40:41], v[36:37]
	v_pk_fma_f32 v[34:35], v[88:89], v[38:39], v[34:35]
	v_accvgpr_write_b32 a4, v34
	v_accvgpr_write_b32 a5, v35
	;; [unrolled: 1-line block ×4, first 2 shown]
.LBB29_65:                              ;   in Loop: Header=BB29_57 Depth=2
	s_nop 7
	s_nop 0
	v_accvgpr_read_b32 v37, a3
	v_accvgpr_read_b32 v34, a0
	v_add_f32_e32 v85, 0x40051340, v34
	v_max_f32_e32 v116, v144, v144
	v_max_f32_e32 v85, v116, v85
	v_accvgpr_read_b32 v35, a1
	v_cndmask_b32_e64 v85, v144, v85, s[22:23]
	v_add_f32_e32 v116, 0x40051340, v35
	v_max_f32_e32 v145, v85, v85
	v_max_f32_e32 v116, v145, v116
	v_accvgpr_read_b32 v36, a2
	v_cndmask_b32_e64 v85, v85, v116, s[24:25]
	v_add_f32_e32 v116, 0x40051340, v36
	v_max_f32_e32 v145, v85, v85
	v_max_f32_e32 v116, v145, v116
	v_cndmask_b32_e64 v85, v85, v116, s[26:27]
	v_add_f32_e32 v116, 0x40051340, v37
	v_max_f32_e32 v145, v85, v85
	v_accvgpr_read_b32 v41, a7
	v_max_f32_e32 v116, v145, v116
	v_accvgpr_read_b32 v38, a4
	v_cndmask_b32_e64 v85, v85, v116, s[28:29]
	v_add_f32_e32 v116, 0x40051340, v38
	v_max_f32_e32 v145, v85, v85
	v_max_f32_e32 v116, v145, v116
	v_accvgpr_read_b32 v39, a5
	v_cndmask_b32_e64 v85, v85, v116, s[30:31]
	v_add_f32_e32 v116, 0x40051340, v39
	v_max_f32_e32 v145, v85, v85
	;; [unrolled: 5-line block ×3, first 2 shown]
	v_max_f32_e32 v116, v145, v116
	v_cndmask_b32_e64 v85, v85, v116, s[36:37]
	v_add_f32_e32 v116, 0x40051340, v41
	v_max_f32_e32 v145, v85, v85
	v_max_f32_e32 v116, v145, v116
	v_cndmask_b32_e64 v85, v85, v116, s[38:39]
	ds_bpermute_b32 v116, v122, v85
	v_max_f32_e32 v85, v85, v85
	v_cndmask_b32_e64 v36, v36, v36, s[24:25]
	v_cndmask_b32_e64 v37, v37, v37, s[24:25]
	v_cndmask_b32_e64 v39, v39, v39, s[30:31]
	s_waitcnt lgkmcnt(0)
	v_max_f32_e32 v116, v116, v116
	v_max_f32_e32 v85, v85, v116
	ds_bpermute_b32 v116, v123, v85
	v_cndmask_b32_e64 v40, v40, v40, s[30:31]
	v_cndmask_b32_e64 v41, v41, v41, s[30:31]
	s_mul_hi_i32 s51, s52, s8
	s_mul_i32 s50, s52, s8
	s_waitcnt lgkmcnt(0)
	v_max_f32_e32 v116, v116, v116
	v_max_f32_e32 v85, v85, v116
	v_sub_f32_e32 v34, v34, v85
	v_mul_f32_e32 v116, 0x3fb8aa3b, v34
	v_fma_f32 v145, v34, s91, -v116
	v_rndne_f32_e32 v146, v116
	v_fmac_f32_e32 v145, 0x32a5705f, v34
	v_sub_f32_e32 v116, v116, v146
	v_add_f32_e32 v116, v116, v145
	v_exp_f32_e32 v116, v116
	v_cvt_i32_f32_e32 v145, v146
	v_cmp_ngt_f32_e32 vcc, s96, v34
	v_sub_f32_e32 v35, v35, v85
	v_sub_f32_e32 v36, v36, v85
	v_ldexp_f32 v116, v116, v145
	v_cndmask_b32_e32 v116, 0, v116, vcc
	v_cmp_nlt_f32_e32 vcc, s45, v34
	v_cndmask_b32_e32 v34, v253, v116, vcc
	v_mul_f32_e32 v116, 0x3fb8aa3b, v35
	v_fma_f32 v145, v35, s91, -v116
	v_rndne_f32_e32 v146, v116
	v_fmac_f32_e32 v145, 0x32a5705f, v35
	v_sub_f32_e32 v116, v116, v146
	v_add_f32_e32 v116, v116, v145
	v_exp_f32_e32 v116, v116
	v_cvt_i32_f32_e32 v145, v146
	v_cmp_ngt_f32_e32 vcc, s96, v35
	v_cndmask_b32_e64 v34, 0, v34, s[22:23]
	s_lshl_b64 s[50:51], s[50:51], 2
	v_ldexp_f32 v116, v116, v145
	v_cndmask_b32_e32 v116, 0, v116, vcc
	v_cmp_nlt_f32_e32 vcc, s45, v35
	v_cndmask_b32_e32 v116, v253, v116, vcc
	v_mov_b32_e32 v35, s43
	v_add_f32_e32 v145, v116, v34
	v_cndmask_b32_e64 v159, v35, v116, s[24:25]
	v_mul_f32_e32 v116, 0x3fb8aa3b, v36
	v_cndmask_b32_e64 v35, v34, v145, s[24:25]
	v_fma_f32 v145, v36, s91, -v116
	v_rndne_f32_e32 v146, v116
	v_fmac_f32_e32 v145, 0x32a5705f, v36
	v_sub_f32_e32 v116, v116, v146
	v_add_f32_e32 v116, v116, v145
	v_exp_f32_e32 v116, v116
	v_cvt_i32_f32_e32 v145, v146
	v_cmp_ngt_f32_e32 vcc, s96, v36
	v_cvt_f16_f32_e32 v34, v34
	s_add_u32 s50, s90, s50
	v_ldexp_f32 v116, v116, v145
	v_cndmask_b32_e32 v116, 0, v116, vcc
	v_cmp_nlt_f32_e32 vcc, s45, v36
	v_cndmask_b32_e32 v116, v253, v116, vcc
	v_add_f32_e32 v145, v35, v116
	v_mov_b32_e32 v36, s43
	v_cndmask_b32_e64 v160, v36, v116, s[26:27]
	v_cndmask_b32_e64 v36, v35, v145, s[26:27]
	v_sub_f32_e32 v35, v37, v85
	v_mul_f32_e32 v37, 0x3fb8aa3b, v35
	v_fma_f32 v116, v35, s91, -v37
	v_rndne_f32_e32 v145, v37
	v_fmac_f32_e32 v116, 0x32a5705f, v35
	v_sub_f32_e32 v37, v37, v145
	v_add_f32_e32 v37, v37, v116
	v_exp_f32_e32 v37, v37
	v_cvt_i32_f32_e32 v116, v145
	v_cmp_ngt_f32_e32 vcc, s96, v35
	s_addc_u32 s51, s41, s51
	buffer_store_dword v203, off, s[0:3], 0
	buffer_store_dword v203, off, s[0:3], 0 offset:4
	buffer_store_dword v203, off, s[0:3], 0 offset:8
	;; [unrolled: 1-line block ×3, first 2 shown]
	v_ldexp_f32 v37, v37, v116
	v_cndmask_b32_e32 v37, 0, v37, vcc
	v_cmp_nlt_f32_e32 vcc, s45, v35
	v_cndmask_b32_e32 v37, v253, v37, vcc
	v_add_f32_e32 v116, v36, v37
	v_mov_b32_e32 v35, s43
	v_cndmask_b32_e64 v37, v35, v37, s[28:29]
	v_cndmask_b32_e64 v35, v36, v116, s[28:29]
	v_sub_f32_e32 v36, v38, v85
	v_mul_f32_e32 v38, 0x3fb8aa3b, v36
	v_fma_f32 v116, v36, s91, -v38
	v_rndne_f32_e32 v145, v38
	v_fmac_f32_e32 v116, 0x32a5705f, v36
	v_sub_f32_e32 v38, v38, v145
	v_add_f32_e32 v38, v38, v116
	v_exp_f32_e32 v38, v38
	v_cvt_i32_f32_e32 v116, v145
	v_cmp_ngt_f32_e32 vcc, s96, v36
	v_cvt_f16_f32_e32 v37, v37
	s_add_i32 s58, s58, 1
	v_ldexp_f32 v38, v38, v116
	v_cndmask_b32_e32 v38, 0, v38, vcc
	v_cmp_nlt_f32_e32 vcc, s45, v36
	v_cndmask_b32_e32 v38, v253, v38, vcc
	v_add_f32_e32 v116, v38, v35
	v_mov_b32_e32 v36, s43
	v_cndmask_b32_e64 v38, v36, v38, s[30:31]
	v_cndmask_b32_e64 v36, v35, v116, s[30:31]
	v_sub_f32_e32 v35, v39, v85
	v_mul_f32_e32 v39, 0x3fb8aa3b, v35
	v_fma_f32 v116, v35, s91, -v39
	v_rndne_f32_e32 v145, v39
	v_fmac_f32_e32 v116, 0x32a5705f, v35
	v_sub_f32_e32 v39, v39, v145
	v_add_f32_e32 v39, v39, v116
	v_exp_f32_e32 v39, v39
	v_cvt_i32_f32_e32 v116, v145
	v_cmp_ngt_f32_e32 vcc, s96, v35
	s_add_i32 s52, s52, 64
	s_cmp_lt_i32 s58, s56
	v_ldexp_f32 v39, v39, v116
	v_cndmask_b32_e32 v39, 0, v39, vcc
	v_cmp_nlt_f32_e32 vcc, s45, v35
	v_cndmask_b32_e32 v39, v253, v39, vcc
	v_add_f32_e32 v116, v39, v36
	v_mov_b32_e32 v35, s43
	v_cndmask_b32_e64 v39, v35, v39, s[34:35]
	v_cndmask_b32_e64 v35, v36, v116, s[34:35]
	v_sub_f32_e32 v36, v40, v85
	v_mul_f32_e32 v40, 0x3fb8aa3b, v36
	v_fma_f32 v116, v36, s91, -v40
	v_rndne_f32_e32 v145, v40
	v_fmac_f32_e32 v116, 0x32a5705f, v36
	v_sub_f32_e32 v40, v40, v145
	v_add_f32_e32 v40, v40, v116
	v_exp_f32_e32 v40, v40
	v_cvt_i32_f32_e32 v116, v145
	v_cmp_ngt_f32_e32 vcc, s96, v36
	v_ldexp_f32 v40, v40, v116
	v_cndmask_b32_e32 v40, 0, v40, vcc
	v_cmp_nlt_f32_e32 vcc, s45, v36
	v_cndmask_b32_e32 v40, v253, v40, vcc
	v_add_f32_e32 v116, v40, v35
	v_mov_b32_e32 v36, s43
	v_cndmask_b32_e64 v40, v36, v40, s[36:37]
	v_cndmask_b32_e64 v36, v35, v116, s[36:37]
	v_sub_f32_e32 v35, v41, v85
	v_mul_f32_e32 v41, 0x3fb8aa3b, v35
	v_fma_f32 v116, v35, s91, -v41
	v_rndne_f32_e32 v145, v41
	v_fmac_f32_e32 v116, 0x32a5705f, v35
	v_sub_f32_e32 v41, v41, v145
	v_add_f32_e32 v41, v41, v116
	v_exp_f32_e32 v41, v41
	v_cvt_i32_f32_e32 v116, v145
	v_cmp_ngt_f32_e32 vcc, s96, v35
	v_ldexp_f32 v41, v41, v116
	v_cndmask_b32_e32 v41, 0, v41, vcc
	v_cmp_nlt_f32_e32 vcc, s45, v35
	v_cndmask_b32_e32 v41, v253, v41, vcc
	v_add_f32_e32 v116, v41, v36
	v_mov_b32_e32 v35, s43
	v_cndmask_b32_e64 v116, v36, v116, s[38:39]
	v_sub_f32_e32 v36, v144, v85
	v_cndmask_b32_e64 v35, v35, v41, s[38:39]
	v_mul_f32_e32 v41, 0x3fb8aa3b, v36
	v_fma_f32 v144, v36, s91, -v41
	v_rndne_f32_e32 v145, v41
	v_fmac_f32_e32 v144, 0x32a5705f, v36
	v_sub_f32_e32 v41, v41, v145
	v_add_f32_e32 v41, v41, v144
	v_exp_f32_e32 v41, v41
	v_cvt_i32_f32_e32 v144, v145
	v_cmp_ngt_f32_e32 vcc, s96, v36
	v_cvt_f16_f32_e32 v35, v35
	v_ldexp_f32 v41, v41, v144
	v_cndmask_b32_e32 v41, 0, v41, vcc
	v_cmp_nlt_f32_e32 vcc, s45, v36
	v_cndmask_b32_e32 v41, v253, v41, vcc
	v_cmp_le_f32_e32 vcc, s33, v36
	v_cndmask_b32_e32 v36, 0, v41, vcc
	v_fmac_f32_e32 v116, v129, v36
	v_cvt_f16_f32_e32 v36, v36
	v_pk_mul_f16 v156, v36, v107 op_sel_hi:[0,1]
	v_pk_mul_f16 v154, v36, v106 op_sel_hi:[0,1]
	;; [unrolled: 1-line block ×32, first 2 shown]
	v_cvt_f16_f32_e32 v36, v159
	v_mov_b32_e32 v153, s5
	v_mov_b32_e32 v159, s4
	v_pack_b32_f16 v36, v34, v36
	v_cvt_f16_f32_e32 v34, v160
	v_pack_b32_f16 v37, v34, v37
	v_cvt_f16_f32_e32 v34, v38
	v_cvt_f16_f32_e32 v38, v39
	v_mov_b32_e32 v39, s51
	v_pack_b32_f16 v34, v34, v38
	v_cvt_f16_f32_e32 v38, v40
	v_pack_b32_f16 v35, v38, v35
	v_add_co_u32_e32 v38, vcc, s50, v50
	v_addc_co_u32_e32 v39, vcc, v39, v51, vcc
	v_add_co_u32_e32 v38, vcc, v38, v157
	v_addc_co_u32_e32 v39, vcc, 0, v39, vcc
	v_cndmask_b32_e64 v163, v153, v39, s[6:7]
	v_cndmask_b32_e64 v162, v159, v38, s[6:7]
	flat_load_dwordx4 v[172:175], v[162:163]
	v_add_co_u32_e32 v38, vcc, s50, v52
	v_mov_b32_e32 v39, s51
	v_addc_co_u32_e32 v39, vcc, v39, v53, vcc
	v_add_co_u32_e32 v38, vcc, v38, v157
	v_addc_co_u32_e32 v39, vcc, 0, v39, vcc
	v_cndmask_b32_e64 v169, v153, v39, s[84:85]
	v_cndmask_b32_e64 v168, v159, v38, s[84:85]
	v_add_co_u32_e32 v38, vcc, s50, v54
	v_mov_b32_e32 v39, s51
	v_addc_co_u32_e32 v39, vcc, v39, v55, vcc
	v_add_co_u32_e32 v38, vcc, v38, v157
	v_addc_co_u32_e32 v39, vcc, 0, v39, vcc
	v_cndmask_b32_e64 v177, v153, v39, s[10:11]
	v_cndmask_b32_e64 v176, v159, v38, s[10:11]
	;; [unrolled: 7-line block ×7, first 2 shown]
	s_waitcnt vmcnt(0) lgkmcnt(0)
	ds_write_b128 v148, v[172:175]
	flat_load_dwordx4 v[172:175], v[168:169]
	s_waitcnt vmcnt(0) lgkmcnt(0)
	ds_write_b128 v117, v[172:175]
	flat_load_dwordx4 v[172:175], v[176:177]
	s_waitcnt vmcnt(0) lgkmcnt(0)
	ds_write_b128 v0, v[172:175]
	flat_load_dwordx4 v[172:175], v[110:111]
	s_waitcnt vmcnt(0) lgkmcnt(0)
	ds_write_b128 v47, v[172:175]
	flat_load_dwordx4 v[108:111], v[108:109]
	s_waitcnt vmcnt(0) lgkmcnt(0)
	ds_write_b128 v252, v[108:111]
	flat_load_dwordx4 v[106:109], v[106:107]
	s_waitcnt vmcnt(0) lgkmcnt(0)
	ds_write_b128 v250, v[106:109]
	flat_load_dwordx4 v[106:109], v[40:41]
	s_waitcnt vmcnt(0) lgkmcnt(0)
	ds_write_b128 v246, v[106:109]
	flat_load_dwordx4 v[38:41], v[38:39]
	s_waitcnt vmcnt(0) lgkmcnt(0)
	ds_write_b128 v248, v[38:41]
	s_waitcnt lgkmcnt(0)
	s_barrier
	ds_read_u16 v106, v150 offset:528
	ds_read_u16 v107, v150 offset:1056
	ds_read_u16 v108, v151
	ds_read_u16 v109, v151 offset:32
	v_cvt_f32_f16_e32 v38, v156
	v_cvt_f32_f16_sdwa v39, v156 dst_sel:DWORD dst_unused:UNUSED_PAD src0_sel:WORD_1
	v_cvt_f32_f16_e32 v40, v154
	s_waitcnt lgkmcnt(1)
	v_perm_b32 v107, v108, v107, s98
	ds_read_u16 v108, v149
	ds_read_u16 v110, v149 offset:32
	v_cvt_f32_f16_sdwa v41, v154 dst_sel:DWORD dst_unused:UNUSED_PAD src0_sel:WORD_1
	v_accvgpr_write_b32 a0, v38
	v_accvgpr_write_b32 a1, v39
	s_waitcnt lgkmcnt(1)
	v_perm_b32 v106, v106, v108, s98
	v_accvgpr_write_b32 a2, v40
	v_accvgpr_write_b32 a3, v41
	s_nop 1
	v_mfma_f32_16x16x16f16 a[0:3], v[106:107], v[36:37], a[0:3]
	ds_read_u16 v106, v149 offset:16896
	ds_read_u16 v108, v243 offset:528
	;; [unrolled: 1-line block ×4, first 2 shown]
	s_waitcnt lgkmcnt(2)
	v_perm_b32 v106, v108, v106, s98
	s_waitcnt lgkmcnt(0)
	v_perm_b32 v107, v111, v107, s98
	ds_read_u16 v108, v244 offset:528
	ds_read_u16 v111, v244 offset:1056
	s_nop 0
	v_accvgpr_read_b32 v38, a0
	v_cvt_f16_f32_e32 v38, v38
	v_accvgpr_read_b32 v39, a1
	v_accvgpr_read_b32 v40, a2
	;; [unrolled: 1-line block ×3, first 2 shown]
	v_cvt_f16_f32_e32 v39, v39
	v_cvt_f16_f32_e32 v40, v40
	v_cvt_f16_f32_e32 v41, v41
	v_cvt_f32_f16_e32 v38, v38
	v_cvt_f32_f16_e32 v39, v39
	;; [unrolled: 1-line block ×4, first 2 shown]
	v_accvgpr_write_b32 a0, v38
	v_accvgpr_write_b32 a1, v39
	;; [unrolled: 1-line block ×4, first 2 shown]
	s_waitcnt lgkmcnt(0)
	v_perm_b32 v109, v109, v111, s98
	v_perm_b32 v108, v108, v110, s98
	v_mfma_f32_16x16x16f16 a[0:3], v[106:107], v[34:35], a[0:3]
	s_nop 7
	s_nop 2
	v_accvgpr_read_b32 v38, a0
	v_accvgpr_read_b32 v39, a1
	v_cvt_f16_f32_e32 v38, v38
	v_cvt_f16_f32_e32 v39, v39
	v_accvgpr_read_b32 v40, a2
	v_accvgpr_read_b32 v41, a3
	v_cvt_f16_f32_e32 v40, v40
	v_cvt_f16_f32_e32 v41, v41
	v_pack_b32_f16 v107, v38, v39
	v_cvt_f32_f16_e32 v38, v147
	v_cvt_f32_f16_sdwa v39, v147 dst_sel:DWORD dst_unused:UNUSED_PAD src0_sel:WORD_1
	v_pack_b32_f16 v106, v40, v41
	v_cvt_f32_f16_e32 v40, v146
	v_cvt_f32_f16_sdwa v41, v146 dst_sel:DWORD dst_unused:UNUSED_PAD src0_sel:WORD_1
	v_accvgpr_write_b32 a0, v38
	v_accvgpr_write_b32 a1, v39
	;; [unrolled: 1-line block ×4, first 2 shown]
	s_nop 1
	v_mfma_f32_16x16x16f16 a[0:3], v[108:109], v[36:37], a[0:3]
	ds_read_u16 v108, v199 offset:16896
	ds_read_u16 v110, v216 offset:528
	;; [unrolled: 1-line block ×4, first 2 shown]
	s_waitcnt lgkmcnt(2)
	v_perm_b32 v108, v110, v108, s98
	s_waitcnt lgkmcnt(0)
	v_perm_b32 v109, v111, v109, s98
	ds_read_u16 v110, v149 offset:64
	ds_read_u16 v146, v240 offset:528
	;; [unrolled: 1-line block ×4, first 2 shown]
	v_accvgpr_read_b32 v38, a0
	v_cvt_f16_f32_e32 v38, v38
	v_accvgpr_read_b32 v39, a1
	v_accvgpr_read_b32 v40, a2
	;; [unrolled: 1-line block ×3, first 2 shown]
	v_cvt_f16_f32_e32 v39, v39
	v_cvt_f16_f32_e32 v40, v40
	;; [unrolled: 1-line block ×3, first 2 shown]
	v_cvt_f32_f16_e32 v38, v38
	v_cvt_f32_f16_e32 v39, v39
	;; [unrolled: 1-line block ×4, first 2 shown]
	v_accvgpr_write_b32 a0, v38
	v_accvgpr_write_b32 a1, v39
	;; [unrolled: 1-line block ×4, first 2 shown]
	s_waitcnt lgkmcnt(0)
	v_perm_b32 v111, v147, v111, s98
	v_perm_b32 v110, v146, v110, s98
	v_mfma_f32_16x16x16f16 a[0:3], v[108:109], v[34:35], a[0:3]
	s_nop 7
	s_nop 2
	v_accvgpr_read_b32 v38, a0
	v_accvgpr_read_b32 v39, a1
	v_cvt_f16_f32_e32 v38, v38
	v_cvt_f16_f32_e32 v39, v39
	v_accvgpr_read_b32 v40, a2
	v_accvgpr_read_b32 v41, a3
	v_cvt_f16_f32_e32 v40, v40
	v_cvt_f16_f32_e32 v41, v41
	v_pack_b32_f16 v109, v38, v39
	v_cvt_f32_f16_e32 v38, v145
	v_cvt_f32_f16_sdwa v39, v145 dst_sel:DWORD dst_unused:UNUSED_PAD src0_sel:WORD_1
	v_pack_b32_f16 v108, v40, v41
	v_cvt_f32_f16_e32 v40, v144
	v_cvt_f32_f16_sdwa v41, v144 dst_sel:DWORD dst_unused:UNUSED_PAD src0_sel:WORD_1
	v_accvgpr_write_b32 a0, v38
	v_accvgpr_write_b32 a1, v39
	;; [unrolled: 1-line block ×4, first 2 shown]
	s_nop 1
	v_mfma_f32_16x16x16f16 a[0:3], v[110:111], v[36:37], a[0:3]
	ds_read_u16 v110, v219 offset:16896
	ds_read_u16 v144, v221 offset:528
	ds_read_u16 v111, v241 offset:1056
	ds_read_u16 v145, v224 offset:16896
	s_waitcnt lgkmcnt(2)
	v_perm_b32 v110, v144, v110, s98
	s_waitcnt lgkmcnt(0)
	v_perm_b32 v111, v145, v111, s98
	ds_read_u16 v144, v149 offset:96
	ds_read_u16 v146, v242 offset:528
	;; [unrolled: 1-line block ×4, first 2 shown]
	v_accvgpr_read_b32 v38, a0
	v_cvt_f16_f32_e32 v38, v38
	v_accvgpr_read_b32 v39, a1
	v_accvgpr_read_b32 v40, a2
	;; [unrolled: 1-line block ×3, first 2 shown]
	v_cvt_f16_f32_e32 v39, v39
	v_cvt_f16_f32_e32 v40, v40
	;; [unrolled: 1-line block ×3, first 2 shown]
	v_cvt_f32_f16_e32 v38, v38
	v_cvt_f32_f16_e32 v39, v39
	;; [unrolled: 1-line block ×4, first 2 shown]
	v_accvgpr_write_b32 a0, v38
	v_accvgpr_write_b32 a1, v39
	;; [unrolled: 1-line block ×4, first 2 shown]
	s_waitcnt lgkmcnt(0)
	v_perm_b32 v145, v147, v145, s98
	v_perm_b32 v144, v146, v144, s98
	v_mfma_f32_16x16x16f16 a[0:3], v[110:111], v[34:35], a[0:3]
	s_nop 7
	s_nop 2
	v_accvgpr_read_b32 v38, a0
	v_accvgpr_read_b32 v39, a1
	v_cvt_f16_f32_e32 v38, v38
	v_cvt_f16_f32_e32 v39, v39
	v_accvgpr_read_b32 v40, a2
	v_accvgpr_read_b32 v41, a3
	v_cvt_f16_f32_e32 v40, v40
	v_cvt_f16_f32_e32 v41, v41
	v_pack_b32_f16 v111, v38, v39
	v_cvt_f32_f16_e32 v38, v124
	v_cvt_f32_f16_sdwa v39, v124 dst_sel:DWORD dst_unused:UNUSED_PAD src0_sel:WORD_1
	v_pack_b32_f16 v110, v40, v41
	v_cvt_f32_f16_e32 v40, v42
	v_cvt_f32_f16_sdwa v41, v42 dst_sel:DWORD dst_unused:UNUSED_PAD src0_sel:WORD_1
	v_accvgpr_write_b32 a0, v38
	v_accvgpr_write_b32 a1, v39
	;; [unrolled: 1-line block ×4, first 2 shown]
	s_nop 1
	v_mfma_f32_16x16x16f16 a[0:3], v[144:145], v[36:37], a[0:3]
	ds_read_u16 v42, v228 offset:16896
	ds_read_u16 v124, v229 offset:528
	ds_read_u16 v144, v226 offset:1056
	ds_read_u16 v145, v231 offset:16896
	s_waitcnt lgkmcnt(0)
	v_perm_b32 v145, v145, v144, s98
	v_perm_b32 v144, v124, v42, s98
	s_nop 3
	v_accvgpr_read_b32 v38, a0
	v_cvt_f16_f32_e32 v38, v38
	v_accvgpr_read_b32 v39, a1
	v_accvgpr_read_b32 v40, a2
	;; [unrolled: 1-line block ×3, first 2 shown]
	v_cvt_f16_f32_e32 v39, v39
	v_cvt_f16_f32_e32 v40, v40
	;; [unrolled: 1-line block ×3, first 2 shown]
	v_cvt_f32_f16_e32 v38, v38
	v_cvt_f32_f16_e32 v39, v39
	;; [unrolled: 1-line block ×4, first 2 shown]
	v_accvgpr_write_b32 a0, v38
	v_accvgpr_write_b32 a1, v39
	;; [unrolled: 1-line block ×4, first 2 shown]
	s_nop 1
	v_mfma_f32_16x16x16f16 a[0:3], v[144:145], v[34:35], a[0:3]
	ds_read_u16 v144, v149 offset:128
	ds_read_u16 v146, v237 offset:528
	;; [unrolled: 1-line block ×4, first 2 shown]
	s_waitcnt lgkmcnt(2)
	v_perm_b32 v144, v146, v144, s98
	s_waitcnt lgkmcnt(0)
	v_perm_b32 v145, v147, v145, s98
	s_nop 2
	v_accvgpr_read_b32 v38, a0
	v_accvgpr_read_b32 v39, a1
	v_cvt_f16_f32_e32 v38, v38
	v_cvt_f16_f32_e32 v39, v39
	v_accvgpr_read_b32 v40, a2
	v_accvgpr_read_b32 v41, a3
	v_cvt_f16_f32_e32 v40, v40
	v_cvt_f16_f32_e32 v41, v41
	v_pack_b32_f16 v124, v38, v39
	v_cvt_f32_f16_e32 v38, v119
	v_cvt_f32_f16_sdwa v39, v119 dst_sel:DWORD dst_unused:UNUSED_PAD src0_sel:WORD_1
	v_pack_b32_f16 v42, v40, v41
	v_cvt_f32_f16_e32 v40, v46
	v_cvt_f32_f16_sdwa v41, v46 dst_sel:DWORD dst_unused:UNUSED_PAD src0_sel:WORD_1
	v_accvgpr_write_b32 a0, v38
	v_accvgpr_write_b32 a1, v39
	;; [unrolled: 1-line block ×4, first 2 shown]
	s_nop 1
	v_mfma_f32_16x16x16f16 a[0:3], v[144:145], v[36:37], a[0:3]
	ds_read_u16 v46, v232 offset:16896
	ds_read_u16 v119, v218 offset:528
	;; [unrolled: 1-line block ×4, first 2 shown]
	s_waitcnt lgkmcnt(0)
	v_perm_b32 v145, v145, v144, s98
	v_perm_b32 v144, v119, v46, s98
	s_nop 3
	v_accvgpr_read_b32 v38, a0
	v_cvt_f16_f32_e32 v38, v38
	v_accvgpr_read_b32 v39, a1
	v_accvgpr_read_b32 v40, a2
	;; [unrolled: 1-line block ×3, first 2 shown]
	v_cvt_f16_f32_e32 v39, v39
	v_cvt_f16_f32_e32 v40, v40
	;; [unrolled: 1-line block ×3, first 2 shown]
	v_cvt_f32_f16_e32 v38, v38
	v_cvt_f32_f16_e32 v39, v39
	v_cvt_f32_f16_e32 v40, v40
	v_cvt_f32_f16_e32 v41, v41
	v_accvgpr_write_b32 a0, v38
	v_accvgpr_write_b32 a1, v39
	;; [unrolled: 1-line block ×4, first 2 shown]
	s_nop 1
	v_mfma_f32_16x16x16f16 a[0:3], v[144:145], v[34:35], a[0:3]
	ds_read_u16 v144, v149 offset:160
	ds_read_u16 v146, v239 offset:528
	;; [unrolled: 1-line block ×4, first 2 shown]
	s_waitcnt lgkmcnt(2)
	v_perm_b32 v144, v146, v144, s98
	s_waitcnt lgkmcnt(0)
	v_perm_b32 v145, v147, v145, s98
	s_nop 2
	v_accvgpr_read_b32 v38, a0
	v_accvgpr_read_b32 v39, a1
	v_cvt_f16_f32_e32 v38, v38
	v_cvt_f16_f32_e32 v39, v39
	v_accvgpr_read_b32 v40, a2
	v_accvgpr_read_b32 v41, a3
	v_cvt_f16_f32_e32 v40, v40
	v_cvt_f16_f32_e32 v41, v41
	v_pack_b32_f16 v119, v38, v39
	v_cvt_f32_f16_e32 v38, v125
	v_cvt_f32_f16_sdwa v39, v125 dst_sel:DWORD dst_unused:UNUSED_PAD src0_sel:WORD_1
	v_pack_b32_f16 v46, v40, v41
	v_cvt_f32_f16_e32 v40, v44
	v_cvt_f32_f16_sdwa v41, v44 dst_sel:DWORD dst_unused:UNUSED_PAD src0_sel:WORD_1
	v_accvgpr_write_b32 a0, v38
	v_accvgpr_write_b32 a1, v39
	;; [unrolled: 1-line block ×4, first 2 shown]
	s_nop 1
	v_mfma_f32_16x16x16f16 a[0:3], v[144:145], v[36:37], a[0:3]
	ds_read_u16 v44, v164 offset:16896
	ds_read_u16 v125, v225 offset:528
	;; [unrolled: 1-line block ×4, first 2 shown]
	s_waitcnt lgkmcnt(0)
	v_perm_b32 v145, v145, v144, s98
	v_perm_b32 v144, v125, v44, s98
	s_nop 3
	v_accvgpr_read_b32 v38, a0
	v_cvt_f16_f32_e32 v38, v38
	v_accvgpr_read_b32 v39, a1
	v_accvgpr_read_b32 v40, a2
	;; [unrolled: 1-line block ×3, first 2 shown]
	v_cvt_f16_f32_e32 v39, v39
	v_cvt_f16_f32_e32 v40, v40
	;; [unrolled: 1-line block ×3, first 2 shown]
	v_cvt_f32_f16_e32 v38, v38
	v_cvt_f32_f16_e32 v39, v39
	;; [unrolled: 1-line block ×4, first 2 shown]
	v_accvgpr_write_b32 a0, v38
	v_accvgpr_write_b32 a1, v39
	;; [unrolled: 1-line block ×4, first 2 shown]
	s_nop 1
	v_mfma_f32_16x16x16f16 a[0:3], v[144:145], v[34:35], a[0:3]
	ds_read_u16 v144, v149 offset:192
	ds_read_u16 v145, v212 offset:528
	;; [unrolled: 1-line block ×4, first 2 shown]
	s_nop 6
	v_accvgpr_read_b32 v38, a0
	v_accvgpr_read_b32 v39, a1
	v_cvt_f16_f32_e32 v38, v38
	v_cvt_f16_f32_e32 v39, v39
	v_accvgpr_read_b32 v40, a2
	v_accvgpr_read_b32 v41, a3
	v_cvt_f16_f32_e32 v40, v40
	v_cvt_f16_f32_e32 v41, v41
	v_pack_b32_f16 v125, v38, v39
	v_cvt_f32_f16_e32 v38, v127
	v_cvt_f32_f16_sdwa v39, v127 dst_sel:DWORD dst_unused:UNUSED_PAD src0_sel:WORD_1
	v_pack_b32_f16 v44, v40, v41
	v_cvt_f32_f16_e32 v40, v126
	v_cvt_f32_f16_sdwa v41, v126 dst_sel:DWORD dst_unused:UNUSED_PAD src0_sel:WORD_1
	s_waitcnt lgkmcnt(0)
	v_perm_b32 v127, v147, v146, s98
	v_perm_b32 v126, v145, v144, s98
	v_accvgpr_write_b32 a0, v38
	v_accvgpr_write_b32 a1, v39
	;; [unrolled: 1-line block ×4, first 2 shown]
	s_nop 1
	v_mfma_f32_16x16x16f16 a[0:3], v[126:127], v[36:37], a[0:3]
	ds_read_u16 v126, v167 offset:16896
	ds_read_u16 v144, v247 offset:528
	;; [unrolled: 1-line block ×4, first 2 shown]
	s_waitcnt lgkmcnt(2)
	v_perm_b32 v126, v144, v126, s98
	s_waitcnt lgkmcnt(0)
	v_perm_b32 v127, v145, v127, s98
	ds_read_u16 v144, v149 offset:224
	ds_read_u16 v146, v211 offset:528
	;; [unrolled: 1-line block ×4, first 2 shown]
	v_accvgpr_read_b32 v38, a0
	v_cvt_f16_f32_e32 v38, v38
	v_accvgpr_read_b32 v39, a1
	v_accvgpr_read_b32 v40, a2
	;; [unrolled: 1-line block ×3, first 2 shown]
	v_cvt_f16_f32_e32 v39, v39
	v_cvt_f16_f32_e32 v40, v40
	;; [unrolled: 1-line block ×3, first 2 shown]
	v_cvt_f32_f16_e32 v38, v38
	v_cvt_f32_f16_e32 v39, v39
	;; [unrolled: 1-line block ×4, first 2 shown]
	v_accvgpr_write_b32 a0, v38
	v_accvgpr_write_b32 a1, v39
	v_accvgpr_write_b32 a2, v40
	v_accvgpr_write_b32 a3, v41
	s_waitcnt lgkmcnt(0)
	v_perm_b32 v145, v147, v145, s98
	v_perm_b32 v144, v146, v144, s98
	v_mfma_f32_16x16x16f16 a[0:3], v[126:127], v[34:35], a[0:3]
	s_nop 7
	s_nop 2
	v_accvgpr_read_b32 v38, a0
	v_accvgpr_read_b32 v39, a1
	v_cvt_f16_f32_e32 v38, v38
	v_cvt_f16_f32_e32 v39, v39
	v_accvgpr_read_b32 v40, a2
	v_accvgpr_read_b32 v41, a3
	v_cvt_f16_f32_e32 v40, v40
	v_cvt_f16_f32_e32 v41, v41
	v_pack_b32_f16 v127, v38, v39
	v_cvt_f32_f16_e32 v38, v134
	v_cvt_f32_f16_sdwa v39, v134 dst_sel:DWORD dst_unused:UNUSED_PAD src0_sel:WORD_1
	v_pack_b32_f16 v126, v40, v41
	v_cvt_f32_f16_e32 v40, v133
	v_cvt_f32_f16_sdwa v41, v133 dst_sel:DWORD dst_unused:UNUSED_PAD src0_sel:WORD_1
	v_accvgpr_write_b32 a0, v38
	v_accvgpr_write_b32 a1, v39
	;; [unrolled: 1-line block ×4, first 2 shown]
	v_accvgpr_read_b32 v134, a40
	ds_read_u16 v133, v170 offset:16896
	v_mfma_f32_16x16x16f16 a[0:3], v[144:145], v[36:37], a[0:3]
	v_accvgpr_read_b32 v145, a41
	ds_read_u16 v134, v134 offset:528
	ds_read_u16 v144, v210 offset:1056
	;; [unrolled: 1-line block ×3, first 2 shown]
	s_waitcnt lgkmcnt(0)
	v_perm_b32 v145, v145, v144, s98
	v_perm_b32 v144, v134, v133, s98
	s_nop 3
	v_accvgpr_read_b32 v38, a0
	v_cvt_f16_f32_e32 v38, v38
	v_accvgpr_read_b32 v39, a1
	v_accvgpr_read_b32 v40, a2
	;; [unrolled: 1-line block ×3, first 2 shown]
	v_cvt_f16_f32_e32 v39, v39
	v_cvt_f16_f32_e32 v40, v40
	;; [unrolled: 1-line block ×3, first 2 shown]
	v_cvt_f32_f16_e32 v38, v38
	v_cvt_f32_f16_e32 v39, v39
	;; [unrolled: 1-line block ×4, first 2 shown]
	v_accvgpr_write_b32 a0, v38
	v_accvgpr_write_b32 a1, v39
	;; [unrolled: 1-line block ×4, first 2 shown]
	s_nop 1
	v_mfma_f32_16x16x16f16 a[0:3], v[144:145], v[34:35], a[0:3]
	ds_read_u16 v144, v149 offset:256
	ds_read_u16 v145, v209 offset:528
	;; [unrolled: 1-line block ×4, first 2 shown]
	s_nop 6
	v_accvgpr_read_b32 v38, a0
	v_accvgpr_read_b32 v39, a1
	v_cvt_f16_f32_e32 v38, v38
	v_cvt_f16_f32_e32 v39, v39
	v_accvgpr_read_b32 v40, a2
	v_accvgpr_read_b32 v41, a3
	v_cvt_f16_f32_e32 v40, v40
	v_cvt_f16_f32_e32 v41, v41
	v_pack_b32_f16 v134, v38, v39
	v_cvt_f32_f16_e32 v38, v139
	v_cvt_f32_f16_sdwa v39, v139 dst_sel:DWORD dst_unused:UNUSED_PAD src0_sel:WORD_1
	v_pack_b32_f16 v133, v40, v41
	v_cvt_f32_f16_e32 v40, v138
	v_cvt_f32_f16_sdwa v41, v138 dst_sel:DWORD dst_unused:UNUSED_PAD src0_sel:WORD_1
	s_waitcnt lgkmcnt(0)
	v_perm_b32 v139, v147, v146, s98
	v_perm_b32 v138, v145, v144, s98
	v_accvgpr_write_b32 a0, v38
	v_accvgpr_write_b32 a1, v39
	v_accvgpr_write_b32 a2, v40
	v_accvgpr_write_b32 a3, v41
	v_accvgpr_read_b32 v145, a43
	s_nop 0
	v_mfma_f32_16x16x16f16 a[0:3], v[138:139], v[36:37], a[0:3]
	v_accvgpr_read_b32 v139, a42
	ds_read_u16 v138, v152 offset:16896
	ds_read_u16 v144, v139 offset:528
	ds_read_u16 v139, v208 offset:1056
	ds_read_u16 v145, v145 offset:16896
	s_waitcnt lgkmcnt(2)
	v_perm_b32 v138, v144, v138, s98
	s_waitcnt lgkmcnt(0)
	v_perm_b32 v139, v145, v139, s98
	ds_read_u16 v144, v149 offset:288
	ds_read_u16 v145, v207 offset:528
	ds_read_u16 v146, v207 offset:1056
	ds_read_u16 v147, v151 offset:288
	v_accvgpr_read_b32 v38, a0
	v_cvt_f16_f32_e32 v38, v38
	v_accvgpr_read_b32 v39, a1
	v_accvgpr_read_b32 v40, a2
	v_accvgpr_read_b32 v41, a3
	v_cvt_f16_f32_e32 v39, v39
	v_cvt_f16_f32_e32 v40, v40
	v_cvt_f16_f32_e32 v41, v41
	v_cvt_f32_f16_e32 v38, v38
	v_cvt_f32_f16_e32 v39, v39
	v_cvt_f32_f16_e32 v40, v40
	v_cvt_f32_f16_e32 v41, v41
	v_accvgpr_write_b32 a0, v38
	v_accvgpr_write_b32 a1, v39
	v_accvgpr_write_b32 a2, v40
	v_accvgpr_write_b32 a3, v41
	s_nop 1
	v_mfma_f32_16x16x16f16 a[0:3], v[138:139], v[34:35], a[0:3]
	s_nop 7
	s_nop 2
	v_accvgpr_read_b32 v38, a0
	v_accvgpr_read_b32 v39, a1
	v_cvt_f16_f32_e32 v38, v38
	v_cvt_f16_f32_e32 v39, v39
	v_accvgpr_read_b32 v40, a2
	v_accvgpr_read_b32 v41, a3
	v_cvt_f16_f32_e32 v40, v40
	v_cvt_f16_f32_e32 v41, v41
	v_pack_b32_f16 v139, v38, v39
	v_cvt_f32_f16_e32 v38, v143
	v_cvt_f32_f16_sdwa v39, v143 dst_sel:DWORD dst_unused:UNUSED_PAD src0_sel:WORD_1
	v_pack_b32_f16 v138, v40, v41
	v_cvt_f32_f16_e32 v40, v142
	v_cvt_f32_f16_sdwa v41, v142 dst_sel:DWORD dst_unused:UNUSED_PAD src0_sel:WORD_1
	s_waitcnt lgkmcnt(0)
	v_perm_b32 v143, v147, v146, s98
	v_perm_b32 v142, v145, v144, s98
	v_accvgpr_write_b32 a0, v38
	v_accvgpr_write_b32 a1, v39
	v_accvgpr_write_b32 a2, v40
	v_accvgpr_write_b32 a3, v41
	v_accvgpr_read_b32 v145, a45
	s_nop 0
	v_mfma_f32_16x16x16f16 a[0:3], v[142:143], v[36:37], a[0:3]
	v_accvgpr_read_b32 v143, a44
	ds_read_u16 v142, v183 offset:16896
	ds_read_u16 v144, v143 offset:528
	ds_read_u16 v143, v234 offset:1056
	ds_read_u16 v145, v145 offset:16896
	s_waitcnt lgkmcnt(2)
	v_perm_b32 v142, v144, v142, s98
	s_waitcnt lgkmcnt(0)
	v_perm_b32 v143, v145, v143, s98
	ds_read_u16 v144, v149 offset:320
	ds_read_u16 v145, v235 offset:528
	ds_read_u16 v146, v235 offset:1056
	ds_read_u16 v147, v151 offset:320
	v_accvgpr_read_b32 v38, a0
	v_cvt_f16_f32_e32 v38, v38
	v_accvgpr_read_b32 v39, a1
	v_accvgpr_read_b32 v40, a2
	v_accvgpr_read_b32 v41, a3
	v_cvt_f16_f32_e32 v39, v39
	v_cvt_f16_f32_e32 v40, v40
	v_cvt_f16_f32_e32 v41, v41
	v_cvt_f32_f16_e32 v38, v38
	v_cvt_f32_f16_e32 v39, v39
	v_cvt_f32_f16_e32 v40, v40
	v_cvt_f32_f16_e32 v41, v41
	v_accvgpr_write_b32 a0, v38
	v_accvgpr_write_b32 a1, v39
	v_accvgpr_write_b32 a2, v40
	v_accvgpr_write_b32 a3, v41
	s_nop 1
	v_mfma_f32_16x16x16f16 a[0:3], v[142:143], v[34:35], a[0:3]
	s_nop 7
	s_nop 2
	v_accvgpr_read_b32 v38, a0
	v_accvgpr_read_b32 v39, a1
	v_cvt_f16_f32_e32 v38, v38
	v_cvt_f16_f32_e32 v39, v39
	v_accvgpr_read_b32 v40, a2
	v_accvgpr_read_b32 v41, a3
	v_cvt_f16_f32_e32 v40, v40
	v_cvt_f16_f32_e32 v41, v41
	v_pack_b32_f16 v143, v38, v39
	v_cvt_f32_f16_e32 v38, v141
	v_cvt_f32_f16_sdwa v39, v141 dst_sel:DWORD dst_unused:UNUSED_PAD src0_sel:WORD_1
	v_pack_b32_f16 v142, v40, v41
	v_cvt_f32_f16_e32 v40, v140
	v_cvt_f32_f16_sdwa v41, v140 dst_sel:DWORD dst_unused:UNUSED_PAD src0_sel:WORD_1
	s_waitcnt lgkmcnt(0)
	v_perm_b32 v141, v147, v146, s98
	v_perm_b32 v140, v145, v144, s98
	v_accvgpr_write_b32 a0, v38
	v_accvgpr_write_b32 a1, v39
	v_accvgpr_write_b32 a2, v40
	v_accvgpr_write_b32 a3, v41
	v_accvgpr_read_b32 v145, a47
	s_nop 0
	v_mfma_f32_16x16x16f16 a[0:3], v[140:141], v[36:37], a[0:3]
	v_accvgpr_read_b32 v141, a46
	ds_read_u16 v140, v179 offset:16896
	ds_read_u16 v144, v141 offset:528
	ds_read_u16 v141, v236 offset:1056
	ds_read_u16 v145, v145 offset:16896
	s_waitcnt lgkmcnt(2)
	v_perm_b32 v140, v144, v140, s98
	s_waitcnt lgkmcnt(0)
	v_perm_b32 v141, v145, v141, s98
	ds_read_u16 v144, v149 offset:352
	ds_read_u16 v145, v206 offset:528
	ds_read_u16 v146, v206 offset:1056
	ds_read_u16 v147, v151 offset:352
	v_accvgpr_read_b32 v38, a0
	v_cvt_f16_f32_e32 v38, v38
	v_accvgpr_read_b32 v39, a1
	v_accvgpr_read_b32 v40, a2
	v_accvgpr_read_b32 v41, a3
	v_cvt_f16_f32_e32 v39, v39
	v_cvt_f16_f32_e32 v40, v40
	v_cvt_f16_f32_e32 v41, v41
	v_cvt_f32_f16_e32 v38, v38
	v_cvt_f32_f16_e32 v39, v39
	v_cvt_f32_f16_e32 v40, v40
	v_cvt_f32_f16_e32 v41, v41
	v_accvgpr_write_b32 a0, v38
	v_accvgpr_write_b32 a1, v39
	v_accvgpr_write_b32 a2, v40
	v_accvgpr_write_b32 a3, v41
	s_nop 1
	v_mfma_f32_16x16x16f16 a[0:3], v[140:141], v[34:35], a[0:3]
	s_nop 7
	s_nop 2
	v_accvgpr_read_b32 v38, a0
	v_accvgpr_read_b32 v39, a1
	v_cvt_f16_f32_e32 v38, v38
	v_cvt_f16_f32_e32 v39, v39
	v_accvgpr_read_b32 v40, a2
	v_accvgpr_read_b32 v41, a3
	v_cvt_f16_f32_e32 v40, v40
	v_cvt_f16_f32_e32 v41, v41
	v_pack_b32_f16 v141, v38, v39
	v_cvt_f32_f16_e32 v38, v137
	v_cvt_f32_f16_sdwa v39, v137 dst_sel:DWORD dst_unused:UNUSED_PAD src0_sel:WORD_1
	v_pack_b32_f16 v140, v40, v41
	v_cvt_f32_f16_e32 v40, v136
	v_cvt_f32_f16_sdwa v41, v136 dst_sel:DWORD dst_unused:UNUSED_PAD src0_sel:WORD_1
	s_waitcnt lgkmcnt(0)
	v_perm_b32 v137, v147, v146, s98
	v_perm_b32 v136, v145, v144, s98
	v_accvgpr_write_b32 a0, v38
	v_accvgpr_write_b32 a1, v39
	;; [unrolled: 1-line block ×4, first 2 shown]
	s_nop 1
	v_mfma_f32_16x16x16f16 a[0:3], v[136:137], v[36:37], a[0:3]
	v_accvgpr_read_b32 v137, a48
	ds_read_u16 v136, v182 offset:16896
	ds_read_u16 v144, v137 offset:528
	;; [unrolled: 1-line block ×4, first 2 shown]
	s_waitcnt lgkmcnt(2)
	v_perm_b32 v136, v144, v136, s98
	s_waitcnt lgkmcnt(0)
	v_perm_b32 v137, v145, v137, s98
	ds_read_u16 v144, v149 offset:384
	ds_read_u16 v146, v204 offset:528
	;; [unrolled: 1-line block ×4, first 2 shown]
	v_accvgpr_read_b32 v38, a0
	v_cvt_f16_f32_e32 v38, v38
	v_accvgpr_read_b32 v39, a1
	v_accvgpr_read_b32 v40, a2
	;; [unrolled: 1-line block ×3, first 2 shown]
	v_cvt_f16_f32_e32 v39, v39
	v_cvt_f16_f32_e32 v40, v40
	v_cvt_f16_f32_e32 v41, v41
	v_cvt_f32_f16_e32 v38, v38
	v_cvt_f32_f16_e32 v39, v39
	;; [unrolled: 1-line block ×4, first 2 shown]
	v_accvgpr_write_b32 a0, v38
	v_accvgpr_write_b32 a1, v39
	;; [unrolled: 1-line block ×4, first 2 shown]
	s_waitcnt lgkmcnt(0)
	v_perm_b32 v145, v147, v145, s98
	v_perm_b32 v144, v146, v144, s98
	v_mfma_f32_16x16x16f16 a[0:3], v[136:137], v[34:35], a[0:3]
	s_nop 7
	s_nop 2
	v_accvgpr_read_b32 v38, a0
	v_accvgpr_read_b32 v39, a1
	v_cvt_f16_f32_e32 v38, v38
	v_cvt_f16_f32_e32 v39, v39
	v_accvgpr_read_b32 v40, a2
	v_accvgpr_read_b32 v41, a3
	v_cvt_f16_f32_e32 v40, v40
	v_cvt_f16_f32_e32 v41, v41
	v_pack_b32_f16 v137, v38, v39
	v_cvt_f32_f16_e32 v38, v135
	v_cvt_f32_f16_sdwa v39, v135 dst_sel:DWORD dst_unused:UNUSED_PAD src0_sel:WORD_1
	v_pack_b32_f16 v136, v40, v41
	v_cvt_f32_f16_e32 v40, v121
	v_cvt_f32_f16_sdwa v41, v121 dst_sel:DWORD dst_unused:UNUSED_PAD src0_sel:WORD_1
	v_accvgpr_write_b32 a0, v38
	v_accvgpr_write_b32 a1, v39
	;; [unrolled: 1-line block ×4, first 2 shown]
	s_nop 1
	v_mfma_f32_16x16x16f16 a[0:3], v[144:145], v[36:37], a[0:3]
	ds_read_u16 v121, v185 offset:16896
	ds_read_u16 v135, v178 offset:528
	;; [unrolled: 1-line block ×4, first 2 shown]
	s_waitcnt lgkmcnt(0)
	v_perm_b32 v145, v145, v144, s98
	v_perm_b32 v144, v135, v121, s98
	s_nop 3
	v_accvgpr_read_b32 v38, a0
	v_cvt_f16_f32_e32 v38, v38
	v_accvgpr_read_b32 v39, a1
	v_accvgpr_read_b32 v40, a2
	;; [unrolled: 1-line block ×3, first 2 shown]
	v_cvt_f16_f32_e32 v39, v39
	v_cvt_f16_f32_e32 v40, v40
	;; [unrolled: 1-line block ×3, first 2 shown]
	v_cvt_f32_f16_e32 v38, v38
	v_cvt_f32_f16_e32 v39, v39
	;; [unrolled: 1-line block ×4, first 2 shown]
	v_accvgpr_write_b32 a0, v38
	v_accvgpr_write_b32 a1, v39
	;; [unrolled: 1-line block ×4, first 2 shown]
	s_nop 1
	v_mfma_f32_16x16x16f16 a[0:3], v[144:145], v[34:35], a[0:3]
	ds_read_u16 v144, v149 offset:416
	ds_read_u16 v146, v223 offset:528
	;; [unrolled: 1-line block ×4, first 2 shown]
	s_waitcnt lgkmcnt(2)
	v_perm_b32 v144, v146, v144, s98
	s_waitcnt lgkmcnt(0)
	v_perm_b32 v145, v147, v145, s98
	s_nop 2
	v_accvgpr_read_b32 v38, a0
	v_accvgpr_read_b32 v39, a1
	v_cvt_f16_f32_e32 v38, v38
	v_cvt_f16_f32_e32 v39, v39
	v_accvgpr_read_b32 v40, a2
	v_accvgpr_read_b32 v41, a3
	v_cvt_f16_f32_e32 v40, v40
	v_cvt_f16_f32_e32 v41, v41
	v_pack_b32_f16 v135, v38, v39
	v_cvt_f32_f16_e32 v38, v132
	v_cvt_f32_f16_sdwa v39, v132 dst_sel:DWORD dst_unused:UNUSED_PAD src0_sel:WORD_1
	v_pack_b32_f16 v121, v40, v41
	v_cvt_f32_f16_e32 v40, v115
	v_cvt_f32_f16_sdwa v41, v115 dst_sel:DWORD dst_unused:UNUSED_PAD src0_sel:WORD_1
	v_accvgpr_write_b32 a0, v38
	v_accvgpr_write_b32 a1, v39
	;; [unrolled: 1-line block ×4, first 2 shown]
	s_nop 1
	v_mfma_f32_16x16x16f16 a[0:3], v[144:145], v[36:37], a[0:3]
	ds_read_u16 v115, v189 offset:16896
	ds_read_u16 v132, v188 offset:528
	;; [unrolled: 1-line block ×4, first 2 shown]
	s_waitcnt lgkmcnt(0)
	v_perm_b32 v145, v145, v144, s98
	v_perm_b32 v144, v132, v115, s98
	s_nop 3
	v_accvgpr_read_b32 v38, a0
	v_cvt_f16_f32_e32 v38, v38
	v_accvgpr_read_b32 v39, a1
	v_accvgpr_read_b32 v40, a2
	;; [unrolled: 1-line block ×3, first 2 shown]
	v_cvt_f16_f32_e32 v39, v39
	v_cvt_f16_f32_e32 v40, v40
	;; [unrolled: 1-line block ×3, first 2 shown]
	v_cvt_f32_f16_e32 v38, v38
	v_cvt_f32_f16_e32 v39, v39
	;; [unrolled: 1-line block ×4, first 2 shown]
	v_accvgpr_write_b32 a0, v38
	v_accvgpr_write_b32 a1, v39
	;; [unrolled: 1-line block ×4, first 2 shown]
	s_nop 1
	v_mfma_f32_16x16x16f16 a[0:3], v[144:145], v[34:35], a[0:3]
	ds_read_u16 v144, v149 offset:448
	ds_read_u16 v145, v215 offset:528
	ds_read_u16 v146, v215 offset:1056
	ds_read_u16 v147, v151 offset:448
	s_nop 6
	v_accvgpr_read_b32 v38, a0
	v_accvgpr_read_b32 v39, a1
	v_cvt_f16_f32_e32 v38, v38
	v_cvt_f16_f32_e32 v39, v39
	v_accvgpr_read_b32 v40, a2
	v_accvgpr_read_b32 v41, a3
	v_cvt_f16_f32_e32 v40, v40
	v_cvt_f16_f32_e32 v41, v41
	v_pack_b32_f16 v132, v38, v39
	v_cvt_f32_f16_e32 v38, v131
	v_cvt_f32_f16_sdwa v39, v131 dst_sel:DWORD dst_unused:UNUSED_PAD src0_sel:WORD_1
	v_pack_b32_f16 v115, v40, v41
	v_cvt_f32_f16_e32 v40, v130
	v_cvt_f32_f16_sdwa v41, v130 dst_sel:DWORD dst_unused:UNUSED_PAD src0_sel:WORD_1
	s_waitcnt lgkmcnt(0)
	v_perm_b32 v131, v147, v146, s98
	v_perm_b32 v130, v145, v144, s98
	v_accvgpr_write_b32 a0, v38
	v_accvgpr_write_b32 a1, v39
	v_accvgpr_write_b32 a2, v40
	v_accvgpr_write_b32 a3, v41
	s_nop 1
	v_mfma_f32_16x16x16f16 a[0:3], v[130:131], v[36:37], a[0:3]
	ds_read_u16 v130, v192 offset:16896
	ds_read_u16 v144, v161 offset:528
	;; [unrolled: 1-line block ×4, first 2 shown]
	s_waitcnt lgkmcnt(2)
	v_perm_b32 v130, v144, v130, s98
	s_waitcnt lgkmcnt(0)
	v_perm_b32 v131, v145, v131, s98
	ds_read_u16 v144, v149 offset:480
	ds_read_u16 v145, v230 offset:528
	;; [unrolled: 1-line block ×4, first 2 shown]
	v_accvgpr_read_b32 v38, a0
	v_cvt_f16_f32_e32 v38, v38
	v_accvgpr_read_b32 v39, a1
	v_accvgpr_read_b32 v40, a2
	;; [unrolled: 1-line block ×3, first 2 shown]
	v_cvt_f16_f32_e32 v39, v39
	v_cvt_f16_f32_e32 v40, v40
	;; [unrolled: 1-line block ×3, first 2 shown]
	v_cvt_f32_f16_e32 v38, v38
	v_cvt_f32_f16_e32 v39, v39
	;; [unrolled: 1-line block ×4, first 2 shown]
	v_accvgpr_write_b32 a0, v38
	v_accvgpr_write_b32 a1, v39
	;; [unrolled: 1-line block ×4, first 2 shown]
	s_nop 1
	v_mfma_f32_16x16x16f16 a[0:3], v[130:131], v[34:35], a[0:3]
	s_nop 7
	s_nop 2
	v_accvgpr_read_b32 v38, a0
	v_accvgpr_read_b32 v39, a1
	v_cvt_f16_f32_e32 v38, v38
	v_cvt_f16_f32_e32 v39, v39
	v_accvgpr_read_b32 v40, a2
	v_accvgpr_read_b32 v41, a3
	v_cvt_f16_f32_e32 v40, v40
	v_cvt_f16_f32_e32 v41, v41
	v_pack_b32_f16 v131, v38, v39
	v_cvt_f32_f16_e32 v38, v129
	v_cvt_f32_f16_sdwa v39, v129 dst_sel:DWORD dst_unused:UNUSED_PAD src0_sel:WORD_1
	v_pack_b32_f16 v130, v40, v41
	v_cvt_f32_f16_e32 v40, v128
	v_cvt_f32_f16_sdwa v41, v128 dst_sel:DWORD dst_unused:UNUSED_PAD src0_sel:WORD_1
	s_waitcnt lgkmcnt(0)
	v_perm_b32 v129, v147, v146, s98
	v_perm_b32 v128, v145, v144, s98
	v_accvgpr_write_b32 a0, v38
	v_accvgpr_write_b32 a1, v39
	;; [unrolled: 1-line block ×4, first 2 shown]
	s_nop 1
	v_mfma_f32_16x16x16f16 a[0:3], v[128:129], v[36:37], a[0:3]
	ds_read_u16 v40, v194 offset:16896
	ds_read_u16 v128, v196 offset:528
	;; [unrolled: 1-line block ×4, first 2 shown]
	s_waitcnt lgkmcnt(0)
	s_barrier
	v_perm_b32 v40, v128, v40, s98
	v_perm_b32 v41, v129, v41, s98
	s_nop 2
	v_accvgpr_read_b32 v36, a0
	v_cvt_f16_f32_e32 v36, v36
	v_accvgpr_read_b32 v37, a1
	v_accvgpr_read_b32 v38, a2
	;; [unrolled: 1-line block ×3, first 2 shown]
	v_cvt_f16_f32_e32 v37, v37
	v_cvt_f16_f32_e32 v38, v38
	;; [unrolled: 1-line block ×3, first 2 shown]
	v_cvt_f32_f16_e32 v36, v36
	v_cvt_f32_f16_e32 v37, v37
	;; [unrolled: 1-line block ×4, first 2 shown]
	v_accvgpr_write_b32 a0, v36
	v_accvgpr_write_b32 a1, v37
	;; [unrolled: 1-line block ×4, first 2 shown]
	s_nop 1
	v_mfma_f32_16x16x16f16 a[0:3], v[40:41], v[34:35], a[0:3]
	s_nop 7
	s_nop 2
	v_accvgpr_read_b32 v34, a0
	v_accvgpr_read_b32 v35, a1
	;; [unrolled: 1-line block ×4, first 2 shown]
	v_cvt_f16_f32_e32 v34, v34
	v_cvt_f16_f32_e32 v35, v35
	;; [unrolled: 1-line block ×4, first 2 shown]
	v_pack_b32_f16 v128, v34, v35
	v_pack_b32_f16 v153, v36, v37
	s_cbranch_scc0 .LBB29_69
; %bb.66:                               ;   in Loop: Header=BB29_57 Depth=2
	v_mov_b32_e32 v129, v116
	v_mov_b32_e32 v144, v85
	s_branch .LBB29_57
.LBB29_67:                              ;   in Loop: Header=BB29_14 Depth=1
	s_cbranch_execnz .LBB29_173
	s_branch .LBB29_319
.LBB29_68:                              ;   in Loop: Header=BB29_14 Depth=1
	v_mov_b32_e32 v116, 0
	v_mov_b32_e32 v85, 0xfeffffff
	;; [unrolled: 1-line block ×33, first 2 shown]
	s_branch .LBB29_70
.LBB29_69:                              ;   in Loop: Header=BB29_14 Depth=1
	v_accvgpr_read_b32 v100, a22
	v_accvgpr_read_b32 v101, a49
	;; [unrolled: 1-line block ×12, first 2 shown]
.LBB29_70:                              ;   in Loop: Header=BB29_14 Depth=1
	v_readlane_b32 s48, v254, 23
	s_lshl_b32 s94, s58, 6
	v_readlane_b32 s48, v254, 4
	v_cmp_eq_u64_e32 vcc, 0, v[86:87]
	s_mov_b64 s[74:75], s[64:65]
	s_sub_i32 s80, s48, s94
	v_cmp_ne_u64_e64 s[64:65], 0, v[86:87]
	s_ashr_i32 s95, s94, 31
	v_readlane_b32 s49, v254, 5
	s_cbranch_vccnz .LBB29_80
; %bb.71:                               ;   in Loop: Header=BB29_14 Depth=1
	v_cmp_le_i32_e32 vcc, s80, v100
                                        ; implicit-def: $sgpr52
	s_and_saveexec_b64 s[48:49], vcc
	s_xor_b64 s[48:49], exec, s[48:49]
	s_cbranch_execz .LBB29_73
; %bb.72:                               ;   in Loop: Header=BB29_14 Depth=1
	v_accvgpr_read_b32 v1, a69
	ds_write_b16 v1, v203 offset:33792
	v_accvgpr_read_b32 v1, a161
	ds_write_b16 v1, v203 offset:33792
	s_mov_b32 s52, 0
                                        ; implicit-def: $vgpr1
                                        ; implicit-def: $vgpr43
                                        ; implicit-def: $vgpr49
                                        ; implicit-def: $vgpr83
.LBB29_73:                              ;   in Loop: Header=BB29_14 Depth=1
	s_or_saveexec_b64 s[50:51], s[48:49]
	s_lshl_b64 s[48:49], s[94:95], 1
	v_mov_b32_e32 v34, s49
	v_add_co_u32_e64 v35, s[48:49], s48, v86
	v_addc_co_u32_e64 v36, s[48:49], v87, v34, s[48:49]
	v_lshlrev_b32_e32 v34, 1, v100
	v_add_co_u32_e64 v34, s[48:49], v35, v34
	v_addc_co_u32_e64 v35, s[48:49], 0, v36, s[48:49]
	v_mov_b32_e32 v36, s52
	v_mov_b32_e32 v37, s52
	s_xor_b64 exec, exec, s[50:51]
	s_cbranch_execz .LBB29_75
; %bb.74:                               ;   in Loop: Header=BB29_14 Depth=1
	v_readlane_b32 s52, v254, 14
	v_mul_hi_u32 v36, s52, v1
	v_readlane_b32 s53, v254, 15
	v_add_u32_e32 v36, v1, v36
	v_lshrrev_b32_e32 v36, s53, v36
	v_mul_lo_u32 v36, v36, s76
	v_sub_u32_e32 v1, v1, v36
	v_readlane_b32 s54, v255, 20
	v_mad_i64_i32 v[36:37], s[48:49], v1, s54, 0
	v_lshlrev_b64 v[36:37], 1, v[36:37]
	v_add_co_u32_e64 v36, s[48:49], v34, v36
	v_addc_co_u32_e64 v37, s[48:49], v35, v37, s[48:49]
	flat_load_ushort v1, v[36:37]
	v_mul_hi_u32 v36, s52, v43
	v_add_u32_e32 v36, v43, v36
	v_lshrrev_b32_e32 v36, s53, v36
	v_mul_lo_u32 v36, v36, s76
	v_sub_u32_e32 v36, v43, v36
	v_mad_i64_i32 v[36:37], s[48:49], v36, s54, 0
	v_lshlrev_b64 v[36:37], 1, v[36:37]
	v_add_co_u32_e64 v36, s[48:49], v34, v36
	v_addc_co_u32_e64 v37, s[48:49], v35, v37, s[48:49]
	flat_load_ushort v36, v[36:37]
	v_accvgpr_read_b32 v37, a69
	v_readlane_b32 s55, v255, 21
	s_waitcnt vmcnt(0) lgkmcnt(0)
	ds_write_b16 v37, v1 offset:33792
	v_accvgpr_read_b32 v1, a161
	ds_write_b16 v1, v36 offset:33792
	v_mul_hi_u32 v1, s52, v49
	v_add_u32_e32 v1, v49, v1
	v_lshrrev_b32_e32 v1, s53, v1
	v_mul_lo_u32 v1, v1, s76
	v_sub_u32_e32 v1, v49, v1
	v_mad_i64_i32 v[36:37], s[48:49], v1, s54, 0
	v_mul_hi_u32 v1, s52, v83
	v_add_u32_e32 v1, v83, v1
	v_lshrrev_b32_e32 v1, s53, v1
	v_lshlrev_b64 v[36:37], 1, v[36:37]
	v_mul_lo_u32 v1, v1, s76
	v_add_co_u32_e64 v36, s[48:49], v34, v36
	v_sub_u32_e32 v1, v83, v1
	v_addc_co_u32_e64 v37, s[48:49], v35, v37, s[48:49]
	v_mad_i64_i32 v[38:39], s[48:49], v1, s54, 0
	v_lshlrev_b64 v[38:39], 1, v[38:39]
	v_add_co_u32_e64 v38, s[48:49], v34, v38
	v_addc_co_u32_e64 v39, s[48:49], v35, v39, s[48:49]
	flat_load_ushort v36, v[36:37]
	s_nop 0
	flat_load_ushort v37, v[38:39]
.LBB29_75:                              ;   in Loop: Header=BB29_14 Depth=1
	s_or_b64 exec, exec, s[50:51]
	v_accvgpr_read_b32 v1, a162
	s_waitcnt vmcnt(0) lgkmcnt(0)
	ds_write_b16 v1, v36 offset:33792
	v_accvgpr_read_b32 v1, a163
	ds_write_b16 v1, v37 offset:33792
                                        ; implicit-def: $sgpr50
	s_and_saveexec_b64 s[48:49], vcc
	s_xor_b64 s[48:49], exec, s[48:49]
	s_cbranch_execz .LBB29_77
; %bb.76:                               ;   in Loop: Header=BB29_14 Depth=1
	v_accvgpr_read_b32 v1, a164
	ds_write_b16 v1, v203 offset:33792
	v_accvgpr_read_b32 v1, a165
	ds_write_b16 v1, v203 offset:33792
	s_mov_b32 s50, 0
                                        ; implicit-def: $vgpr45
                                        ; implicit-def: $vgpr34
                                        ; implicit-def: $vgpr35
                                        ; implicit-def: $vgpr112
                                        ; implicit-def: $vgpr113
                                        ; implicit-def: $vgpr114
.LBB29_77:                              ;   in Loop: Header=BB29_14 Depth=1
	s_or_saveexec_b64 s[48:49], s[48:49]
	v_mov_b32_e32 v1, s50
	v_mov_b32_e32 v36, s50
	s_xor_b64 exec, exec, s[48:49]
	s_cbranch_execz .LBB29_79
; %bb.78:                               ;   in Loop: Header=BB29_14 Depth=1
	v_readlane_b32 s52, v254, 14
	v_mul_hi_u32 v1, s52, v45
	v_readlane_b32 s53, v254, 15
	v_add_u32_e32 v1, v45, v1
	v_lshrrev_b32_e32 v1, s53, v1
	v_mul_lo_u32 v1, v1, s76
	v_sub_u32_e32 v1, v45, v1
	v_readlane_b32 s54, v255, 20
	v_mad_i64_i32 v[36:37], s[50:51], v1, s54, 0
	v_lshlrev_b64 v[36:37], 1, v[36:37]
	v_add_co_u32_e32 v36, vcc, v34, v36
	v_addc_co_u32_e32 v37, vcc, v35, v37, vcc
	flat_load_ushort v1, v[36:37]
	v_mul_hi_u32 v36, s52, v112
	v_add_u32_e32 v36, v112, v36
	v_lshrrev_b32_e32 v36, s53, v36
	v_mul_lo_u32 v36, v36, s76
	v_sub_u32_e32 v36, v112, v36
	v_mad_i64_i32 v[36:37], s[50:51], v36, s54, 0
	v_lshlrev_b64 v[36:37], 1, v[36:37]
	v_add_co_u32_e32 v36, vcc, v34, v36
	v_addc_co_u32_e32 v37, vcc, v35, v37, vcc
	flat_load_ushort v36, v[36:37]
	v_accvgpr_read_b32 v37, a164
	v_readlane_b32 s55, v255, 21
	s_waitcnt vmcnt(0) lgkmcnt(0)
	ds_write_b16 v37, v1 offset:33792
	v_accvgpr_read_b32 v1, a165
	ds_write_b16 v1, v36 offset:33792
	v_mul_hi_u32 v1, s52, v113
	v_add_u32_e32 v1, v113, v1
	v_lshrrev_b32_e32 v1, s53, v1
	v_mul_lo_u32 v1, v1, s76
	v_sub_u32_e32 v1, v113, v1
	v_mad_i64_i32 v[36:37], s[50:51], v1, s54, 0
	v_lshlrev_b64 v[36:37], 1, v[36:37]
	v_add_co_u32_e32 v36, vcc, v34, v36
	v_addc_co_u32_e32 v37, vcc, v35, v37, vcc
	flat_load_ushort v1, v[36:37]
	v_mul_hi_u32 v36, s52, v114
	v_add_u32_e32 v36, v114, v36
	v_lshrrev_b32_e32 v36, s53, v36
	v_mul_lo_u32 v36, v36, s76
	v_sub_u32_e32 v36, v114, v36
	v_mad_i64_i32 v[36:37], s[50:51], v36, s54, 0
	v_lshlrev_b64 v[36:37], 1, v[36:37]
	v_add_co_u32_e32 v34, vcc, v34, v36
	v_addc_co_u32_e32 v35, vcc, v35, v37, vcc
	flat_load_ushort v36, v[34:35]
.LBB29_79:                              ;   in Loop: Header=BB29_14 Depth=1
	s_or_b64 exec, exec, s[48:49]
	v_accvgpr_read_b32 v34, a166
	s_waitcnt vmcnt(0) lgkmcnt(0)
	ds_write_b16 v34, v1 offset:33792
	v_accvgpr_read_b32 v1, a167
	ds_write_b16 v1, v36 offset:33792
.LBB29_80:                              ;   in Loop: Header=BB29_14 Depth=1
	s_mul_hi_i32 s49, s94, s46
	s_mul_i32 s48, s94, s46
	s_lshl_b64 s[48:49], s[48:49], 2
	s_add_u32 s62, s92, s48
	s_addc_u32 s63, s93, s49
	v_mov_b32_e32 v1, s63
	v_add_co_u32_e32 v34, vcc, s62, v66
	v_addc_co_u32_e32 v1, vcc, v1, v67, vcc
	v_lshlrev_b32_e32 v91, 2, v202
	v_add_co_u32_e32 v34, vcc, v34, v91
	v_addc_co_u32_e32 v1, vcc, 0, v1, vcc
	v_mov_b32_e32 v40, s5
	v_cmp_gt_i32_e64 s[48:49], s80, v197
	v_cndmask_b32_e64 v35, v40, v1, s[48:49]
	v_mov_b32_e32 v1, s4
	buffer_store_dword v203, off, s[0:3], 0
	buffer_store_dword v203, off, s[0:3], 0 offset:4
	buffer_store_dword v203, off, s[0:3], 0 offset:8
	;; [unrolled: 1-line block ×3, first 2 shown]
	v_cndmask_b32_e64 v34, v1, v34, s[48:49]
	flat_load_dwordx4 v[34:37], v[34:35]
	v_mov_b32_e32 v38, s63
	v_add_co_u32_e32 v39, vcc, s62, v68
	v_addc_co_u32_e32 v38, vcc, v38, v69, vcc
	v_add_co_u32_e32 v41, vcc, v39, v91
	v_addc_co_u32_e32 v38, vcc, 0, v38, vcc
	v_cmp_gt_i32_e64 s[50:51], s80, v120
	v_cndmask_b32_e64 v39, v40, v38, s[50:51]
	v_cndmask_b32_e64 v38, v1, v41, s[50:51]
	v_cmp_gt_i32_e64 s[52:53], s80, v122
	v_cmp_gt_i32_e64 s[54:55], s80, v129
	s_mov_b32 s95, s59
	s_waitcnt vmcnt(0) lgkmcnt(0)
	ds_write_b128 v148, v[34:37]
	flat_load_dwordx4 v[34:37], v[38:39]
	v_mov_b32_e32 v38, s63
	v_add_co_u32_e32 v39, vcc, s62, v70
	v_addc_co_u32_e32 v38, vcc, v38, v71, vcc
	v_add_co_u32_e32 v41, vcc, v39, v91
	v_addc_co_u32_e32 v38, vcc, 0, v38, vcc
	v_cndmask_b32_e64 v39, v40, v38, s[52:53]
	v_cndmask_b32_e64 v38, v1, v41, s[52:53]
	s_waitcnt vmcnt(0) lgkmcnt(0)
	ds_write_b128 v117, v[34:37]
	flat_load_dwordx4 v[34:37], v[38:39]
	v_mov_b32_e32 v38, s63
	v_add_co_u32_e32 v39, vcc, s62, v72
	v_addc_co_u32_e32 v38, vcc, v38, v73, vcc
	v_add_co_u32_e32 v41, vcc, v39, v91
	v_addc_co_u32_e32 v38, vcc, 0, v38, vcc
	v_cndmask_b32_e64 v39, v40, v38, s[54:55]
	v_cndmask_b32_e64 v38, v1, v41, s[54:55]
	s_waitcnt vmcnt(0) lgkmcnt(0)
	ds_write_b128 v0, v[34:37]
	flat_load_dwordx4 v[34:37], v[38:39]
	v_mov_b32_e32 v38, s63
	v_add_co_u32_e32 v39, vcc, s62, v74
	v_addc_co_u32_e32 v38, vcc, v38, v75, vcc
	v_add_co_u32_e32 v41, vcc, v39, v91
	v_accvgpr_read_b32 v39, a171
	v_addc_co_u32_e32 v38, vcc, 0, v38, vcc
	v_cmp_gt_i32_e64 s[56:57], s80, v39
	v_cndmask_b32_e64 v39, v40, v38, s[56:57]
	v_cndmask_b32_e64 v38, v1, v41, s[56:57]
	s_waitcnt vmcnt(0) lgkmcnt(0)
	ds_write_b128 v47, v[34:37]
	flat_load_dwordx4 v[34:37], v[38:39]
	v_mov_b32_e32 v38, s63
	v_add_co_u32_e32 v39, vcc, s62, v76
	v_addc_co_u32_e32 v38, vcc, v38, v77, vcc
	v_add_co_u32_e32 v41, vcc, v39, v91
	v_accvgpr_read_b32 v39, a172
	v_addc_co_u32_e32 v38, vcc, 0, v38, vcc
	v_cmp_gt_i32_e64 s[58:59], s80, v39
	;; [unrolled: 12-line block ×4, first 2 shown]
	v_cndmask_b32_e64 v39, v40, v38, s[62:63]
	v_cndmask_b32_e64 v38, v1, v41, s[62:63]
	v_add_u32_e32 v1, 0x4000, v198
	s_andn2_b64 vcc, exec, s[64:65]
	s_waitcnt vmcnt(0) lgkmcnt(0)
	ds_write_b128 v246, v[34:37]
	flat_load_dwordx4 v[34:37], v[38:39]
	s_waitcnt vmcnt(0) lgkmcnt(0)
	ds_write_b128 v248, v[34:37]
	s_waitcnt lgkmcnt(0)
	s_barrier
	ds_read2_b64 v[34:37], v198 offset1:4
	ds_read2_b64 v[38:41], v1 offset0:64 offset1:68
	s_waitcnt lgkmcnt(1)
	v_mfma_f32_16x16x16f16 a[0:3], v[34:35], v[30:31], 0
	s_waitcnt lgkmcnt(0)
	v_mfma_f32_16x16x16f16 a[4:7], v[38:39], v[30:31], 0
	v_mfma_f32_16x16x16f16 a[0:3], v[36:37], v[32:33], a[0:3]
	ds_read2_b64 v[34:37], v1 offset0:72 offset1:76
	v_mfma_f32_16x16x16f16 a[4:7], v[40:41], v[32:33], a[4:7]
	ds_read2_b64 v[30:33], v198 offset0:8 offset1:12
	s_waitcnt lgkmcnt(0)
	v_mfma_f32_16x16x16f16 a[0:3], v[30:31], v[26:27], a[0:3]
	v_mfma_f32_16x16x16f16 a[4:7], v[34:35], v[26:27], a[4:7]
	v_mfma_f32_16x16x16f16 a[0:3], v[32:33], v[28:29], a[0:3]
	ds_read2_b64 v[30:33], v1 offset0:80 offset1:84
	v_mfma_f32_16x16x16f16 a[4:7], v[36:37], v[28:29], a[4:7]
	ds_read2_b64 v[26:29], v198 offset0:16 offset1:20
	s_waitcnt lgkmcnt(0)
	v_mfma_f32_16x16x16f16 a[0:3], v[26:27], v[22:23], a[0:3]
	;; [unrolled: 7-line block ×6, first 2 shown]
	v_mfma_f32_16x16x16f16 a[4:7], v[14:15], v[6:7], a[4:7]
	v_mfma_f32_16x16x16f16 a[0:3], v[12:13], v[8:9], a[0:3]
	ds_read2_b64 v[10:13], v1 offset0:120 offset1:124
	v_mfma_f32_16x16x16f16 a[4:7], v[16:17], v[8:9], a[4:7]
	ds_read2_b64 v[6:9], v198 offset0:56 offset1:60
	s_waitcnt lgkmcnt(0)
	s_barrier
	v_mfma_f32_16x16x16f16 a[0:3], v[6:7], v[2:3], a[0:3]
	v_mfma_f32_16x16x16f16 a[4:7], v[10:11], v[2:3], a[4:7]
	;; [unrolled: 1-line block ×4, first 2 shown]
	s_cbranch_vccnz .LBB29_82
; %bb.81:                               ;   in Loop: Header=BB29_14 Depth=1
	v_accvgpr_read_b32 v1, a70
	v_add_u32_e32 v1, 0x8400, v1
	ds_read2_b32 v[10:11], v1 offset1:1
	v_accvgpr_read_b32 v1, a72
	ds_read_b32 v1, v1 offset:33792
	s_nop 3
	v_accvgpr_read_b32 v9, a3
	v_accvgpr_read_b32 v7, a1
	s_waitcnt lgkmcnt(1)
	v_cvt_f32_f16_e32 v12, v10
	v_cvt_f32_f16_sdwa v13, v10 dst_sel:DWORD dst_unused:UNUSED_PAD src0_sel:WORD_1
	v_accvgpr_read_b32 v6, a0
	v_accvgpr_read_b32 v8, a2
	v_cvt_f32_f16_e32 v10, v11
	v_pk_fma_f32 v[6:7], v[84:85], v[12:13], v[6:7] op_sel_hi:[0,1,1]
	v_accvgpr_write_b32 a0, v6
	v_accvgpr_write_b32 a1, v7
	s_waitcnt lgkmcnt(0)
	v_cvt_f32_f16_sdwa v7, v1 dst_sel:DWORD dst_unused:UNUSED_PAD src0_sel:WORD_1
	v_cvt_f32_f16_e32 v6, v1
	v_accvgpr_read_b32 v1, a74
	v_cvt_f32_f16_sdwa v11, v11 dst_sel:DWORD dst_unused:UNUSED_PAD src0_sel:WORD_1
	ds_read_b32 v1, v1 offset:33792
	v_accvgpr_read_b32 v2, a4
	v_accvgpr_read_b32 v3, a5
	v_pk_fma_f32 v[8:9], v[84:85], v[10:11], v[8:9] op_sel_hi:[0,1,1]
	v_accvgpr_write_b32 a2, v8
	v_accvgpr_write_b32 a3, v9
	s_waitcnt lgkmcnt(0)
	v_cvt_f32_f16_sdwa v9, v1 dst_sel:DWORD dst_unused:UNUSED_PAD src0_sel:WORD_1
	v_cvt_f32_f16_e32 v8, v1
	v_accvgpr_read_b32 v4, a6
	v_accvgpr_read_b32 v5, a7
	v_pk_fma_f32 v[2:3], v[84:85], v[6:7], v[2:3] op_sel_hi:[0,1,1]
	v_pk_fma_f32 v[4:5], v[84:85], v[8:9], v[4:5] op_sel_hi:[0,1,1]
	v_accvgpr_write_b32 a4, v2
	v_accvgpr_write_b32 a5, v3
	;; [unrolled: 1-line block ×4, first 2 shown]
.LBB29_82:                              ;   in Loop: Header=BB29_14 Depth=1
	s_nop 7
	s_nop 0
	v_accvgpr_read_b32 v7, a3
	v_accvgpr_read_b32 v4, a0
	v_add_f32_e32 v1, 0x40051340, v4
	v_max_f32_e32 v2, v85, v85
	v_cmp_gt_u32_e64 s[76:77], s80, v101
	v_max_f32_e32 v1, v2, v1
	v_accvgpr_read_b32 v5, a1
	v_cndmask_b32_e64 v1, v85, v1, s[76:77]
	v_accvgpr_read_b32 v2, a175
	v_cmp_gt_u32_e64 s[78:79], s80, v2
	v_add_f32_e32 v2, 0x40051340, v5
	v_max_f32_e32 v3, v1, v1
	v_max_f32_e32 v2, v3, v2
	v_accvgpr_read_b32 v6, a2
	v_cndmask_b32_e64 v1, v1, v2, s[78:79]
	v_accvgpr_read_b32 v2, a176
	v_cmp_gt_u32_e64 s[72:73], s80, v2
	v_add_f32_e32 v2, 0x40051340, v6
	v_max_f32_e32 v3, v1, v1
	v_max_f32_e32 v2, v3, v2
	v_cndmask_b32_e64 v1, v1, v2, s[72:73]
	v_accvgpr_read_b32 v2, a177
	v_cmp_gt_u32_e64 s[70:71], s80, v2
	v_add_f32_e32 v2, 0x40051340, v7
	v_max_f32_e32 v3, v1, v1
	v_accvgpr_read_b32 v11, a7
	v_max_f32_e32 v2, v3, v2
	v_accvgpr_read_b32 v8, a4
	v_cndmask_b32_e64 v1, v1, v2, s[70:71]
	v_add_f32_e32 v2, 0x40051340, v8
	v_max_f32_e32 v3, v1, v1
	v_cmp_gt_u32_e64 s[68:69], s80, v103
	v_max_f32_e32 v2, v3, v2
	v_accvgpr_read_b32 v9, a5
	v_cndmask_b32_e64 v1, v1, v2, s[68:69]
	v_accvgpr_read_b32 v2, a178
	v_cmp_gt_u32_e64 s[66:67], s80, v2
	v_add_f32_e32 v2, 0x40051340, v9
	v_max_f32_e32 v3, v1, v1
	v_max_f32_e32 v2, v3, v2
	v_accvgpr_read_b32 v10, a6
	v_cndmask_b32_e64 v1, v1, v2, s[66:67]
	v_add_f32_e32 v2, 0x40051340, v10
	v_max_f32_e32 v3, v1, v1
	v_cmp_gt_u32_e64 s[64:65], s80, v104
	v_max_f32_e32 v2, v3, v2
	v_cndmask_b32_e64 v1, v1, v2, s[64:65]
	v_accvgpr_read_b32 v2, a179
	v_cmp_gt_u32_e32 vcc, s80, v2
	v_add_f32_e32 v2, 0x40051340, v11
	v_max_f32_e32 v3, v1, v1
	v_max_f32_e32 v2, v3, v2
	v_cndmask_b32_e32 v1, v1, v2, vcc
	v_and_b32_e32 v2, 64, v123
	v_add_u32_e32 v2, 64, v2
	v_xor_b32_e32 v3, 32, v123
	v_cmp_lt_i32_e64 s[80:81], v3, v2
	v_cndmask_b32_e64 v3, v123, v3, s[80:81]
	v_lshlrev_b32_e32 v3, 2, v3
	ds_bpermute_b32 v12, v3, v1
	v_max_f32_e32 v1, v1, v1
	v_cndmask_b32_e64 v6, v6, v6, s[78:79]
	v_cndmask_b32_e64 v7, v7, v7, s[78:79]
	;; [unrolled: 1-line block ×3, first 2 shown]
	s_waitcnt lgkmcnt(0)
	v_max_f32_e32 v12, v12, v12
	v_max_f32_e32 v1, v1, v12
	v_xor_b32_e32 v12, 16, v123
	v_cmp_lt_i32_e64 s[80:81], v12, v2
	v_cndmask_b32_e64 v2, v123, v12, s[80:81]
	v_lshlrev_b32_e32 v37, 2, v2
	ds_bpermute_b32 v2, v37, v1
	v_cndmask_b32_e64 v10, v10, v10, s[68:69]
	buffer_store_dword v203, off, s[0:3], 0
	buffer_store_dword v203, off, s[0:3], 0 offset:4
	buffer_store_dword v203, off, s[0:3], 0 offset:8
	;; [unrolled: 1-line block ×3, first 2 shown]
	s_waitcnt lgkmcnt(0)
	v_max_f32_e32 v2, v2, v2
	v_max_f32_e32 v2, v1, v2
	v_sub_f32_e32 v1, v4, v2
	v_mul_f32_e32 v4, 0x3fb8aa3b, v1
	v_fma_f32 v12, v1, s91, -v4
	v_rndne_f32_e32 v13, v4
	v_fmac_f32_e32 v12, 0x32a5705f, v1
	v_sub_f32_e32 v4, v4, v13
	v_add_f32_e32 v4, v4, v12
	v_exp_f32_e32 v4, v4
	v_cvt_i32_f32_e32 v12, v13
	v_cmp_ngt_f32_e64 s[80:81], s96, v1
	v_ldexp_f32 v4, v4, v12
	v_cndmask_b32_e64 v4, 0, v4, s[80:81]
	v_cmp_nlt_f32_e64 s[80:81], s45, v1
	v_cndmask_b32_e64 v1, v253, v4, s[80:81]
	v_cndmask_b32_e64 v4, 0, v1, s[76:77]
	v_sub_f32_e32 v1, v5, v2
	v_mul_f32_e32 v5, 0x3fb8aa3b, v1
	v_fma_f32 v12, v1, s91, -v5
	v_rndne_f32_e32 v13, v5
	v_fmac_f32_e32 v12, 0x32a5705f, v1
	v_sub_f32_e32 v5, v5, v13
	v_add_f32_e32 v5, v5, v12
	v_exp_f32_e32 v5, v5
	v_cvt_i32_f32_e32 v12, v13
	v_cmp_ngt_f32_e64 s[76:77], s96, v1
	v_ldexp_f32 v5, v5, v12
	v_cndmask_b32_e64 v5, 0, v5, s[76:77]
	v_cmp_nlt_f32_e64 s[76:77], s45, v1
	v_cndmask_b32_e64 v5, v253, v5, s[76:77]
	v_mov_b32_e32 v1, s43
	v_add_f32_e32 v12, v5, v4
	v_cndmask_b32_e64 v13, v1, v5, s[78:79]
	v_sub_f32_e32 v5, v6, v2
	v_mul_f32_e32 v6, 0x3fb8aa3b, v5
	v_cndmask_b32_e64 v1, v4, v12, s[78:79]
	v_fma_f32 v12, v5, s91, -v6
	v_rndne_f32_e32 v14, v6
	v_fmac_f32_e32 v12, 0x32a5705f, v5
	v_sub_f32_e32 v6, v6, v14
	v_add_f32_e32 v6, v6, v12
	v_exp_f32_e32 v6, v6
	v_cvt_i32_f32_e32 v12, v14
	v_cmp_ngt_f32_e64 s[76:77], s96, v5
	v_cvt_f16_f32_e32 v4, v4
	v_ldexp_f32 v6, v6, v12
	v_cndmask_b32_e64 v6, 0, v6, s[76:77]
	v_cmp_nlt_f32_e64 s[76:77], s45, v5
	v_cndmask_b32_e64 v5, v253, v6, s[76:77]
	v_mov_b32_e32 v6, s43
	v_add_f32_e32 v12, v1, v5
	v_cndmask_b32_e64 v14, v6, v5, s[72:73]
	v_sub_f32_e32 v5, v7, v2
	v_mul_f32_e32 v6, 0x3fb8aa3b, v5
	v_cndmask_b32_e64 v1, v1, v12, s[72:73]
	v_fma_f32 v7, v5, s91, -v6
	v_rndne_f32_e32 v12, v6
	v_fmac_f32_e32 v7, 0x32a5705f, v5
	v_sub_f32_e32 v6, v6, v12
	v_add_f32_e32 v6, v6, v7
	v_exp_f32_e32 v6, v6
	v_cvt_i32_f32_e32 v7, v12
	v_cmp_ngt_f32_e64 s[72:73], s96, v5
	v_ldexp_f32 v6, v6, v7
	v_cndmask_b32_e64 v6, 0, v6, s[72:73]
	v_cmp_nlt_f32_e64 s[72:73], s45, v5
	v_cndmask_b32_e64 v6, v253, v6, s[72:73]
	v_mov_b32_e32 v5, s43
	v_cndmask_b32_e64 v12, v5, v6, s[70:71]
	v_sub_f32_e32 v5, v8, v2
	v_add_f32_e32 v7, v1, v6
	v_mul_f32_e32 v6, 0x3fb8aa3b, v5
	v_cndmask_b32_e64 v1, v1, v7, s[70:71]
	v_fma_f32 v7, v5, s91, -v6
	v_rndne_f32_e32 v8, v6
	v_fmac_f32_e32 v7, 0x32a5705f, v5
	v_sub_f32_e32 v6, v6, v8
	v_add_f32_e32 v6, v6, v7
	v_exp_f32_e32 v6, v6
	v_cvt_i32_f32_e32 v7, v8
	v_cmp_ngt_f32_e64 s[70:71], s96, v5
	v_cndmask_b32_e64 v8, v11, v11, s[68:69]
	v_ldexp_f32 v6, v6, v7
	v_cndmask_b32_e64 v6, 0, v6, s[70:71]
	v_cmp_nlt_f32_e64 s[70:71], s45, v5
	v_cndmask_b32_e64 v5, v253, v6, s[70:71]
	v_add_f32_e32 v7, v5, v1
	v_mov_b32_e32 v6, s43
	v_cndmask_b32_e64 v11, v6, v5, s[68:69]
	v_cndmask_b32_e64 v5, v1, v7, s[68:69]
	v_sub_f32_e32 v1, v9, v2
	v_mul_f32_e32 v6, 0x3fb8aa3b, v1
	v_fma_f32 v7, v1, s91, -v6
	v_rndne_f32_e32 v9, v6
	v_fmac_f32_e32 v7, 0x32a5705f, v1
	v_sub_f32_e32 v6, v6, v9
	v_add_f32_e32 v6, v6, v7
	v_exp_f32_e32 v6, v6
	v_cvt_i32_f32_e32 v7, v9
	v_cmp_ngt_f32_e64 s[68:69], s96, v1
	v_ldexp_f32 v6, v6, v7
	v_cndmask_b32_e64 v6, 0, v6, s[68:69]
	v_cmp_nlt_f32_e64 s[68:69], s45, v1
	v_cndmask_b32_e64 v6, v253, v6, s[68:69]
	v_add_f32_e32 v7, v6, v5
	v_mov_b32_e32 v1, s43
	v_cndmask_b32_e64 v9, v1, v6, s[66:67]
	v_cndmask_b32_e64 v1, v5, v7, s[66:67]
	v_sub_f32_e32 v5, v10, v2
	v_mul_f32_e32 v6, 0x3fb8aa3b, v5
	v_fma_f32 v7, v5, s91, -v6
	v_rndne_f32_e32 v10, v6
	v_fmac_f32_e32 v7, 0x32a5705f, v5
	v_sub_f32_e32 v6, v6, v10
	v_add_f32_e32 v6, v6, v7
	v_exp_f32_e32 v6, v6
	v_cvt_i32_f32_e32 v7, v10
	v_cmp_ngt_f32_e64 s[66:67], s96, v5
	v_ldexp_f32 v6, v6, v7
	v_cndmask_b32_e64 v6, 0, v6, s[66:67]
	v_cmp_nlt_f32_e64 s[66:67], s45, v5
	v_cndmask_b32_e64 v5, v253, v6, s[66:67]
	v_mov_b32_e32 v6, s43
	v_add_f32_e32 v7, v5, v1
	v_cndmask_b32_e64 v10, v6, v5, s[64:65]
	v_sub_f32_e32 v5, v8, v2
	v_mul_f32_e32 v6, 0x3fb8aa3b, v5
	v_cndmask_b32_e64 v1, v1, v7, s[64:65]
	v_fma_f32 v7, v5, s91, -v6
	v_rndne_f32_e32 v8, v6
	v_fmac_f32_e32 v7, 0x32a5705f, v5
	v_sub_f32_e32 v6, v6, v8
	v_add_f32_e32 v6, v6, v7
	v_exp_f32_e32 v6, v6
	v_cvt_i32_f32_e32 v7, v8
	v_cmp_ngt_f32_e64 s[64:65], s96, v5
	v_ldexp_f32 v6, v6, v7
	v_cndmask_b32_e64 v6, 0, v6, s[64:65]
	v_cmp_nlt_f32_e64 s[64:65], s45, v5
	v_cndmask_b32_e64 v6, v253, v6, s[64:65]
	v_add_f32_e32 v7, v6, v1
	v_mov_b32_e32 v5, s43
	v_cndmask_b32_e32 v38, v1, v7, vcc
	v_sub_f32_e32 v1, v85, v2
	v_cndmask_b32_e32 v5, v5, v6, vcc
	v_mul_f32_e32 v6, 0x3fb8aa3b, v1
	v_fma_f32 v7, v1, s91, -v6
	v_rndne_f32_e32 v8, v6
	v_fmac_f32_e32 v7, 0x32a5705f, v1
	v_sub_f32_e32 v6, v6, v8
	v_add_f32_e32 v6, v6, v7
	v_exp_f32_e32 v6, v6
	v_cvt_i32_f32_e32 v7, v8
	v_cmp_ngt_f32_e32 vcc, s96, v1
	v_cvt_f16_f32_e32 v8, v9
	v_cvt_f16_f32_e32 v5, v5
	v_ldexp_f32 v6, v6, v7
	v_cndmask_b32_e32 v6, 0, v6, vcc
	v_cmp_nlt_f32_e32 vcc, s45, v1
	v_cndmask_b32_e32 v6, v253, v6, vcc
	v_cmp_le_f32_e32 vcc, s33, v1
	v_cndmask_b32_e32 v1, 0, v6, vcc
	v_cvt_f16_f32_e32 v6, v1
	v_fmac_f32_e32 v38, v116, v1
	v_cvt_f16_f32_e32 v7, v12
	s_mul_hi_i32 s65, s94, s8
	v_pk_mul_f16 v90, v6, v107 op_sel_hi:[0,1]
	v_pk_mul_f16 v1, v6, v106 op_sel_hi:[0,1]
	;; [unrolled: 1-line block ×32, first 2 shown]
	v_cvt_f16_f32_e32 v6, v13
	s_mul_i32 s64, s94, s8
	s_lshl_b64 s[64:65], s[64:65], 2
	s_add_u32 s64, s90, s64
	v_pack_b32_f16 v6, v4, v6
	v_cvt_f16_f32_e32 v4, v14
	s_addc_u32 s65, s41, s65
	v_mov_b32_e32 v9, s65
	v_mov_b32_e32 v44, s5
	v_pack_b32_f16 v7, v4, v7
	v_cvt_f16_f32_e32 v4, v11
	v_mov_b32_e32 v46, s4
	ds_bpermute_b32 v3, v3, v38
	s_cmp_eq_u64 s[74:75], 0
	v_pack_b32_f16 v4, v4, v8
	v_cvt_f16_f32_e32 v8, v10
	s_waitcnt lgkmcnt(0)
	v_add_f32_e32 v3, v38, v3
	v_pack_b32_f16 v5, v8, v5
	v_add_co_u32_e32 v8, vcc, s64, v50
	v_addc_co_u32_e32 v9, vcc, v9, v51, vcc
	v_add_co_u32_e32 v8, vcc, v8, v91
	v_addc_co_u32_e32 v9, vcc, 0, v9, vcc
	v_cndmask_b32_e64 v93, v44, v9, s[48:49]
	v_cndmask_b32_e64 v92, v46, v8, s[48:49]
	flat_load_dwordx4 v[92:95], v[92:93]
	v_add_co_u32_e32 v8, vcc, s64, v52
	v_mov_b32_e32 v9, s65
	v_addc_co_u32_e32 v9, vcc, v9, v53, vcc
	v_add_co_u32_e32 v8, vcc, v8, v91
	v_addc_co_u32_e32 v9, vcc, 0, v9, vcc
	v_cndmask_b32_e64 v97, v44, v9, s[50:51]
	v_cndmask_b32_e64 v96, v46, v8, s[50:51]
	v_add_co_u32_e32 v8, vcc, s64, v54
	v_mov_b32_e32 v9, s65
	v_addc_co_u32_e32 v9, vcc, v9, v55, vcc
	v_add_co_u32_e32 v8, vcc, v8, v91
	v_addc_co_u32_e32 v9, vcc, 0, v9, vcc
	v_cndmask_b32_e64 v99, v44, v9, s[52:53]
	v_cndmask_b32_e64 v98, v46, v8, s[52:53]
	;; [unrolled: 7-line block ×7, first 2 shown]
	v_cvt_f32_f16_sdwa v91, v42 dst_sel:DWORD dst_unused:UNUSED_PAD src0_sel:WORD_1
	v_readlane_b32 s50, v255, 12
	s_waitcnt vmcnt(0) lgkmcnt(0)
	ds_write_b128 v148, v[92:95]
	flat_load_dwordx4 v[92:95], v[96:97]
	v_readlane_b32 s51, v255, 13
	s_cselect_b64 s[48:49], -1, 0
	s_xor_b64 s[50:51], s[50:51], -1
	s_mov_b64 s[64:65], s[74:75]
	s_or_b64 s[48:49], s[50:51], s[48:49]
	s_waitcnt vmcnt(0) lgkmcnt(0)
	ds_write_b128 v117, v[92:95]
	flat_load_dwordx4 v[92:95], v[98:99]
	s_waitcnt vmcnt(0) lgkmcnt(0)
	ds_write_b128 v0, v[92:95]
	flat_load_dwordx4 v[92:95], v[16:17]
	s_waitcnt vmcnt(0) lgkmcnt(0)
	ds_write_b128 v47, v[92:95]
	flat_load_dwordx4 v[14:17], v[14:15]
	s_waitcnt vmcnt(0) lgkmcnt(0)
	ds_write_b128 v252, v[14:17]
	flat_load_dwordx4 v[12:15], v[12:13]
	s_waitcnt vmcnt(0) lgkmcnt(0)
	ds_write_b128 v250, v[12:15]
	flat_load_dwordx4 v[10:13], v[10:11]
	s_waitcnt vmcnt(0) lgkmcnt(0)
	ds_write_b128 v246, v[10:13]
	flat_load_dwordx4 v[8:11], v[8:9]
	s_waitcnt vmcnt(0) lgkmcnt(0)
	ds_write_b128 v248, v[8:11]
	s_waitcnt lgkmcnt(0)
	s_barrier
	ds_read_u16 v12, v150 offset:528
	ds_read_u16 v13, v150 offset:1056
	v_cvt_f32_f16_e32 v10, v1
	v_cvt_f32_f16_sdwa v11, v1 dst_sel:DWORD dst_unused:UNUSED_PAD src0_sel:WORD_1
	ds_read_u16 v1, v151
	ds_read_u16 v14, v151 offset:32
	v_cvt_f32_f16_e32 v8, v90
	v_cvt_f32_f16_sdwa v9, v90 dst_sel:DWORD dst_unused:UNUSED_PAD src0_sel:WORD_1
	v_cvt_f32_f16_e32 v90, v42
	s_waitcnt lgkmcnt(1)
	v_perm_b32 v13, v1, v13, s98
	ds_read_u16 v1, v149
	ds_read_u16 v16, v149 offset:32
	v_accvgpr_write_b32 a0, v8
	v_accvgpr_write_b32 a1, v9
	;; [unrolled: 1-line block ×3, first 2 shown]
	s_waitcnt lgkmcnt(1)
	v_perm_b32 v12, v12, v1, s98
	v_accvgpr_write_b32 a3, v11
	s_nop 1
	v_mfma_f32_16x16x16f16 a[0:3], v[12:13], v[6:7], a[0:3]
	ds_read_u16 v12, v149 offset:16896
	ds_read_u16 v15, v243 offset:528
	;; [unrolled: 1-line block ×4, first 2 shown]
	s_waitcnt lgkmcnt(2)
	v_perm_b32 v12, v15, v12, s98
	s_waitcnt lgkmcnt(0)
	v_perm_b32 v13, v17, v13, s98
	s_nop 2
	v_accvgpr_read_b32 v8, a1
	v_accvgpr_read_b32 v1, a0
	v_cvt_f16_f32_e32 v9, v8
	v_accvgpr_read_b32 v8, a2
	v_cvt_f16_f32_e32 v1, v1
	v_cvt_f16_f32_e32 v10, v8
	v_accvgpr_read_b32 v8, a3
	v_cvt_f16_f32_e32 v11, v8
	v_cvt_f32_f16_e32 v8, v1
	v_cvt_f32_f16_e32 v9, v9
	v_cvt_f32_f16_e32 v10, v10
	v_cvt_f32_f16_e32 v11, v11
	v_accvgpr_write_b32 a0, v8
	v_accvgpr_write_b32 a1, v9
	;; [unrolled: 1-line block ×4, first 2 shown]
	v_cvt_f32_f16_sdwa v11, v89 dst_sel:DWORD dst_unused:UNUSED_PAD src0_sel:WORD_1
	s_nop 0
	v_mfma_f32_16x16x16f16 a[0:3], v[12:13], v[4:5], a[0:3]
	v_cvt_f32_f16_e32 v12, v88
	v_cvt_f32_f16_sdwa v13, v88 dst_sel:DWORD dst_unused:UNUSED_PAD src0_sel:WORD_1
	v_cvt_f32_f16_e32 v88, v43
	s_nop 7
	v_accvgpr_read_b32 v1, a0
	v_accvgpr_read_b32 v8, a1
	;; [unrolled: 1-line block ×4, first 2 shown]
	v_cvt_f16_f32_e32 v1, v1
	v_cvt_f16_f32_e32 v8, v8
	;; [unrolled: 1-line block ×4, first 2 shown]
	v_pack_b32_f16 v8, v1, v8
	v_pack_b32_f16 v1, v9, v10
	ds_read_u16 v9, v244 offset:528
	ds_read_u16 v15, v244 offset:1056
	v_cvt_f32_f16_e32 v10, v89
	v_cvt_f32_f16_sdwa v89, v43 dst_sel:DWORD dst_unused:UNUSED_PAD src0_sel:WORD_1
	s_waitcnt lgkmcnt(0)
	v_perm_b32 v15, v14, v15, s98
	v_perm_b32 v14, v9, v16, s98
	v_accvgpr_write_b32 a0, v10
	v_accvgpr_write_b32 a1, v11
	;; [unrolled: 1-line block ×4, first 2 shown]
	s_nop 1
	v_mfma_f32_16x16x16f16 a[0:3], v[14:15], v[6:7], a[0:3]
	ds_read_u16 v14, v199 offset:16896
	ds_read_u16 v16, v216 offset:528
	;; [unrolled: 1-line block ×4, first 2 shown]
	s_waitcnt lgkmcnt(2)
	v_perm_b32 v14, v16, v14, s98
	s_waitcnt lgkmcnt(0)
	v_perm_b32 v15, v17, v15, s98
	s_nop 2
	v_accvgpr_read_b32 v10, a1
	v_accvgpr_read_b32 v9, a0
	v_cvt_f16_f32_e32 v11, v10
	v_accvgpr_read_b32 v10, a2
	v_cvt_f16_f32_e32 v9, v9
	v_cvt_f16_f32_e32 v12, v10
	v_accvgpr_read_b32 v10, a3
	v_cvt_f16_f32_e32 v13, v10
	v_cvt_f32_f16_e32 v10, v9
	v_cvt_f32_f16_e32 v11, v11
	;; [unrolled: 1-line block ×4, first 2 shown]
	v_accvgpr_write_b32 a0, v10
	v_accvgpr_write_b32 a1, v11
	;; [unrolled: 1-line block ×4, first 2 shown]
	v_cvt_f32_f16_sdwa v13, v85 dst_sel:DWORD dst_unused:UNUSED_PAD src0_sel:WORD_1
	s_nop 0
	v_mfma_f32_16x16x16f16 a[0:3], v[14:15], v[4:5], a[0:3]
	v_cvt_f32_f16_e32 v14, v83
	v_cvt_f32_f16_sdwa v15, v83 dst_sel:DWORD dst_unused:UNUSED_PAD src0_sel:WORD_1
	s_nop 7
	s_nop 0
	v_accvgpr_read_b32 v9, a0
	v_accvgpr_read_b32 v10, a1
	;; [unrolled: 1-line block ×4, first 2 shown]
	v_cvt_f16_f32_e32 v9, v9
	v_cvt_f16_f32_e32 v10, v10
	;; [unrolled: 1-line block ×4, first 2 shown]
	v_pack_b32_f16 v10, v9, v10
	v_pack_b32_f16 v9, v11, v12
	ds_read_u16 v11, v149 offset:64
	ds_read_u16 v16, v240 offset:528
	;; [unrolled: 1-line block ×4, first 2 shown]
	v_cvt_f32_f16_e32 v12, v85
	s_waitcnt lgkmcnt(2)
	v_perm_b32 v16, v16, v11, s98
	s_waitcnt lgkmcnt(0)
	v_perm_b32 v17, v44, v17, s98
	v_accvgpr_write_b32 a0, v12
	v_accvgpr_write_b32 a1, v13
	;; [unrolled: 1-line block ×4, first 2 shown]
	s_nop 1
	v_mfma_f32_16x16x16f16 a[0:3], v[16:17], v[6:7], a[0:3]
	ds_read_u16 v16, v219 offset:16896
	ds_read_u16 v44, v221 offset:528
	;; [unrolled: 1-line block ×4, first 2 shown]
	s_waitcnt lgkmcnt(2)
	v_perm_b32 v16, v44, v16, s98
	s_waitcnt lgkmcnt(0)
	v_perm_b32 v17, v46, v17, s98
	s_nop 2
	v_accvgpr_read_b32 v12, a1
	v_accvgpr_read_b32 v11, a0
	v_cvt_f16_f32_e32 v13, v12
	v_accvgpr_read_b32 v12, a2
	v_cvt_f16_f32_e32 v11, v11
	v_cvt_f16_f32_e32 v14, v12
	v_accvgpr_read_b32 v12, a3
	v_cvt_f16_f32_e32 v15, v12
	v_cvt_f32_f16_e32 v12, v11
	v_cvt_f32_f16_e32 v13, v13
	;; [unrolled: 1-line block ×4, first 2 shown]
	v_accvgpr_write_b32 a0, v12
	v_accvgpr_write_b32 a1, v13
	;; [unrolled: 1-line block ×4, first 2 shown]
	v_cvt_f32_f16_sdwa v15, v49 dst_sel:DWORD dst_unused:UNUSED_PAD src0_sel:WORD_1
	s_nop 0
	v_mfma_f32_16x16x16f16 a[0:3], v[16:17], v[4:5], a[0:3]
	v_cvt_f32_f16_e32 v16, v45
	v_cvt_f32_f16_sdwa v17, v45 dst_sel:DWORD dst_unused:UNUSED_PAD src0_sel:WORD_1
	s_nop 7
	s_nop 0
	v_accvgpr_read_b32 v11, a0
	v_accvgpr_read_b32 v12, a1
	;; [unrolled: 1-line block ×4, first 2 shown]
	v_cvt_f16_f32_e32 v11, v11
	v_cvt_f16_f32_e32 v12, v12
	v_cvt_f16_f32_e32 v13, v13
	v_cvt_f16_f32_e32 v14, v14
	v_pack_b32_f16 v12, v11, v12
	v_pack_b32_f16 v11, v13, v14
	ds_read_u16 v13, v149 offset:96
	ds_read_u16 v44, v242 offset:528
	;; [unrolled: 1-line block ×4, first 2 shown]
	v_cvt_f32_f16_e32 v14, v49
	s_waitcnt lgkmcnt(2)
	v_perm_b32 v44, v44, v13, s98
	s_waitcnt lgkmcnt(0)
	v_perm_b32 v45, v83, v46, s98
	v_accvgpr_write_b32 a0, v14
	v_accvgpr_write_b32 a1, v15
	v_accvgpr_write_b32 a2, v16
	v_accvgpr_write_b32 a3, v17
	s_nop 1
	v_mfma_f32_16x16x16f16 a[0:3], v[44:45], v[6:7], a[0:3]
	ds_read_u16 v44, v228 offset:16896
	ds_read_u16 v46, v229 offset:528
	;; [unrolled: 1-line block ×4, first 2 shown]
	s_waitcnt lgkmcnt(2)
	v_perm_b32 v44, v46, v44, s98
	s_waitcnt lgkmcnt(0)
	v_perm_b32 v45, v49, v45, s98
	s_nop 2
	v_accvgpr_read_b32 v14, a1
	v_accvgpr_read_b32 v13, a0
	v_cvt_f16_f32_e32 v15, v14
	v_accvgpr_read_b32 v14, a2
	v_cvt_f16_f32_e32 v13, v13
	v_cvt_f16_f32_e32 v16, v14
	v_accvgpr_read_b32 v14, a3
	v_cvt_f16_f32_e32 v17, v14
	v_cvt_f32_f16_e32 v14, v13
	v_cvt_f32_f16_e32 v15, v15
	;; [unrolled: 1-line block ×4, first 2 shown]
	v_accvgpr_write_b32 a0, v14
	v_accvgpr_write_b32 a1, v15
	;; [unrolled: 1-line block ×4, first 2 shown]
	s_nop 1
	v_mfma_f32_16x16x16f16 a[0:3], v[44:45], v[4:5], a[0:3]
	s_nop 7
	s_nop 2
	v_accvgpr_read_b32 v13, a0
	v_accvgpr_read_b32 v14, a1
	;; [unrolled: 1-line block ×4, first 2 shown]
	v_cvt_f16_f32_e32 v13, v13
	v_cvt_f16_f32_e32 v14, v14
	;; [unrolled: 1-line block ×4, first 2 shown]
	v_accvgpr_write_b32 a0, v88
	v_pack_b32_f16 v14, v13, v14
	v_accvgpr_write_b32 a1, v89
	v_pack_b32_f16 v13, v15, v16
	ds_read_u16 v15, v149 offset:128
	ds_read_u16 v16, v237 offset:528
	;; [unrolled: 1-line block ×4, first 2 shown]
	v_accvgpr_write_b32 a2, v90
	v_accvgpr_write_b32 a3, v91
	s_waitcnt lgkmcnt(2)
	v_perm_b32 v16, v16, v15, s98
	ds_read_u16 v46, v232 offset:16896
	ds_read_u16 v49, v218 offset:528
	ds_read_u16 v83, v238 offset:1056
	ds_read_u16 v85, v220 offset:16896
	s_waitcnt lgkmcnt(4)
	v_perm_b32 v17, v44, v17, s98
	s_nop 1
	v_mfma_f32_16x16x16f16 a[0:3], v[16:17], v[6:7], a[0:3]
	s_nop 7
	s_nop 2
	v_accvgpr_read_b32 v15, a0
	v_cvt_f16_f32_e32 v15, v15
	v_accvgpr_read_b32 v16, a1
	v_accvgpr_read_b32 v17, a2
	v_accvgpr_read_b32 v42, a3
	v_cvt_f16_f32_e32 v16, v16
	v_cvt_f16_f32_e32 v17, v17
	;; [unrolled: 1-line block ×3, first 2 shown]
	v_cvt_f32_f16_e32 v42, v15
	v_cvt_f32_f16_e32 v43, v16
	;; [unrolled: 1-line block ×4, first 2 shown]
	s_waitcnt lgkmcnt(0)
	v_perm_b32 v17, v85, v83, s98
	v_perm_b32 v16, v49, v46, s98
	v_accvgpr_write_b32 a0, v42
	v_accvgpr_write_b32 a1, v43
	;; [unrolled: 1-line block ×4, first 2 shown]
	v_cvt_f32_f16_sdwa v43, v41 dst_sel:DWORD dst_unused:UNUSED_PAD src0_sel:WORD_1
	v_cvt_f32_f16_e32 v44, v18
	v_mfma_f32_16x16x16f16 a[0:3], v[16:17], v[4:5], a[0:3]
	v_cvt_f32_f16_sdwa v45, v18 dst_sel:DWORD dst_unused:UNUSED_PAD src0_sel:WORD_1
	s_nop 7
	s_nop 1
	v_accvgpr_read_b32 v15, a0
	v_accvgpr_read_b32 v16, a1
	;; [unrolled: 1-line block ×4, first 2 shown]
	v_cvt_f16_f32_e32 v15, v15
	v_cvt_f16_f32_e32 v16, v16
	;; [unrolled: 1-line block ×4, first 2 shown]
	v_pack_b32_f16 v16, v15, v16
	v_pack_b32_f16 v15, v17, v42
	ds_read_u16 v17, v149 offset:160
	ds_read_u16 v46, v239 offset:528
	;; [unrolled: 1-line block ×4, first 2 shown]
	v_cvt_f32_f16_e32 v42, v41
	s_waitcnt lgkmcnt(2)
	v_perm_b32 v88, v46, v17, s98
	s_waitcnt lgkmcnt(0)
	v_perm_b32 v89, v83, v49, s98
	v_accvgpr_write_b32 a0, v42
	v_accvgpr_write_b32 a1, v43
	;; [unrolled: 1-line block ×4, first 2 shown]
	ds_read_u16 v46, v164 offset:16896
	ds_read_u16 v49, v225 offset:528
	;; [unrolled: 1-line block ×4, first 2 shown]
	v_mfma_f32_16x16x16f16 a[0:3], v[88:89], v[6:7], a[0:3]
	s_waitcnt lgkmcnt(2)
	v_perm_b32 v88, v49, v46, s98
	s_waitcnt lgkmcnt(0)
	v_perm_b32 v89, v85, v83, s98
	s_nop 6
	v_accvgpr_read_b32 v17, a0
	v_cvt_f16_f32_e32 v17, v17
	v_accvgpr_read_b32 v18, a1
	v_accvgpr_read_b32 v41, a2
	v_accvgpr_read_b32 v42, a3
	v_cvt_f16_f32_e32 v18, v18
	v_cvt_f16_f32_e32 v41, v41
	;; [unrolled: 1-line block ×3, first 2 shown]
	v_cvt_f32_f16_e32 v42, v17
	v_cvt_f32_f16_e32 v43, v18
	;; [unrolled: 1-line block ×4, first 2 shown]
	v_accvgpr_write_b32 a0, v42
	v_accvgpr_write_b32 a1, v43
	;; [unrolled: 1-line block ×4, first 2 shown]
	v_cvt_f32_f16_sdwa v43, v20 dst_sel:DWORD dst_unused:UNUSED_PAD src0_sel:WORD_1
	v_cvt_f32_f16_e32 v44, v19
	v_mfma_f32_16x16x16f16 a[0:3], v[88:89], v[4:5], a[0:3]
	v_cvt_f32_f16_sdwa v45, v19 dst_sel:DWORD dst_unused:UNUSED_PAD src0_sel:WORD_1
	s_nop 7
	s_nop 1
	v_accvgpr_read_b32 v17, a0
	v_accvgpr_read_b32 v18, a1
	;; [unrolled: 1-line block ×4, first 2 shown]
	v_cvt_f16_f32_e32 v17, v17
	v_cvt_f16_f32_e32 v18, v18
	;; [unrolled: 1-line block ×4, first 2 shown]
	v_pack_b32_f16 v18, v17, v18
	v_pack_b32_f16 v17, v41, v42
	ds_read_u16 v41, v149 offset:192
	ds_read_u16 v46, v212 offset:528
	;; [unrolled: 1-line block ×4, first 2 shown]
	v_cvt_f32_f16_e32 v42, v20
	s_waitcnt lgkmcnt(2)
	v_perm_b32 v88, v46, v41, s98
	s_waitcnt lgkmcnt(0)
	v_perm_b32 v89, v83, v49, s98
	v_accvgpr_write_b32 a0, v42
	v_accvgpr_write_b32 a1, v43
	;; [unrolled: 1-line block ×4, first 2 shown]
	ds_read_u16 v46, v167 offset:16896
	ds_read_u16 v49, v247 offset:528
	;; [unrolled: 1-line block ×4, first 2 shown]
	v_mfma_f32_16x16x16f16 a[0:3], v[88:89], v[6:7], a[0:3]
	s_waitcnt lgkmcnt(2)
	v_perm_b32 v88, v49, v46, s98
	s_waitcnt lgkmcnt(0)
	v_perm_b32 v89, v85, v83, s98
	s_nop 6
	v_accvgpr_read_b32 v19, a0
	v_cvt_f16_f32_e32 v19, v19
	v_accvgpr_read_b32 v20, a1
	v_accvgpr_read_b32 v41, a2
	;; [unrolled: 1-line block ×3, first 2 shown]
	v_cvt_f16_f32_e32 v20, v20
	v_cvt_f16_f32_e32 v41, v41
	;; [unrolled: 1-line block ×3, first 2 shown]
	v_cvt_f32_f16_e32 v42, v19
	v_cvt_f32_f16_e32 v43, v20
	;; [unrolled: 1-line block ×4, first 2 shown]
	v_accvgpr_write_b32 a0, v42
	v_accvgpr_write_b32 a1, v43
	v_accvgpr_write_b32 a2, v44
	v_accvgpr_write_b32 a3, v45
	v_cvt_f32_f16_sdwa v43, v22 dst_sel:DWORD dst_unused:UNUSED_PAD src0_sel:WORD_1
	v_cvt_f32_f16_e32 v44, v21
	v_mfma_f32_16x16x16f16 a[0:3], v[88:89], v[4:5], a[0:3]
	v_cvt_f32_f16_sdwa v45, v21 dst_sel:DWORD dst_unused:UNUSED_PAD src0_sel:WORD_1
	s_nop 7
	s_nop 1
	v_accvgpr_read_b32 v19, a0
	v_accvgpr_read_b32 v20, a1
	v_accvgpr_read_b32 v41, a2
	v_accvgpr_read_b32 v42, a3
	v_cvt_f16_f32_e32 v19, v19
	v_cvt_f16_f32_e32 v20, v20
	v_cvt_f16_f32_e32 v41, v41
	v_cvt_f16_f32_e32 v42, v42
	v_pack_b32_f16 v20, v19, v20
	v_pack_b32_f16 v19, v41, v42
	ds_read_u16 v41, v149 offset:224
	ds_read_u16 v46, v211 offset:528
	ds_read_u16 v49, v211 offset:1056
	ds_read_u16 v83, v151 offset:224
	v_cvt_f32_f16_e32 v42, v22
	s_waitcnt lgkmcnt(2)
	v_perm_b32 v88, v46, v41, s98
	ds_read_u16 v46, v170 offset:16896
	s_waitcnt lgkmcnt(1)
	v_perm_b32 v89, v83, v49, s98
	v_accvgpr_write_b32 a0, v42
	v_accvgpr_write_b32 a1, v43
	v_accvgpr_write_b32 a2, v44
	v_accvgpr_write_b32 a3, v45
	s_nop 1
	v_mfma_f32_16x16x16f16 a[0:3], v[88:89], v[6:7], a[0:3]
	s_nop 7
	s_nop 2
	v_accvgpr_read_b32 v42, a3
	v_cvt_f16_f32_e32 v45, v42
	v_accvgpr_read_b32 v42, a40
	v_accvgpr_read_b32 v21, a0
	ds_read_u16 v49, v42 offset:528
	ds_read_u16 v83, v210 offset:1056
	v_accvgpr_read_b32 v42, a41
	v_cvt_f16_f32_e32 v21, v21
	v_accvgpr_read_b32 v22, a1
	v_accvgpr_read_b32 v41, a2
	ds_read_u16 v85, v42 offset:16896
	v_cvt_f16_f32_e32 v22, v22
	v_cvt_f16_f32_e32 v41, v41
	v_cvt_f32_f16_e32 v42, v21
	v_cvt_f32_f16_e32 v45, v45
	v_cvt_f32_f16_e32 v43, v22
	v_cvt_f32_f16_e32 v44, v41
	s_waitcnt lgkmcnt(0)
	v_perm_b32 v89, v85, v83, s98
	v_perm_b32 v88, v49, v46, s98
	v_accvgpr_write_b32 a0, v42
	v_accvgpr_write_b32 a1, v43
	v_accvgpr_write_b32 a2, v44
	v_accvgpr_write_b32 a3, v45
	v_cvt_f32_f16_sdwa v43, v24 dst_sel:DWORD dst_unused:UNUSED_PAD src0_sel:WORD_1
	v_cvt_f32_f16_e32 v44, v23
	v_mfma_f32_16x16x16f16 a[0:3], v[88:89], v[4:5], a[0:3]
	v_cvt_f32_f16_sdwa v45, v23 dst_sel:DWORD dst_unused:UNUSED_PAD src0_sel:WORD_1
	s_nop 7
	s_nop 1
	v_accvgpr_read_b32 v21, a0
	v_accvgpr_read_b32 v22, a1
	v_accvgpr_read_b32 v41, a2
	v_accvgpr_read_b32 v42, a3
	v_cvt_f16_f32_e32 v21, v21
	v_cvt_f16_f32_e32 v22, v22
	v_cvt_f16_f32_e32 v41, v41
	v_cvt_f16_f32_e32 v42, v42
	v_pack_b32_f16 v22, v21, v22
	v_pack_b32_f16 v21, v41, v42
	ds_read_u16 v41, v149 offset:256
	ds_read_u16 v46, v209 offset:528
	ds_read_u16 v49, v209 offset:1056
	ds_read_u16 v83, v151 offset:256
	v_cvt_f32_f16_e32 v42, v24
	s_waitcnt lgkmcnt(2)
	v_perm_b32 v88, v46, v41, s98
	ds_read_u16 v46, v152 offset:16896
	s_waitcnt lgkmcnt(1)
	v_perm_b32 v89, v83, v49, s98
	v_accvgpr_write_b32 a0, v42
	v_accvgpr_write_b32 a1, v43
	v_accvgpr_write_b32 a2, v44
	v_accvgpr_write_b32 a3, v45
	s_nop 1
	v_mfma_f32_16x16x16f16 a[0:3], v[88:89], v[6:7], a[0:3]
	s_nop 7
	s_nop 2
	v_accvgpr_read_b32 v42, a3
	v_cvt_f16_f32_e32 v45, v42
	v_accvgpr_read_b32 v42, a42
	v_accvgpr_read_b32 v23, a0
	ds_read_u16 v49, v42 offset:528
	ds_read_u16 v83, v208 offset:1056
	v_accvgpr_read_b32 v42, a43
	v_cvt_f16_f32_e32 v23, v23
	v_accvgpr_read_b32 v24, a1
	v_accvgpr_read_b32 v41, a2
	ds_read_u16 v85, v42 offset:16896
	v_cvt_f16_f32_e32 v24, v24
	v_cvt_f16_f32_e32 v41, v41
	v_cvt_f32_f16_e32 v42, v23
	v_cvt_f32_f16_e32 v45, v45
	v_cvt_f32_f16_e32 v43, v24
	v_cvt_f32_f16_e32 v44, v41
	s_waitcnt lgkmcnt(0)
	v_perm_b32 v89, v85, v83, s98
	v_perm_b32 v88, v49, v46, s98
	;; [unrolled: 58-line block ×4, first 2 shown]
	v_accvgpr_write_b32 a0, v42
	v_accvgpr_write_b32 a1, v43
	;; [unrolled: 1-line block ×4, first 2 shown]
	v_cvt_f32_f16_sdwa v43, v30 dst_sel:DWORD dst_unused:UNUSED_PAD src0_sel:WORD_1
	v_cvt_f32_f16_e32 v44, v29
	v_mfma_f32_16x16x16f16 a[0:3], v[88:89], v[4:5], a[0:3]
	v_cvt_f32_f16_sdwa v45, v29 dst_sel:DWORD dst_unused:UNUSED_PAD src0_sel:WORD_1
	s_nop 7
	s_nop 1
	v_accvgpr_read_b32 v27, a0
	v_accvgpr_read_b32 v28, a1
	;; [unrolled: 1-line block ×4, first 2 shown]
	v_cvt_f16_f32_e32 v27, v27
	v_cvt_f16_f32_e32 v28, v28
	v_cvt_f16_f32_e32 v41, v41
	v_cvt_f16_f32_e32 v42, v42
	v_pack_b32_f16 v28, v27, v28
	v_pack_b32_f16 v27, v41, v42
	ds_read_u16 v41, v149 offset:352
	ds_read_u16 v46, v206 offset:528
	ds_read_u16 v49, v206 offset:1056
	ds_read_u16 v83, v151 offset:352
	v_cvt_f32_f16_e32 v42, v30
	s_waitcnt lgkmcnt(2)
	v_perm_b32 v88, v46, v41, s98
	ds_read_u16 v46, v182 offset:16896
	s_waitcnt lgkmcnt(1)
	v_perm_b32 v89, v83, v49, s98
	v_accvgpr_write_b32 a0, v42
	v_accvgpr_write_b32 a1, v43
	;; [unrolled: 1-line block ×4, first 2 shown]
	s_nop 1
	v_mfma_f32_16x16x16f16 a[0:3], v[88:89], v[6:7], a[0:3]
	s_nop 7
	s_nop 2
	v_accvgpr_read_b32 v42, a3
	v_accvgpr_read_b32 v29, a0
	v_cvt_f16_f32_e32 v45, v42
	v_accvgpr_read_b32 v42, a48
	v_cvt_f16_f32_e32 v29, v29
	v_accvgpr_read_b32 v30, a1
	v_accvgpr_read_b32 v41, a2
	ds_read_u16 v49, v42 offset:528
	ds_read_u16 v83, v205 offset:1056
	;; [unrolled: 1-line block ×3, first 2 shown]
	v_cvt_f16_f32_e32 v30, v30
	v_cvt_f16_f32_e32 v41, v41
	v_cvt_f32_f16_e32 v42, v29
	v_cvt_f32_f16_e32 v45, v45
	;; [unrolled: 1-line block ×4, first 2 shown]
	s_waitcnt lgkmcnt(0)
	v_perm_b32 v89, v85, v83, s98
	v_perm_b32 v88, v49, v46, s98
	v_accvgpr_write_b32 a0, v42
	v_accvgpr_write_b32 a1, v43
	v_accvgpr_write_b32 a2, v44
	v_accvgpr_write_b32 a3, v45
	v_cvt_f32_f16_sdwa v43, v32 dst_sel:DWORD dst_unused:UNUSED_PAD src0_sel:WORD_1
	v_cvt_f32_f16_e32 v44, v31
	v_mfma_f32_16x16x16f16 a[0:3], v[88:89], v[4:5], a[0:3]
	v_cvt_f32_f16_sdwa v45, v31 dst_sel:DWORD dst_unused:UNUSED_PAD src0_sel:WORD_1
	s_nop 7
	s_nop 1
	v_accvgpr_read_b32 v29, a0
	v_accvgpr_read_b32 v30, a1
	v_accvgpr_read_b32 v41, a2
	v_accvgpr_read_b32 v42, a3
	v_cvt_f16_f32_e32 v29, v29
	v_cvt_f16_f32_e32 v30, v30
	v_cvt_f16_f32_e32 v41, v41
	v_cvt_f16_f32_e32 v42, v42
	v_pack_b32_f16 v30, v29, v30
	v_pack_b32_f16 v29, v41, v42
	ds_read_u16 v41, v149 offset:384
	ds_read_u16 v46, v204 offset:528
	ds_read_u16 v49, v204 offset:1056
	ds_read_u16 v83, v151 offset:384
	v_cvt_f32_f16_e32 v42, v32
	s_waitcnt lgkmcnt(2)
	v_perm_b32 v88, v46, v41, s98
	s_waitcnt lgkmcnt(0)
	v_perm_b32 v89, v83, v49, s98
	v_accvgpr_write_b32 a0, v42
	v_accvgpr_write_b32 a1, v43
	v_accvgpr_write_b32 a2, v44
	v_accvgpr_write_b32 a3, v45
	ds_read_u16 v46, v185 offset:16896
	ds_read_u16 v49, v178 offset:528
	ds_read_u16 v83, v222 offset:1056
	ds_read_u16 v85, v158 offset:16896
	v_mfma_f32_16x16x16f16 a[0:3], v[88:89], v[6:7], a[0:3]
	s_waitcnt lgkmcnt(2)
	v_perm_b32 v88, v49, v46, s98
	s_waitcnt lgkmcnt(0)
	v_perm_b32 v89, v85, v83, s98
	s_nop 6
	v_accvgpr_read_b32 v31, a0
	v_cvt_f16_f32_e32 v31, v31
	v_accvgpr_read_b32 v32, a1
	v_accvgpr_read_b32 v41, a2
	v_accvgpr_read_b32 v42, a3
	v_cvt_f16_f32_e32 v32, v32
	v_cvt_f16_f32_e32 v41, v41
	v_cvt_f16_f32_e32 v45, v42
	v_cvt_f32_f16_e32 v42, v31
	v_cvt_f32_f16_e32 v43, v32
	v_cvt_f32_f16_e32 v44, v41
	v_cvt_f32_f16_e32 v45, v45
	v_accvgpr_write_b32 a0, v42
	v_accvgpr_write_b32 a1, v43
	v_accvgpr_write_b32 a2, v44
	v_accvgpr_write_b32 a3, v45
	v_cvt_f32_f16_sdwa v43, v34 dst_sel:DWORD dst_unused:UNUSED_PAD src0_sel:WORD_1
	v_cvt_f32_f16_e32 v44, v33
	v_mfma_f32_16x16x16f16 a[0:3], v[88:89], v[4:5], a[0:3]
	v_cvt_f32_f16_sdwa v45, v33 dst_sel:DWORD dst_unused:UNUSED_PAD src0_sel:WORD_1
	s_nop 7
	s_nop 1
	v_accvgpr_read_b32 v31, a0
	v_accvgpr_read_b32 v32, a1
	v_accvgpr_read_b32 v41, a2
	v_accvgpr_read_b32 v42, a3
	v_cvt_f16_f32_e32 v31, v31
	v_cvt_f16_f32_e32 v32, v32
	v_cvt_f16_f32_e32 v41, v41
	v_cvt_f16_f32_e32 v42, v42
	v_pack_b32_f16 v32, v31, v32
	v_pack_b32_f16 v31, v41, v42
	ds_read_u16 v41, v149 offset:416
	ds_read_u16 v46, v223 offset:528
	ds_read_u16 v49, v223 offset:1056
	ds_read_u16 v83, v151 offset:416
	v_cvt_f32_f16_e32 v42, v34
	s_waitcnt lgkmcnt(2)
	v_perm_b32 v88, v46, v41, s98
	s_waitcnt lgkmcnt(0)
	v_perm_b32 v89, v83, v49, s98
	v_accvgpr_write_b32 a0, v42
	v_accvgpr_write_b32 a1, v43
	v_accvgpr_write_b32 a2, v44
	v_accvgpr_write_b32 a3, v45
	ds_read_u16 v46, v189 offset:16896
	ds_read_u16 v49, v188 offset:528
	ds_read_u16 v83, v227 offset:1056
	ds_read_u16 v85, v155 offset:16896
	v_mfma_f32_16x16x16f16 a[0:3], v[88:89], v[6:7], a[0:3]
	s_waitcnt lgkmcnt(2)
	v_perm_b32 v88, v49, v46, s98
	s_waitcnt lgkmcnt(0)
	v_perm_b32 v89, v85, v83, s98
	s_nop 6
	v_accvgpr_read_b32 v33, a0
	v_cvt_f16_f32_e32 v33, v33
	v_accvgpr_read_b32 v34, a1
	v_accvgpr_read_b32 v41, a2
	v_accvgpr_read_b32 v42, a3
	v_cvt_f16_f32_e32 v34, v34
	v_cvt_f16_f32_e32 v41, v41
	v_cvt_f16_f32_e32 v45, v42
	v_cvt_f32_f16_e32 v42, v33
	v_cvt_f32_f16_e32 v43, v34
	v_cvt_f32_f16_e32 v44, v41
	v_cvt_f32_f16_e32 v45, v45
	;; [unrolled: 55-line block ×3, first 2 shown]
	v_accvgpr_write_b32 a0, v42
	v_accvgpr_write_b32 a1, v43
	;; [unrolled: 1-line block ×4, first 2 shown]
	v_cvt_f32_f16_sdwa v43, v40 dst_sel:DWORD dst_unused:UNUSED_PAD src0_sel:WORD_1
	v_cvt_f32_f16_e32 v44, v39
	v_mfma_f32_16x16x16f16 a[0:3], v[88:89], v[4:5], a[0:3]
	v_cvt_f32_f16_sdwa v45, v39 dst_sel:DWORD dst_unused:UNUSED_PAD src0_sel:WORD_1
	s_nop 7
	s_nop 1
	v_accvgpr_read_b32 v35, a0
	v_accvgpr_read_b32 v36, a1
	;; [unrolled: 1-line block ×4, first 2 shown]
	v_cvt_f16_f32_e32 v35, v35
	v_cvt_f16_f32_e32 v36, v36
	;; [unrolled: 1-line block ×4, first 2 shown]
	v_pack_b32_f16 v36, v35, v36
	v_pack_b32_f16 v35, v41, v42
	ds_read_u16 v46, v149 offset:480
	ds_read_u16 v49, v230 offset:528
	;; [unrolled: 1-line block ×4, first 2 shown]
	v_cvt_f32_f16_e32 v42, v40
	s_waitcnt lgkmcnt(2)
	v_perm_b32 v40, v49, v46, s98
	s_waitcnt lgkmcnt(0)
	v_perm_b32 v41, v83, v41, s98
	v_accvgpr_write_b32 a0, v42
	v_accvgpr_write_b32 a1, v43
	;; [unrolled: 1-line block ×4, first 2 shown]
	s_nop 1
	v_mfma_f32_16x16x16f16 a[0:3], v[40:41], v[6:7], a[0:3]
	ds_read_u16 v41, v194 offset:16896
	ds_read_u16 v46, v196 offset:528
	;; [unrolled: 1-line block ×4, first 2 shown]
	s_waitcnt lgkmcnt(0)
	s_barrier
	s_nop 4
	v_accvgpr_read_b32 v6, a0
	v_cvt_f16_f32_e32 v6, v6
	v_accvgpr_read_b32 v7, a1
	v_accvgpr_read_b32 v39, a2
	;; [unrolled: 1-line block ×3, first 2 shown]
	v_cvt_f16_f32_e32 v7, v7
	v_cvt_f16_f32_e32 v39, v39
	;; [unrolled: 1-line block ×3, first 2 shown]
	v_cvt_f32_f16_e32 v42, v6
	v_cvt_f32_f16_e32 v43, v7
	;; [unrolled: 1-line block ×4, first 2 shown]
	v_perm_b32 v7, v83, v49, s98
	v_perm_b32 v6, v46, v41, s98
	v_accvgpr_write_b32 a0, v42
	v_accvgpr_write_b32 a1, v43
	;; [unrolled: 1-line block ×4, first 2 shown]
	s_nop 1
	v_mfma_f32_16x16x16f16 a[0:3], v[6:7], v[4:5], a[0:3]
	s_nop 7
	s_nop 2
	v_accvgpr_read_b32 v4, a0
	v_accvgpr_read_b32 v5, a1
	;; [unrolled: 1-line block ×4, first 2 shown]
	v_cvt_f16_f32_e32 v4, v4
	v_cvt_f16_f32_e32 v5, v5
	;; [unrolled: 1-line block ×4, first 2 shown]
	v_pack_b32_f16 v4, v4, v5
	v_pack_b32_f16 v5, v6, v7
	ds_bpermute_b32 v6, v37, v3
	s_waitcnt lgkmcnt(0)
	v_add_f32_e32 v3, v3, v6
	s_and_saveexec_b64 s[50:51], s[48:49]
	s_xor_b64 s[48:49], exec, s[50:51]
	s_or_saveexec_b64 s[48:49], s[48:49]
	v_readlane_b32 s80, v255, 24
	v_readlane_b32 s81, v255, 25
	;; [unrolled: 1-line block ×4, first 2 shown]
	s_mov_b32 s59, s95
	s_xor_b64 exec, exec, s[48:49]
	s_cbranch_execz .LBB29_84
; %bb.83:                               ;   in Loop: Header=BB29_14 Depth=1
	global_load_dword v7, v203, s[64:65]
	v_max_f32_e32 v38, v2, v2
	s_waitcnt vmcnt(0)
	v_max_f32_e32 v6, v7, v7
	v_max_f32_e32 v6, v38, v6
	v_sub_f32_e32 v2, v2, v6
	v_mul_f32_e32 v38, 0x3fb8aa3b, v2
	v_fma_f32 v39, v2, s91, -v38
	v_rndne_f32_e32 v40, v38
	v_fmac_f32_e32 v39, 0x32a5705f, v2
	v_sub_f32_e32 v38, v38, v40
	v_add_f32_e32 v38, v38, v39
	v_exp_f32_e32 v38, v38
	v_cvt_i32_f32_e32 v39, v40
	v_cmp_ngt_f32_e32 vcc, s96, v2
	v_sub_f32_e32 v7, v7, v6
	v_ldexp_f32 v38, v38, v39
	v_cndmask_b32_e32 v38, 0, v38, vcc
	v_cmp_nlt_f32_e32 vcc, s45, v2
	v_cndmask_b32_e32 v38, v253, v38, vcc
	v_cmp_le_f32_e32 vcc, s33, v2
	v_cndmask_b32_e32 v2, 0, v38, vcc
	v_cvt_f16_f32_e32 v38, v2
	v_cmp_ngt_f32_e32 vcc, s96, v7
	v_pk_mul_f16 v8, v38, v8 op_sel_hi:[0,1]
	v_pk_mul_f16 v1, v38, v1 op_sel_hi:[0,1]
	;; [unrolled: 1-line block ×32, first 2 shown]
	v_mul_f32_e32 v38, 0x3fb8aa3b, v7
	v_fma_f32 v39, v7, s91, -v38
	v_rndne_f32_e32 v40, v38
	v_fmac_f32_e32 v39, 0x32a5705f, v7
	v_sub_f32_e32 v38, v38, v40
	v_add_f32_e32 v38, v38, v39
	v_exp_f32_e32 v38, v38
	v_cvt_i32_f32_e32 v39, v40
	v_ldexp_f32 v38, v38, v39
	v_cndmask_b32_e32 v38, 0, v38, vcc
	v_cmp_nlt_f32_e32 vcc, s45, v7
	v_cndmask_b32_e32 v7, v253, v38, vcc
	v_fmac_f32_e32 v7, v3, v2
	v_pk_mov_b32 v[2:3], v[6:7], v[6:7] op_sel:[0,1]
.LBB29_84:                              ;   in Loop: Header=BB29_14 Depth=1
	s_or_b64 exec, exec, s[48:49]
	s_mov_b64 s[48:49], exec
	v_readlane_b32 s50, v255, 16
	v_readlane_b32 s51, v255, 17
	s_and_b64 s[50:51], s[48:49], s[50:51]
	v_readlane_b32 s76, v254, 10
	v_readlane_b32 s77, v254, 11
	;; [unrolled: 1-line block ×4, first 2 shown]
	s_mov_b64 exec, s[50:51]
	s_cbranch_execz .LBB29_86
; %bb.85:                               ;   in Loop: Header=BB29_14 Depth=1
	v_accvgpr_read_b32 v6, a75
	v_add_u32_e32 v6, 0, v6
	ds_write2_b32 v6, v2, v3 offset0:128 offset1:129
.LBB29_86:                              ;   in Loop: Header=BB29_14 Depth=1
	s_or_b64 exec, exec, s[48:49]
	s_waitcnt lgkmcnt(0)
	s_barrier
	s_mov_b64 s[48:49], exec
	v_readlane_b32 s50, v255, 14
	v_readlane_b32 s51, v255, 15
	s_and_b64 s[50:51], s[48:49], s[50:51]
	s_xor_b64 s[48:49], s[50:51], s[48:49]
	s_mov_b64 exec, s[50:51]
	s_cbranch_execz .LBB29_88
; %bb.87:                               ;   in Loop: Header=BB29_14 Depth=1
	s_barrier
	s_waitcnt lgkmcnt(0)
                                        ; implicit-def: $vgpr37
.LBB29_88:                              ;   in Loop: Header=BB29_14 Depth=1
	s_andn2_saveexec_b64 s[48:49], s[48:49]
	s_cbranch_execz .LBB29_94
; %bb.89:                               ;   in Loop: Header=BB29_14 Depth=1
	v_accvgpr_read_b32 v2, a76
	v_add_u32_e32 v3, 0, v2
	ds_read_b64 v[38:39], v3 offset:512
	s_waitcnt lgkmcnt(0)
	s_barrier
	ds_bpermute_b32 v2, v37, v38
	v_max_f32_e32 v6, v38, v38
	s_waitcnt lgkmcnt(0)
	v_max_f32_e32 v2, v2, v2
	v_max_f32_e32 v2, v6, v2
	v_sub_f32_e32 v6, v38, v2
	v_mul_f32_e32 v7, 0x3fb8aa3b, v6
	v_fma_f32 v38, v6, s91, -v7
	v_rndne_f32_e32 v40, v7
	v_fmac_f32_e32 v38, 0x32a5705f, v6
	v_sub_f32_e32 v7, v7, v40
	v_add_f32_e32 v7, v7, v38
	v_cvt_i32_f32_e32 v40, v40
	v_exp_f32_e32 v7, v7
	v_cmp_ngt_f32_e32 vcc, s96, v6
	v_ldexp_f32 v7, v7, v40
	v_cndmask_b32_e32 v7, 0, v7, vcc
	v_cmp_nlt_f32_e32 vcc, s45, v6
	v_cndmask_b32_e32 v6, v253, v7, vcc
	v_mul_f32_e32 v7, v39, v6
	ds_bpermute_b32 v7, v37, v7
	s_waitcnt lgkmcnt(0)
	v_fmac_f32_e32 v7, v39, v6
	s_mov_b64 s[50:51], exec
	v_readlane_b32 s52, v255, 18
	v_readlane_b32 s53, v255, 19
	s_and_b64 s[52:53], s[50:51], s[52:53]
	s_mov_b64 exec, s[52:53]
	s_cbranch_execz .LBB29_91
; %bb.90:                               ;   in Loop: Header=BB29_14 Depth=1
	ds_write_b64 v3, v[6:7] offset:512
.LBB29_91:                              ;   in Loop: Header=BB29_14 Depth=1
	s_or_b64 exec, exec, s[50:51]
	s_mov_b64 s[50:51], exec
	v_readlane_b32 s52, v255, 16
	v_readlane_b32 s53, v255, 17
	s_and_b64 s[52:53], s[50:51], s[52:53]
	s_mov_b64 exec, s[52:53]
	s_cbranch_execz .LBB29_93
; %bb.92:                               ;   in Loop: Header=BB29_14 Depth=1
	v_mov_b32_e32 v3, v7
	v_accvgpr_read_b32 v6, a50
	v_accvgpr_read_b32 v7, a51
	global_store_dwordx2 v[6:7], v[2:3], off
.LBB29_93:                              ;   in Loop: Header=BB29_14 Depth=1
	s_or_b64 exec, exec, s[50:51]
.LBB29_94:                              ;   in Loop: Header=BB29_14 Depth=1
	s_or_b64 exec, exec, s[48:49]
	ds_write2_b32 v105, v8, v1 offset1:1
	ds_write2_b32 v105, v10, v9 offset0:8 offset1:9
	ds_write2_b32 v105, v12, v11 offset0:16 offset1:17
	;; [unrolled: 1-line block ×15, first 2 shown]
	s_waitcnt lgkmcnt(0)
	s_barrier
	s_mov_b64 s[48:49], exec
	v_readlane_b32 s50, v255, 12
	v_readlane_b32 s51, v255, 13
	s_and_b64 s[50:51], s[48:49], s[50:51]
	s_mov_b64 exec, s[50:51]
	s_cbranch_execz .LBB29_172
; %bb.95:                               ;   in Loop: Header=BB29_14 Depth=1
	v_accvgpr_read_b32 v1, a53
	v_add_u32_e32 v1, s44, v1
	v_cmp_gt_i32_e32 vcc, s76, v1
	v_mov_b32_e32 v2, 0x47
	s_and_saveexec_b64 s[50:51], vcc
	s_cbranch_execz .LBB29_97
; %bb.96:                               ;   in Loop: Header=BB29_14 Depth=1
	v_accvgpr_read_b32 v2, a81
	v_add_u32_e32 v2, 0, v2
	v_accvgpr_read_b32 v6, a80
	ds_read2st64_b32 v[2:3], v2 offset0:2 offset1:35
	ds_read2st64_b32 v[4:5], v6 offset1:1
	ds_read_b32 v10, v6 offset:8448
	v_readlane_b32 s52, v255, 2
	v_mad_u64_u32 v[6:7], s[52:53], s52, v1, v[100:101]
	s_waitcnt lgkmcnt(1)
	v_cvt_f32_f16_sdwa v9, v4 dst_sel:DWORD dst_unused:UNUSED_PAD src0_sel:WORD_1
	v_cvt_f32_f16_e32 v8, v4
	v_ashrrev_i32_e32 v7, 31, v6
	s_waitcnt lgkmcnt(0)
	v_cvt_f32_f16_sdwa v11, v10 dst_sel:DWORD dst_unused:UNUSED_PAD src0_sel:WORD_1
	v_cvt_f32_f16_e32 v10, v10
	v_lshlrev_b64 v[6:7], 3, v[6:7]
	v_add_co_u32_e32 v6, vcc, s75, v6
	v_mov_b32_e32 v1, s74
	v_addc_co_u32_e32 v7, vcc, v1, v7, vcc
	v_pk_fma_f32 v[8:9], v[2:3], v[8:9], 0 op_sel_hi:[0,1,0]
	v_mov_b32_e32 v4, v3
	v_accvgpr_read_b32 v1, a82
	v_pk_fma_f32 v[8:9], v[4:5], v[10:11], v[8:9] op_sel_hi:[0,1,1]
	ds_read_b32 v1, v1 offset:8448
	global_store_dwordx2 v[6:7], v[8:9], off
	v_cvt_f32_f16_sdwa v9, v5 dst_sel:DWORD dst_unused:UNUSED_PAD src0_sel:WORD_1
	v_cvt_f32_f16_e32 v8, v5
	v_pk_fma_f32 v[2:3], v[2:3], v[8:9], 0 op_sel_hi:[0,1,0]
	s_waitcnt lgkmcnt(0)
	v_cvt_f32_f16_sdwa v9, v1 dst_sel:DWORD dst_unused:UNUSED_PAD src0_sel:WORD_1
	v_cvt_f32_f16_e32 v8, v1
	v_pk_fma_f32 v[2:3], v[4:5], v[8:9], v[2:3] op_sel_hi:[0,1,1]
	global_store_dwordx2 v[6:7], v[2:3], off offset:512
	v_mov_b32_e32 v2, 0
.LBB29_97:                              ;   in Loop: Header=BB29_14 Depth=1
	s_or_b64 exec, exec, s[50:51]
	s_movk_i32 s50, 0x47
	v_cmp_gt_i32_e32 vcc, s50, v2
	s_mov_b64 s[50:51], -1
	s_and_saveexec_b64 s[52:53], vcc
; %bb.98:                               ;   in Loop: Header=BB29_14 Depth=1
	v_cmp_eq_u32_e32 vcc, 0, v2
	s_orn2_b64 s[50:51], vcc, exec
; %bb.99:                               ;   in Loop: Header=BB29_14 Depth=1
	s_or_b64 exec, exec, s[52:53]
	s_and_b64 exec, exec, s[50:51]
	s_cbranch_execz .LBB29_172
; %bb.100:                              ;   in Loop: Header=BB29_14 Depth=1
	v_accvgpr_read_b32 v1, a54
	v_add_u32_e32 v1, s44, v1
	v_cmp_gt_i32_e32 vcc, s76, v1
	v_mov_b32_e32 v2, 0x47
	s_and_saveexec_b64 s[50:51], vcc
	s_cbranch_execz .LBB29_102
; %bb.101:                              ;   in Loop: Header=BB29_14 Depth=1
	v_accvgpr_read_b32 v2, a84
	v_add_u32_e32 v2, 0, v2
	v_accvgpr_read_b32 v6, a83
	ds_read2st64_b32 v[2:3], v2 offset0:2 offset1:35
	ds_read2st64_b32 v[4:5], v6 offset1:1
	ds_read_b32 v10, v6 offset:8448
	v_readlane_b32 s52, v255, 2
	v_mad_u64_u32 v[6:7], s[52:53], s52, v1, v[100:101]
	s_waitcnt lgkmcnt(1)
	v_cvt_f32_f16_sdwa v9, v4 dst_sel:DWORD dst_unused:UNUSED_PAD src0_sel:WORD_1
	v_cvt_f32_f16_e32 v8, v4
	v_ashrrev_i32_e32 v7, 31, v6
	s_waitcnt lgkmcnt(0)
	v_cvt_f32_f16_sdwa v11, v10 dst_sel:DWORD dst_unused:UNUSED_PAD src0_sel:WORD_1
	v_cvt_f32_f16_e32 v10, v10
	v_lshlrev_b64 v[6:7], 3, v[6:7]
	v_add_co_u32_e32 v6, vcc, s75, v6
	v_mov_b32_e32 v1, s74
	v_addc_co_u32_e32 v7, vcc, v1, v7, vcc
	v_pk_fma_f32 v[8:9], v[2:3], v[8:9], 0 op_sel_hi:[0,1,0]
	v_mov_b32_e32 v4, v3
	v_accvgpr_read_b32 v1, a85
	v_pk_fma_f32 v[8:9], v[4:5], v[10:11], v[8:9] op_sel_hi:[0,1,1]
	ds_read_b32 v1, v1 offset:8448
	global_store_dwordx2 v[6:7], v[8:9], off
	v_cvt_f32_f16_sdwa v9, v5 dst_sel:DWORD dst_unused:UNUSED_PAD src0_sel:WORD_1
	v_cvt_f32_f16_e32 v8, v5
	v_pk_fma_f32 v[2:3], v[2:3], v[8:9], 0 op_sel_hi:[0,1,0]
	s_waitcnt lgkmcnt(0)
	v_cvt_f32_f16_sdwa v9, v1 dst_sel:DWORD dst_unused:UNUSED_PAD src0_sel:WORD_1
	v_cvt_f32_f16_e32 v8, v1
	v_pk_fma_f32 v[2:3], v[4:5], v[8:9], v[2:3] op_sel_hi:[0,1,1]
	global_store_dwordx2 v[6:7], v[2:3], off offset:512
	v_mov_b32_e32 v2, 0
.LBB29_102:                             ;   in Loop: Header=BB29_14 Depth=1
	s_or_b64 exec, exec, s[50:51]
	s_movk_i32 s50, 0x47
	v_cmp_gt_i32_e32 vcc, s50, v2
	s_mov_b64 s[50:51], -1
	s_and_saveexec_b64 s[52:53], vcc
; %bb.103:                              ;   in Loop: Header=BB29_14 Depth=1
	v_cmp_eq_u32_e32 vcc, 0, v2
	s_orn2_b64 s[50:51], vcc, exec
; %bb.104:                              ;   in Loop: Header=BB29_14 Depth=1
	s_or_b64 exec, exec, s[52:53]
	s_and_b64 exec, exec, s[50:51]
	s_cbranch_execz .LBB29_172
; %bb.105:                              ;   in Loop: Header=BB29_14 Depth=1
	v_accvgpr_read_b32 v1, a55
	v_add_u32_e32 v1, s44, v1
	v_cmp_gt_i32_e32 vcc, s76, v1
	v_mov_b32_e32 v2, 0x47
	s_and_saveexec_b64 s[50:51], vcc
	s_cbranch_execz .LBB29_107
; %bb.106:                              ;   in Loop: Header=BB29_14 Depth=1
	v_accvgpr_read_b32 v2, a87
	v_add_u32_e32 v2, 0, v2
	v_accvgpr_read_b32 v6, a86
	ds_read2st64_b32 v[2:3], v2 offset0:2 offset1:35
	ds_read2st64_b32 v[4:5], v6 offset1:1
	ds_read_b32 v10, v6 offset:8448
	v_readlane_b32 s52, v255, 2
	v_mad_u64_u32 v[6:7], s[52:53], s52, v1, v[100:101]
	s_waitcnt lgkmcnt(1)
	v_cvt_f32_f16_sdwa v9, v4 dst_sel:DWORD dst_unused:UNUSED_PAD src0_sel:WORD_1
	v_cvt_f32_f16_e32 v8, v4
	v_ashrrev_i32_e32 v7, 31, v6
	s_waitcnt lgkmcnt(0)
	v_cvt_f32_f16_sdwa v11, v10 dst_sel:DWORD dst_unused:UNUSED_PAD src0_sel:WORD_1
	v_cvt_f32_f16_e32 v10, v10
	v_lshlrev_b64 v[6:7], 3, v[6:7]
	v_add_co_u32_e32 v6, vcc, s75, v6
	v_mov_b32_e32 v1, s74
	v_addc_co_u32_e32 v7, vcc, v1, v7, vcc
	v_pk_fma_f32 v[8:9], v[2:3], v[8:9], 0 op_sel_hi:[0,1,0]
	v_mov_b32_e32 v4, v3
	v_accvgpr_read_b32 v1, a88
	v_pk_fma_f32 v[8:9], v[4:5], v[10:11], v[8:9] op_sel_hi:[0,1,1]
	ds_read_b32 v1, v1 offset:8448
	global_store_dwordx2 v[6:7], v[8:9], off
	v_cvt_f32_f16_sdwa v9, v5 dst_sel:DWORD dst_unused:UNUSED_PAD src0_sel:WORD_1
	v_cvt_f32_f16_e32 v8, v5
	v_pk_fma_f32 v[2:3], v[2:3], v[8:9], 0 op_sel_hi:[0,1,0]
	s_waitcnt lgkmcnt(0)
	v_cvt_f32_f16_sdwa v9, v1 dst_sel:DWORD dst_unused:UNUSED_PAD src0_sel:WORD_1
	v_cvt_f32_f16_e32 v8, v1
	v_pk_fma_f32 v[2:3], v[4:5], v[8:9], v[2:3] op_sel_hi:[0,1,1]
	global_store_dwordx2 v[6:7], v[2:3], off offset:512
	v_mov_b32_e32 v2, 0
.LBB29_107:                             ;   in Loop: Header=BB29_14 Depth=1
	s_or_b64 exec, exec, s[50:51]
	s_movk_i32 s50, 0x47
	v_cmp_gt_i32_e32 vcc, s50, v2
	s_mov_b64 s[50:51], -1
	s_and_saveexec_b64 s[52:53], vcc
; %bb.108:                              ;   in Loop: Header=BB29_14 Depth=1
	v_cmp_eq_u32_e32 vcc, 0, v2
	s_orn2_b64 s[50:51], vcc, exec
; %bb.109:                              ;   in Loop: Header=BB29_14 Depth=1
	;; [unrolled: 55-line block ×14, first 2 shown]
	s_or_b64 exec, exec, s[52:53]
	s_and_b64 exec, exec, s[50:51]
	s_cbranch_execz .LBB29_172
; %bb.170:                              ;   in Loop: Header=BB29_14 Depth=1
	v_accvgpr_read_b32 v1, a67
	v_add_u32_e32 v1, s44, v1
	v_cmp_gt_i32_e32 vcc, s76, v1
	s_and_b64 exec, exec, vcc
	s_cbranch_execz .LBB29_172
; %bb.171:                              ;   in Loop: Header=BB29_14 Depth=1
	v_accvgpr_read_b32 v2, a125
	v_add_u32_e32 v2, 0, v2
	v_accvgpr_read_b32 v6, a126
	ds_read2st64_b32 v[2:3], v2 offset0:2 offset1:35
	ds_read2st64_b32 v[4:5], v6 offset1:1
	ds_read_b32 v10, v6 offset:8448
	v_readlane_b32 s44, v255, 2
	v_mad_u64_u32 v[6:7], s[50:51], s44, v1, v[100:101]
	s_waitcnt lgkmcnt(1)
	v_cvt_f32_f16_sdwa v9, v4 dst_sel:DWORD dst_unused:UNUSED_PAD src0_sel:WORD_1
	v_cvt_f32_f16_e32 v8, v4
	v_ashrrev_i32_e32 v7, 31, v6
	s_waitcnt lgkmcnt(0)
	v_cvt_f32_f16_sdwa v11, v10 dst_sel:DWORD dst_unused:UNUSED_PAD src0_sel:WORD_1
	v_cvt_f32_f16_e32 v10, v10
	v_lshlrev_b64 v[6:7], 3, v[6:7]
	v_add_co_u32_e32 v6, vcc, s75, v6
	v_mov_b32_e32 v1, s74
	v_addc_co_u32_e32 v7, vcc, v1, v7, vcc
	v_pk_fma_f32 v[8:9], v[2:3], v[8:9], 0 op_sel_hi:[0,1,0]
	v_mov_b32_e32 v4, v3
	v_accvgpr_read_b32 v1, a127
	v_pk_fma_f32 v[8:9], v[4:5], v[10:11], v[8:9] op_sel_hi:[0,1,1]
	ds_read_b32 v1, v1 offset:8448
	global_store_dwordx2 v[6:7], v[8:9], off
	v_cvt_f32_f16_sdwa v9, v5 dst_sel:DWORD dst_unused:UNUSED_PAD src0_sel:WORD_1
	v_cvt_f32_f16_e32 v8, v5
	v_pk_fma_f32 v[2:3], v[2:3], v[8:9], 0 op_sel_hi:[0,1,0]
	s_waitcnt lgkmcnt(0)
	v_cvt_f32_f16_sdwa v9, v1 dst_sel:DWORD dst_unused:UNUSED_PAD src0_sel:WORD_1
	v_cvt_f32_f16_e32 v8, v1
	v_pk_fma_f32 v[2:3], v[4:5], v[8:9], v[2:3] op_sel_hi:[0,1,1]
	global_store_dwordx2 v[6:7], v[2:3], off offset:512
.LBB29_172:                             ;   in Loop: Header=BB29_14 Depth=1
	s_or_b64 exec, exec, s[48:49]
	s_barrier
	s_branch .LBB29_319
.LBB29_173:                             ;   in Loop: Header=BB29_14 Depth=1
	s_lshl_b32 s94, s59, 5
	v_accvgpr_write_b32 a39, v249
	v_add_u32_e32 v249, s94, v165
	v_accvgpr_write_b32 a38, v247
	v_accvgpr_write_b32 a37, v233
	;; [unrolled: 1-line block ×6, first 2 shown]
	v_cmp_le_i32_e32 vcc, s76, v249
	s_and_saveexec_b64 s[48:49], vcc
	s_xor_b64 s[48:49], exec, s[48:49]
	s_cbranch_execz .LBB29_175
; %bb.174:                              ;   in Loop: Header=BB29_14 Depth=1
	ds_write2st64_b32 v118, v203, v203 offset1:1
.LBB29_175:                             ;   in Loop: Header=BB29_14 Depth=1
	s_andn2_saveexec_b64 s[48:49], s[48:49]
	s_cbranch_execz .LBB29_177
; %bb.176:                              ;   in Loop: Header=BB29_14 Depth=1
	v_readlane_b32 s44, v254, 23
	v_mad_u64_u32 v[2:3], s[50:51], v249, s44, v[100:101]
	v_ashrrev_i32_e32 v3, 31, v2
	v_lshlrev_b64 v[2:3], 3, v[2:3]
	v_add_co_u32_e32 v2, vcc, s83, v2
	v_mov_b32_e32 v1, s42
	v_addc_co_u32_e32 v3, vcc, v1, v3, vcc
	global_load_dwordx2 v[4:5], v[2:3], off
	s_waitcnt vmcnt(0)
	v_cvt_f16_f32_e32 v1, v4
	global_load_dwordx2 v[2:3], v[2:3], off offset:512
	v_cvt_f16_f32_e32 v4, v5
	v_pack_b32_f16 v1, v1, v4
	v_pk_mul_f16 v1, v166, v1
	s_waitcnt vmcnt(0)
	v_cvt_f16_f32_e32 v2, v2
	v_cvt_f16_f32_e32 v3, v3
	v_pack_b32_f16 v2, v2, v3
	v_pk_mul_f16 v2, v166, v2
	ds_write2st64_b32 v118, v1, v2 offset1:1
.LBB29_177:                             ;   in Loop: Header=BB29_14 Depth=1
	s_or_b64 exec, exec, s[48:49]
	v_add_u32_e32 v251, s94, v191
	v_cmp_le_i32_e32 vcc, s76, v251
	s_and_saveexec_b64 s[48:49], vcc
	s_xor_b64 s[48:49], exec, s[48:49]
	s_cbranch_execz .LBB29_179
; %bb.178:                              ;   in Loop: Header=BB29_14 Depth=1
	ds_write2st64_b32 v144, v203, v203 offset1:1
.LBB29_179:                             ;   in Loop: Header=BB29_14 Depth=1
	s_andn2_saveexec_b64 s[48:49], s[48:49]
	s_cbranch_execz .LBB29_181
; %bb.180:                              ;   in Loop: Header=BB29_14 Depth=1
	v_readlane_b32 s44, v254, 23
	v_mad_u64_u32 v[2:3], s[50:51], v251, s44, v[100:101]
	v_ashrrev_i32_e32 v3, 31, v2
	v_lshlrev_b64 v[2:3], 3, v[2:3]
	v_add_co_u32_e32 v2, vcc, s83, v2
	v_mov_b32_e32 v1, s42
	v_addc_co_u32_e32 v3, vcc, v1, v3, vcc
	global_load_dwordx2 v[4:5], v[2:3], off
	s_waitcnt vmcnt(0)
	v_cvt_f16_f32_e32 v1, v4
	global_load_dwordx2 v[2:3], v[2:3], off offset:512
	v_cvt_f16_f32_e32 v4, v5
	v_pack_b32_f16 v1, v1, v4
	v_pk_mul_f16 v1, v166, v1
	s_waitcnt vmcnt(0)
	v_cvt_f16_f32_e32 v2, v2
	v_cvt_f16_f32_e32 v3, v3
	v_pack_b32_f16 v2, v2, v3
	v_pk_mul_f16 v2, v166, v2
	ds_write2st64_b32 v144, v1, v2 offset1:1
.LBB29_181:                             ;   in Loop: Header=BB29_14 Depth=1
	s_or_b64 exec, exec, s[48:49]
	v_add_u32_e32 v218, s94, v190
	v_cmp_le_i32_e32 vcc, s76, v218
	s_and_saveexec_b64 s[48:49], vcc
	s_xor_b64 s[48:49], exec, s[48:49]
	s_cbranch_execz .LBB29_183
; %bb.182:                              ;   in Loop: Header=BB29_14 Depth=1
	v_add_u32_e32 v1, 64, v144
	ds_write2st64_b32 v1, v203, v203 offset0:8 offset1:9
.LBB29_183:                             ;   in Loop: Header=BB29_14 Depth=1
	s_andn2_saveexec_b64 s[48:49], s[48:49]
	s_cbranch_execz .LBB29_185
; %bb.184:                              ;   in Loop: Header=BB29_14 Depth=1
	v_readlane_b32 s44, v254, 23
	v_mad_u64_u32 v[2:3], s[50:51], v218, s44, v[100:101]
	v_ashrrev_i32_e32 v3, 31, v2
	v_lshlrev_b64 v[2:3], 3, v[2:3]
	v_add_co_u32_e32 v2, vcc, s83, v2
	v_mov_b32_e32 v1, s42
	v_addc_co_u32_e32 v3, vcc, v1, v3, vcc
	global_load_dwordx2 v[4:5], v[2:3], off
	s_waitcnt vmcnt(0)
	v_cvt_f16_f32_e32 v1, v4
	global_load_dwordx2 v[2:3], v[2:3], off offset:512
	v_cvt_f16_f32_e32 v4, v5
	v_pack_b32_f16 v1, v1, v4
	v_pk_mul_f16 v1, v166, v1
	s_waitcnt vmcnt(0)
	v_cvt_f16_f32_e32 v2, v2
	v_cvt_f16_f32_e32 v3, v3
	v_pack_b32_f16 v2, v2, v3
	v_pk_mul_f16 v2, v166, v2
	v_add_u32_e32 v3, 64, v144
	ds_write2st64_b32 v3, v1, v2 offset0:8 offset1:9
.LBB29_185:                             ;   in Loop: Header=BB29_14 Depth=1
	s_or_b64 exec, exec, s[48:49]
	v_add_u32_e32 v220, s94, v187
	v_cmp_le_i32_e32 vcc, s76, v220
	s_and_saveexec_b64 s[48:49], vcc
	s_xor_b64 s[48:49], exec, s[48:49]
	s_cbranch_execz .LBB29_187
; %bb.186:                              ;   in Loop: Header=BB29_14 Depth=1
	v_add_u32_e32 v1, 0x80, v144
	ds_write2st64_b32 v1, v203, v203 offset0:16 offset1:17
.LBB29_187:                             ;   in Loop: Header=BB29_14 Depth=1
	s_andn2_saveexec_b64 s[48:49], s[48:49]
	s_cbranch_execz .LBB29_189
; %bb.188:                              ;   in Loop: Header=BB29_14 Depth=1
	v_readlane_b32 s44, v254, 23
	v_mad_u64_u32 v[2:3], s[50:51], v220, s44, v[100:101]
	v_ashrrev_i32_e32 v3, 31, v2
	v_lshlrev_b64 v[2:3], 3, v[2:3]
	v_add_co_u32_e32 v2, vcc, s83, v2
	v_mov_b32_e32 v1, s42
	v_addc_co_u32_e32 v3, vcc, v1, v3, vcc
	global_load_dwordx2 v[4:5], v[2:3], off
	s_waitcnt vmcnt(0)
	v_cvt_f16_f32_e32 v1, v4
	global_load_dwordx2 v[2:3], v[2:3], off offset:512
	v_cvt_f16_f32_e32 v4, v5
	v_pack_b32_f16 v1, v1, v4
	v_pk_mul_f16 v1, v166, v1
	s_waitcnt vmcnt(0)
	v_cvt_f16_f32_e32 v2, v2
	v_cvt_f16_f32_e32 v3, v3
	v_pack_b32_f16 v2, v2, v3
	v_pk_mul_f16 v2, v166, v2
	v_add_u32_e32 v3, 0x80, v144
	ds_write2st64_b32 v3, v1, v2 offset0:16 offset1:17
.LBB29_189:                             ;   in Loop: Header=BB29_14 Depth=1
	;; [unrolled: 35-line block ×3, first 2 shown]
	s_or_b64 exec, exec, s[48:49]
	v_add_u32_e32 v225, s94, v181
	v_cmp_le_i32_e32 vcc, s76, v225
	s_and_saveexec_b64 s[48:49], vcc
	s_xor_b64 s[48:49], exec, s[48:49]
	s_cbranch_execz .LBB29_195
; %bb.194:                              ;   in Loop: Header=BB29_14 Depth=1
	ds_write2st64_b32 v144, v203, v203 offset0:33 offset1:34
.LBB29_195:                             ;   in Loop: Header=BB29_14 Depth=1
	s_andn2_saveexec_b64 s[48:49], s[48:49]
	s_cbranch_execz .LBB29_197
; %bb.196:                              ;   in Loop: Header=BB29_14 Depth=1
	v_readlane_b32 s44, v254, 23
	v_mad_u64_u32 v[2:3], s[50:51], v225, s44, v[100:101]
	v_ashrrev_i32_e32 v3, 31, v2
	v_lshlrev_b64 v[2:3], 3, v[2:3]
	v_add_co_u32_e32 v2, vcc, s83, v2
	v_mov_b32_e32 v1, s42
	v_addc_co_u32_e32 v3, vcc, v1, v3, vcc
	global_load_dwordx2 v[4:5], v[2:3], off
	s_waitcnt vmcnt(0)
	v_cvt_f16_f32_e32 v1, v4
	global_load_dwordx2 v[2:3], v[2:3], off offset:512
	v_cvt_f16_f32_e32 v4, v5
	v_pack_b32_f16 v1, v1, v4
	v_pk_mul_f16 v1, v166, v1
	s_waitcnt vmcnt(0)
	v_cvt_f16_f32_e32 v2, v2
	v_cvt_f16_f32_e32 v3, v3
	v_pack_b32_f16 v2, v2, v3
	v_pk_mul_f16 v2, v166, v2
	ds_write2st64_b32 v144, v1, v2 offset0:33 offset1:34
.LBB29_197:                             ;   in Loop: Header=BB29_14 Depth=1
	s_or_b64 exec, exec, s[48:49]
	v_add_u32_e32 v197, s94, v180
	v_cmp_le_i32_e32 vcc, s76, v197
	s_and_saveexec_b64 s[48:49], vcc
	s_xor_b64 s[48:49], exec, s[48:49]
	s_cbranch_execz .LBB29_199
; %bb.198:                              ;   in Loop: Header=BB29_14 Depth=1
	v_add_u32_e32 v1, 64, v144
	ds_write2st64_b32 v1, v203, v203 offset0:41 offset1:42
.LBB29_199:                             ;   in Loop: Header=BB29_14 Depth=1
	s_andn2_saveexec_b64 s[48:49], s[48:49]
	s_cbranch_execz .LBB29_201
; %bb.200:                              ;   in Loop: Header=BB29_14 Depth=1
	v_readlane_b32 s44, v254, 23
	v_mad_u64_u32 v[2:3], s[50:51], v197, s44, v[100:101]
	v_ashrrev_i32_e32 v3, 31, v2
	v_lshlrev_b64 v[2:3], 3, v[2:3]
	v_add_co_u32_e32 v2, vcc, s83, v2
	v_mov_b32_e32 v1, s42
	v_addc_co_u32_e32 v3, vcc, v1, v3, vcc
	global_load_dwordx2 v[4:5], v[2:3], off
	s_waitcnt vmcnt(0)
	v_cvt_f16_f32_e32 v1, v4
	global_load_dwordx2 v[2:3], v[2:3], off offset:512
	v_cvt_f16_f32_e32 v4, v5
	v_pack_b32_f16 v1, v1, v4
	v_pk_mul_f16 v1, v166, v1
	s_waitcnt vmcnt(0)
	v_cvt_f16_f32_e32 v2, v2
	v_cvt_f16_f32_e32 v3, v3
	v_pack_b32_f16 v2, v2, v3
	v_pk_mul_f16 v2, v166, v2
	v_add_u32_e32 v3, 64, v144
	ds_write2st64_b32 v3, v1, v2 offset0:41 offset1:42
.LBB29_201:                             ;   in Loop: Header=BB29_14 Depth=1
	s_or_b64 exec, exec, s[48:49]
	v_add_u32_e32 v113, s94, v171
	v_cmp_le_i32_e32 vcc, s76, v113
	s_and_saveexec_b64 s[48:49], vcc
	s_xor_b64 s[48:49], exec, s[48:49]
	s_cbranch_execz .LBB29_203
; %bb.202:                              ;   in Loop: Header=BB29_14 Depth=1
	v_add_u32_e32 v1, 0x80, v144
	ds_write2st64_b32 v1, v203, v203 offset0:49 offset1:50
.LBB29_203:                             ;   in Loop: Header=BB29_14 Depth=1
	s_andn2_saveexec_b64 s[48:49], s[48:49]
	s_cbranch_execz .LBB29_205
; %bb.204:                              ;   in Loop: Header=BB29_14 Depth=1
	v_readlane_b32 s44, v254, 23
	v_mad_u64_u32 v[2:3], s[50:51], v113, s44, v[100:101]
	v_ashrrev_i32_e32 v3, 31, v2
	v_lshlrev_b64 v[2:3], 3, v[2:3]
	v_add_co_u32_e32 v2, vcc, s83, v2
	v_mov_b32_e32 v1, s42
	v_addc_co_u32_e32 v3, vcc, v1, v3, vcc
	global_load_dwordx2 v[4:5], v[2:3], off
	s_waitcnt vmcnt(0)
	v_cvt_f16_f32_e32 v1, v4
	global_load_dwordx2 v[2:3], v[2:3], off offset:512
	v_cvt_f16_f32_e32 v4, v5
	v_pack_b32_f16 v1, v1, v4
	v_pk_mul_f16 v1, v166, v1
	s_waitcnt vmcnt(0)
	v_cvt_f16_f32_e32 v2, v2
	v_cvt_f16_f32_e32 v3, v3
	v_pack_b32_f16 v2, v2, v3
	v_pk_mul_f16 v2, v166, v2
	v_add_u32_e32 v3, 0x80, v144
	ds_write2st64_b32 v3, v1, v2 offset0:49 offset1:50
.LBB29_205:                             ;   in Loop: Header=BB29_14 Depth=1
	s_or_b64 exec, exec, s[48:49]
	s_waitcnt lgkmcnt(0)
	s_barrier
	ds_read2_b64 v[30:33], v102 offset1:4
	ds_read2_b64 v[26:29], v102 offset0:8 offset1:12
	ds_read2_b64 v[22:25], v102 offset0:16 offset1:20
	;; [unrolled: 1-line block ×7, first 2 shown]
	v_accvgpr_write_b32 a33, v232
	v_accvgpr_write_b32 a32, v231
	;; [unrolled: 1-line block ×19, first 2 shown]
	s_mov_b32 s42, 0
	s_cmp_lt_i32 s40, 2
	v_mov_b32_e32 v138, 0
	v_cmp_ne_u64_e64 s[48:49], 0, v[86:87]
	s_waitcnt lgkmcnt(0)
	s_barrier
	s_cbranch_scc1 .LBB29_216
; %bb.206:                              ;   in Loop: Header=BB29_14 Depth=1
	v_readlane_b32 s50, v254, 14
	v_mul_hi_u32 v1, s50, v249
	v_readlane_b32 s51, v254, 15
	v_add_u32_e32 v1, v249, v1
	v_lshrrev_b32_e32 v1, s51, v1
	v_mul_lo_u32 v1, v1, s76
	v_sub_u32_e32 v34, v249, v1
	v_mul_hi_u32 v1, s50, v251
	v_add_u32_e32 v1, v251, v1
	v_lshrrev_b32_e32 v1, s51, v1
	v_mul_lo_u32 v1, v1, s76
	v_sub_u32_e32 v35, v251, v1
	v_mul_hi_u32 v1, s50, v218
	;; [unrolled: 5-line block ×7, first 2 shown]
	v_add_u32_e32 v1, v113, v1
	v_lshrrev_b32_e32 v1, s51, v1
	v_mul_lo_u32 v1, v1, s76
	v_sub_u32_e32 v41, v113, v1
	v_and_b32_e32 v1, 64, v123
	v_add_u32_e32 v1, 64, v1
	v_xor_b32_e32 v42, 32, v123
	v_cmp_lt_i32_e32 vcc, v42, v1
	v_cndmask_b32_e32 v42, v123, v42, vcc
	s_add_i32 s42, s40, -1
	v_lshlrev_b32_e32 v140, 2, v42
	v_xor_b32_e32 v42, 16, v123
	v_readlane_b32 s40, v255, 28
	v_readlane_b32 s44, v255, 30
	v_cmp_lt_i32_e32 vcc, v42, v1
	s_add_u32 s44, s40, s44
	v_readlane_b32 s40, v255, 29
	v_readlane_b32 s50, v255, 31
	v_cndmask_b32_e32 v1, v123, v42, vcc
	s_addc_u32 s50, s40, s50
	v_accvgpr_read_b32 v42, a128
	v_lshlrev_b32_e32 v141, 2, v1
	v_mov_b32_e32 v1, s50
	v_add_co_u32_e32 v90, vcc, s44, v42
	v_accvgpr_read_b32 v42, a129
	v_addc_co_u32_e32 v1, vcc, v42, v1, vcc
	v_accvgpr_read_b32 v43, a130
	v_mov_b32_e32 v42, s50
	v_add_co_u32_e32 v92, vcc, s44, v43
	v_accvgpr_read_b32 v43, a131
	v_addc_co_u32_e32 v43, vcc, v43, v42, vcc
	v_accvgpr_read_b32 v44, a132
	v_add_co_u32_e32 v94, vcc, s44, v44
	v_accvgpr_read_b32 v44, a133
	v_addc_co_u32_e32 v45, vcc, v44, v42, vcc
	v_accvgpr_read_b32 v44, a134
	;; [unrolled: 4-line block ×6, first 2 shown]
	v_add_co_u32_e32 v104, vcc, s44, v44
	v_readlane_b32 s40, v255, 32
	v_readlane_b32 s44, v255, 34
	v_accvgpr_read_b32 v44, a143
	s_add_u32 s44, s40, s44
	v_readlane_b32 s40, v255, 33
	v_readlane_b32 s50, v255, 35
	v_addc_co_u32_e32 v95, vcc, v44, v42, vcc
	s_addc_u32 s50, s40, s50
	v_accvgpr_read_b32 v44, a144
	v_mov_b32_e32 v42, s50
	v_add_co_u32_e32 v106, vcc, s44, v44
	v_accvgpr_read_b32 v44, a145
	v_addc_co_u32_e32 v97, vcc, v44, v42, vcc
	v_accvgpr_read_b32 v44, a146
	v_add_co_u32_e32 v108, vcc, s44, v44
	v_accvgpr_read_b32 v44, a147
	v_addc_co_u32_e32 v99, vcc, v44, v42, vcc
	v_accvgpr_read_b32 v44, a148
	;; [unrolled: 4-line block ×7, first 2 shown]
	v_readlane_b32 s50, v255, 22
	v_add_co_u32_e32 v120, vcc, s44, v44
	v_accvgpr_read_b32 v44, a159
	v_readlane_b32 s51, v255, 23
	s_mov_b32 s40, s50
	v_mov_b32_e32 v232, 0
	v_mov_b32_e32 v88, v84
	v_mov_b32_e32 v89, v84
	v_addc_co_u32_e32 v111, vcc, v44, v42, vcc
	v_mad_i64_i32 v[122:123], s[50:51], s40, v37, v[86:87]
	v_mad_i64_i32 v[124:125], s[50:51], s40, v36, v[86:87]
	;; [unrolled: 1-line block ×8, first 2 shown]
	v_mov_b32_e32 v163, 0
	v_mov_b32_e32 v165, 0xfeffffff
	s_mov_b32 s44, s42
	v_mov_b32_e32 v168, 0
	v_mov_b32_e32 v202, 0
	;; [unrolled: 1-line block ×31, first 2 shown]
	v_cndmask_b32_e64 v34, 0, 1, s[48:49]
	v_cmp_ne_u32_e64 s[50:51], 1, v34
	s_andn2_b64 vcc, exec, s[48:49]
	s_cbranch_vccnz .LBB29_212
.LBB29_207:                             ;   in Loop: Header=BB29_14 Depth=1
                                        ; implicit-def: $sgpr54
	s_and_saveexec_b64 s[52:53], s[80:81]
	s_xor_b64 s[52:53], exec, s[52:53]
	s_cbranch_execz .LBB29_209
; %bb.208:                              ;   in Loop: Header=BB29_14 Depth=1
	v_accvgpr_read_b32 v34, a69
	ds_write_b16 v34, v203 offset:33792
	v_accvgpr_read_b32 v34, a161
	ds_write_b16 v34, v203 offset:33792
	;; [unrolled: 2-line block ×4, first 2 shown]
	s_mov_b32 s54, 0
.LBB29_209:                             ;   in Loop: Header=BB29_14 Depth=1
	s_or_saveexec_b64 s[52:53], s[52:53]
	v_mov_b32_e32 v34, s54
	v_mov_b32_e32 v35, s54
	;; [unrolled: 1-line block ×4, first 2 shown]
	s_xor_b64 exec, exec, s[52:53]
	s_cbranch_execz .LBB29_211
; %bb.210:                              ;   in Loop: Header=BB29_14 Depth=1
	v_add_co_u32_e32 v34, vcc, v128, v48
	v_addc_co_u32_e32 v35, vcc, 0, v129, vcc
	flat_load_ushort v36, v[34:35]
	v_add_co_u32_e32 v34, vcc, v126, v48
	v_addc_co_u32_e32 v35, vcc, 0, v127, vcc
	flat_load_ushort v37, v[34:35]
	;; [unrolled: 3-line block ×4, first 2 shown]
	v_accvgpr_read_b32 v35, a69
	s_waitcnt vmcnt(0) lgkmcnt(0)
	ds_write_b16 v35, v36 offset:33792
	v_accvgpr_read_b32 v35, a161
	ds_write_b16 v35, v37 offset:33792
	v_accvgpr_read_b32 v35, a162
	;; [unrolled: 2-line block ×3, first 2 shown]
	ds_write_b16 v35, v34 offset:33792
	v_add_co_u32_e32 v34, vcc, v136, v48
	v_addc_co_u32_e32 v35, vcc, 0, v137, vcc
	v_add_co_u32_e32 v36, vcc, v134, v48
	v_addc_co_u32_e32 v37, vcc, 0, v135, vcc
	flat_load_ushort v34, v[34:35]
	s_nop 0
	flat_load_ushort v35, v[36:37]
	v_add_co_u32_e32 v36, vcc, v132, v48
	v_addc_co_u32_e32 v37, vcc, 0, v133, vcc
	v_add_co_u32_e32 v38, vcc, v130, v48
	v_addc_co_u32_e32 v39, vcc, 0, v131, vcc
	flat_load_ushort v36, v[36:37]
	s_nop 0
	flat_load_ushort v37, v[38:39]
.LBB29_211:                             ;   in Loop: Header=BB29_14 Depth=1
	s_or_b64 exec, exec, s[52:53]
	v_accvgpr_read_b32 v38, a164
	s_waitcnt vmcnt(0) lgkmcnt(0)
	ds_write_b16 v38, v34 offset:33792
	v_accvgpr_read_b32 v34, a165
	ds_write_b16 v34, v35 offset:33792
	v_accvgpr_read_b32 v34, a166
	;; [unrolled: 2-line block ×3, first 2 shown]
	ds_write_b16 v34, v37 offset:33792
.LBB29_212:                             ;   Parent Loop BB29_14 Depth=1
                                        ; =>  This Inner Loop Header: Depth=2
	v_add_co_u32_e32 v34, vcc, v106, v82
	v_addc_co_u32_e32 v35, vcc, 0, v97, vcc
	v_mov_b32_e32 v40, s5
	v_mov_b32_e32 v41, s4
	buffer_store_dword v203, off, s[0:3], 0
	buffer_store_dword v203, off, s[0:3], 0 offset:4
	buffer_store_dword v203, off, s[0:3], 0 offset:8
	;; [unrolled: 1-line block ×3, first 2 shown]
	v_cndmask_b32_e64 v35, v40, v35, s[6:7]
	v_cndmask_b32_e64 v34, v41, v34, s[6:7]
	flat_load_dwordx4 v[34:37], v[34:35]
	v_add_co_u32_e32 v38, vcc, v108, v82
	v_addc_co_u32_e32 v39, vcc, 0, v99, vcc
	v_cndmask_b32_e64 v39, v40, v39, s[84:85]
	v_cndmask_b32_e64 v38, v41, v38, s[84:85]
	v_add_u32_e32 v85, 0x4000, v198
	s_waitcnt vmcnt(0) lgkmcnt(0)
	ds_write_b128 v148, v[34:37]
	flat_load_dwordx4 v[34:37], v[38:39]
	v_add_co_u32_e32 v38, vcc, v110, v82
	v_addc_co_u32_e32 v39, vcc, 0, v101, vcc
	v_cndmask_b32_e64 v39, v40, v39, s[10:11]
	v_cndmask_b32_e64 v38, v41, v38, s[10:11]
	s_waitcnt vmcnt(0) lgkmcnt(0)
	ds_write_b128 v117, v[34:37]
	flat_load_dwordx4 v[34:37], v[38:39]
	v_add_co_u32_e32 v38, vcc, v112, v82
	v_addc_co_u32_e32 v39, vcc, 0, v103, vcc
	v_cndmask_b32_e64 v39, v40, v39, s[12:13]
	v_cndmask_b32_e64 v38, v41, v38, s[12:13]
	;; [unrolled: 7-line block ×6, first 2 shown]
	s_and_b64 vcc, exec, s[50:51]
	s_waitcnt vmcnt(0) lgkmcnt(0)
	ds_write_b128 v246, v[34:37]
	flat_load_dwordx4 v[34:37], v[38:39]
	s_waitcnt vmcnt(0) lgkmcnt(0)
	ds_write_b128 v248, v[34:37]
	s_waitcnt lgkmcnt(0)
	s_barrier
	ds_read2_b64 v[34:37], v198 offset1:4
	ds_read2_b64 v[38:41], v85 offset0:64 offset1:68
	s_waitcnt lgkmcnt(1)
	v_mfma_f32_16x16x16f16 a[0:3], v[34:35], v[30:31], 0
	s_waitcnt lgkmcnt(0)
	v_mfma_f32_16x16x16f16 a[4:7], v[38:39], v[30:31], 0
	v_mfma_f32_16x16x16f16 a[0:3], v[36:37], v[32:33], a[0:3]
	ds_read2_b64 v[34:37], v198 offset0:8 offset1:12
	v_mfma_f32_16x16x16f16 a[4:7], v[40:41], v[32:33], a[4:7]
	ds_read2_b64 v[38:41], v85 offset0:72 offset1:76
	s_waitcnt lgkmcnt(1)
	v_mfma_f32_16x16x16f16 a[0:3], v[34:35], v[26:27], a[0:3]
	s_waitcnt lgkmcnt(0)
	v_mfma_f32_16x16x16f16 a[4:7], v[38:39], v[26:27], a[4:7]
	v_mfma_f32_16x16x16f16 a[0:3], v[36:37], v[28:29], a[0:3]
	ds_read2_b64 v[34:37], v198 offset0:16 offset1:20
	v_mfma_f32_16x16x16f16 a[4:7], v[40:41], v[28:29], a[4:7]
	;; [unrolled: 8-line block ×7, first 2 shown]
	ds_read2_b64 v[38:41], v85 offset0:120 offset1:124
	s_waitcnt lgkmcnt(0)
	s_barrier
	v_mfma_f32_16x16x16f16 a[0:3], v[34:35], v[2:3], a[0:3]
	v_mfma_f32_16x16x16f16 a[4:7], v[38:39], v[2:3], a[4:7]
	;; [unrolled: 1-line block ×4, first 2 shown]
	s_cbranch_vccnz .LBB29_214
; %bb.213:                              ;   in Loop: Header=BB29_212 Depth=2
	v_accvgpr_read_b32 v85, a70
	v_add_u32_e32 v85, 0x8400, v85
	ds_read2_b32 v[172:173], v85 offset1:1
	s_nop 5
	v_accvgpr_read_b32 v41, a3
	v_accvgpr_read_b32 v40, a2
	;; [unrolled: 1-line block ×4, first 2 shown]
	s_waitcnt lgkmcnt(0)
	v_cvt_f32_f16_e32 v174, v172
	v_cvt_f32_f16_sdwa v175, v172 dst_sel:DWORD dst_unused:UNUSED_PAD src0_sel:WORD_1
	v_cvt_f32_f16_e32 v172, v173
	v_cvt_f32_f16_sdwa v173, v173 dst_sel:DWORD dst_unused:UNUSED_PAD src0_sel:WORD_1
	v_mov_b32_e32 v85, v84
	v_pk_fma_f32 v[38:39], v[88:89], v[174:175], v[38:39]
	v_accvgpr_write_b32 a0, v38
	v_pk_fma_f32 v[40:41], v[84:85], v[172:173], v[40:41]
	v_accvgpr_write_b32 a2, v40
	v_accvgpr_read_b32 v38, a72
	v_accvgpr_read_b32 v40, a74
	ds_read_b32 v38, v38 offset:33792
	ds_read_b32 v40, v40 offset:33792
	v_accvgpr_write_b32 a1, v39
	v_accvgpr_write_b32 a3, v41
	v_accvgpr_read_b32 v37, a7
	s_waitcnt lgkmcnt(1)
	v_cvt_f32_f16_sdwa v39, v38 dst_sel:DWORD dst_unused:UNUSED_PAD src0_sel:WORD_1
	v_cvt_f32_f16_e32 v38, v38
	s_waitcnt lgkmcnt(0)
	v_cvt_f32_f16_sdwa v41, v40 dst_sel:DWORD dst_unused:UNUSED_PAD src0_sel:WORD_1
	v_cvt_f32_f16_e32 v40, v40
	v_accvgpr_read_b32 v36, a6
	v_accvgpr_read_b32 v35, a5
	v_accvgpr_read_b32 v34, a4
	v_pk_fma_f32 v[36:37], v[84:85], v[40:41], v[36:37]
	v_pk_fma_f32 v[34:35], v[88:89], v[38:39], v[34:35]
	v_accvgpr_write_b32 a4, v34
	v_accvgpr_write_b32 a5, v35
	;; [unrolled: 1-line block ×4, first 2 shown]
.LBB29_214:                             ;   in Loop: Header=BB29_212 Depth=2
	s_nop 7
	s_nop 0
	v_accvgpr_read_b32 v37, a3
	v_accvgpr_read_b32 v34, a0
	v_add_f32_e32 v85, 0x40051340, v34
	v_max_f32_e32 v147, v165, v165
	v_max_f32_e32 v85, v147, v85
	v_accvgpr_read_b32 v35, a1
	v_cndmask_b32_e64 v85, v165, v85, s[22:23]
	v_add_f32_e32 v147, 0x40051340, v35
	v_max_f32_e32 v166, v85, v85
	v_max_f32_e32 v147, v166, v147
	v_accvgpr_read_b32 v36, a2
	v_cndmask_b32_e64 v85, v85, v147, s[24:25]
	v_add_f32_e32 v147, 0x40051340, v36
	v_max_f32_e32 v166, v85, v85
	v_max_f32_e32 v147, v166, v147
	v_cndmask_b32_e64 v85, v85, v147, s[26:27]
	v_add_f32_e32 v147, 0x40051340, v37
	v_max_f32_e32 v166, v85, v85
	v_accvgpr_read_b32 v41, a7
	v_max_f32_e32 v147, v166, v147
	v_accvgpr_read_b32 v38, a4
	v_cndmask_b32_e64 v85, v85, v147, s[28:29]
	v_add_f32_e32 v147, 0x40051340, v38
	v_max_f32_e32 v166, v85, v85
	v_max_f32_e32 v147, v166, v147
	v_accvgpr_read_b32 v39, a5
	v_cndmask_b32_e64 v85, v85, v147, s[30:31]
	v_add_f32_e32 v147, 0x40051340, v39
	v_max_f32_e32 v166, v85, v85
	;; [unrolled: 5-line block ×3, first 2 shown]
	v_max_f32_e32 v147, v166, v147
	v_cndmask_b32_e64 v85, v85, v147, s[36:37]
	v_add_f32_e32 v147, 0x40051340, v41
	v_max_f32_e32 v166, v85, v85
	v_max_f32_e32 v147, v166, v147
	v_cndmask_b32_e64 v85, v85, v147, s[38:39]
	ds_bpermute_b32 v147, v140, v85
	v_max_f32_e32 v85, v85, v85
	v_cndmask_b32_e64 v36, v36, v36, s[24:25]
	v_cndmask_b32_e64 v37, v37, v37, s[24:25]
	;; [unrolled: 1-line block ×3, first 2 shown]
	s_waitcnt lgkmcnt(0)
	v_max_f32_e32 v147, v147, v147
	v_max_f32_e32 v85, v85, v147
	ds_bpermute_b32 v147, v141, v85
	v_cndmask_b32_e64 v40, v40, v40, s[30:31]
	v_cndmask_b32_e64 v41, v41, v41, s[30:31]
	buffer_store_dword v203, off, s[0:3], 0
	buffer_store_dword v203, off, s[0:3], 0 offset:4
	buffer_store_dword v203, off, s[0:3], 0 offset:8
	;; [unrolled: 1-line block ×3, first 2 shown]
	s_add_i32 s44, s44, -1
	s_waitcnt lgkmcnt(0)
	v_max_f32_e32 v147, v147, v147
	v_max_f32_e32 v85, v85, v147
	v_sub_f32_e32 v34, v34, v85
	v_mul_f32_e32 v147, 0x3fb8aa3b, v34
	v_fma_f32 v166, v34, s91, -v147
	v_rndne_f32_e32 v169, v147
	v_fmac_f32_e32 v166, 0x32a5705f, v34
	v_sub_f32_e32 v147, v147, v169
	v_add_f32_e32 v147, v147, v166
	v_exp_f32_e32 v147, v147
	v_cvt_i32_f32_e32 v166, v169
	v_cmp_ngt_f32_e32 vcc, s96, v34
	v_sub_f32_e32 v35, v35, v85
	v_sub_f32_e32 v36, v36, v85
	v_ldexp_f32 v147, v147, v166
	v_cndmask_b32_e32 v147, 0, v147, vcc
	v_cmp_nlt_f32_e32 vcc, s45, v34
	v_cndmask_b32_e32 v34, v253, v147, vcc
	v_mul_f32_e32 v147, 0x3fb8aa3b, v35
	v_fma_f32 v166, v35, s91, -v147
	v_rndne_f32_e32 v169, v147
	v_fmac_f32_e32 v166, 0x32a5705f, v35
	v_sub_f32_e32 v147, v147, v169
	v_add_f32_e32 v147, v147, v166
	v_exp_f32_e32 v147, v147
	v_cvt_i32_f32_e32 v166, v169
	v_cmp_ngt_f32_e32 vcc, s96, v35
	v_cndmask_b32_e64 v34, 0, v34, s[22:23]
	s_cmp_lg_u32 s44, 0
	v_ldexp_f32 v147, v147, v166
	v_cndmask_b32_e32 v147, 0, v147, vcc
	v_cmp_nlt_f32_e32 vcc, s45, v35
	v_cndmask_b32_e32 v147, v253, v147, vcc
	v_mov_b32_e32 v35, s43
	v_add_f32_e32 v166, v147, v34
	v_cndmask_b32_e64 v172, v35, v147, s[24:25]
	v_mul_f32_e32 v147, 0x3fb8aa3b, v36
	v_cndmask_b32_e64 v35, v34, v166, s[24:25]
	v_fma_f32 v166, v36, s91, -v147
	v_rndne_f32_e32 v169, v147
	v_fmac_f32_e32 v166, 0x32a5705f, v36
	v_sub_f32_e32 v147, v147, v169
	v_add_f32_e32 v147, v147, v166
	v_exp_f32_e32 v147, v147
	v_cvt_i32_f32_e32 v166, v169
	v_cmp_ngt_f32_e32 vcc, s96, v36
	v_cvt_f16_f32_e32 v34, v34
	v_ldexp_f32 v147, v147, v166
	v_cndmask_b32_e32 v147, 0, v147, vcc
	v_cmp_nlt_f32_e32 vcc, s45, v36
	v_cndmask_b32_e32 v147, v253, v147, vcc
	v_add_f32_e32 v166, v35, v147
	v_mov_b32_e32 v36, s43
	v_cndmask_b32_e64 v173, v36, v147, s[26:27]
	v_cndmask_b32_e64 v36, v35, v166, s[26:27]
	v_sub_f32_e32 v35, v37, v85
	v_mul_f32_e32 v37, 0x3fb8aa3b, v35
	v_fma_f32 v147, v35, s91, -v37
	v_rndne_f32_e32 v166, v37
	v_fmac_f32_e32 v147, 0x32a5705f, v35
	v_sub_f32_e32 v37, v37, v166
	v_add_f32_e32 v37, v37, v147
	v_exp_f32_e32 v37, v37
	v_cvt_i32_f32_e32 v147, v166
	v_cmp_ngt_f32_e32 vcc, s96, v35
	v_ldexp_f32 v37, v37, v147
	v_cndmask_b32_e32 v37, 0, v37, vcc
	v_cmp_nlt_f32_e32 vcc, s45, v35
	v_cndmask_b32_e32 v37, v253, v37, vcc
	v_add_f32_e32 v147, v36, v37
	v_mov_b32_e32 v35, s43
	v_cndmask_b32_e64 v37, v35, v37, s[28:29]
	v_cndmask_b32_e64 v35, v36, v147, s[28:29]
	v_sub_f32_e32 v36, v38, v85
	v_mul_f32_e32 v38, 0x3fb8aa3b, v36
	v_fma_f32 v147, v36, s91, -v38
	v_rndne_f32_e32 v166, v38
	v_fmac_f32_e32 v147, 0x32a5705f, v36
	v_sub_f32_e32 v38, v38, v166
	v_add_f32_e32 v38, v38, v147
	v_exp_f32_e32 v38, v38
	v_cvt_i32_f32_e32 v147, v166
	v_cmp_ngt_f32_e32 vcc, s96, v36
	v_cvt_f16_f32_e32 v37, v37
	v_ldexp_f32 v38, v38, v147
	v_cndmask_b32_e32 v38, 0, v38, vcc
	v_cmp_nlt_f32_e32 vcc, s45, v36
	v_cndmask_b32_e32 v38, v253, v38, vcc
	v_add_f32_e32 v147, v38, v35
	v_mov_b32_e32 v36, s43
	v_cndmask_b32_e64 v38, v36, v38, s[30:31]
	v_cndmask_b32_e64 v36, v35, v147, s[30:31]
	v_sub_f32_e32 v35, v39, v85
	v_mul_f32_e32 v39, 0x3fb8aa3b, v35
	v_fma_f32 v147, v35, s91, -v39
	v_rndne_f32_e32 v166, v39
	v_fmac_f32_e32 v147, 0x32a5705f, v35
	v_sub_f32_e32 v39, v39, v166
	v_add_f32_e32 v39, v39, v147
	v_exp_f32_e32 v39, v39
	v_cvt_i32_f32_e32 v147, v166
	v_cmp_ngt_f32_e32 vcc, s96, v35
	v_ldexp_f32 v39, v39, v147
	v_cndmask_b32_e32 v39, 0, v39, vcc
	v_cmp_nlt_f32_e32 vcc, s45, v35
	v_cndmask_b32_e32 v39, v253, v39, vcc
	v_add_f32_e32 v147, v39, v36
	v_mov_b32_e32 v35, s43
	v_cndmask_b32_e64 v39, v35, v39, s[34:35]
	v_cndmask_b32_e64 v35, v36, v147, s[34:35]
	v_sub_f32_e32 v36, v40, v85
	v_mul_f32_e32 v40, 0x3fb8aa3b, v36
	v_fma_f32 v147, v36, s91, -v40
	v_rndne_f32_e32 v166, v40
	v_fmac_f32_e32 v147, 0x32a5705f, v36
	v_sub_f32_e32 v40, v40, v166
	v_add_f32_e32 v40, v40, v147
	v_exp_f32_e32 v40, v40
	v_cvt_i32_f32_e32 v147, v166
	v_cmp_ngt_f32_e32 vcc, s96, v36
	;; [unrolled: 18-line block ×3, first 2 shown]
	v_ldexp_f32 v41, v41, v147
	v_cndmask_b32_e32 v41, 0, v41, vcc
	v_cmp_nlt_f32_e32 vcc, s45, v35
	v_cndmask_b32_e32 v41, v253, v41, vcc
	v_add_f32_e32 v147, v41, v36
	v_mov_b32_e32 v35, s43
	v_cndmask_b32_e64 v147, v36, v147, s[38:39]
	v_sub_f32_e32 v36, v165, v85
	v_cndmask_b32_e64 v35, v35, v41, s[38:39]
	v_mul_f32_e32 v41, 0x3fb8aa3b, v36
	v_fma_f32 v165, v36, s91, -v41
	v_rndne_f32_e32 v166, v41
	v_fmac_f32_e32 v165, 0x32a5705f, v36
	v_sub_f32_e32 v41, v41, v166
	v_add_f32_e32 v41, v41, v165
	v_exp_f32_e32 v41, v41
	v_cvt_i32_f32_e32 v165, v166
	v_cmp_ngt_f32_e32 vcc, s96, v36
	v_cvt_f16_f32_e32 v35, v35
	v_ldexp_f32 v41, v41, v165
	v_cndmask_b32_e32 v41, 0, v41, vcc
	v_cmp_nlt_f32_e32 vcc, s45, v36
	v_cndmask_b32_e32 v41, v253, v41, vcc
	v_cmp_le_f32_e32 vcc, s33, v36
	v_cndmask_b32_e32 v36, 0, v41, vcc
	v_fmac_f32_e32 v147, v163, v36
	v_cvt_f16_f32_e32 v36, v36
	v_pk_mul_f16 v171, v36, v139 op_sel_hi:[0,1]
	v_pk_mul_f16 v169, v36, v138 op_sel_hi:[0,1]
	;; [unrolled: 1-line block ×32, first 2 shown]
	v_cvt_f16_f32_e32 v36, v172
	v_mov_b32_e32 v146, s5
	v_mov_b32_e32 v168, s4
	v_pack_b32_f16 v36, v34, v36
	v_cvt_f16_f32_e32 v34, v173
	v_pack_b32_f16 v37, v34, v37
	v_cvt_f16_f32_e32 v34, v38
	v_cvt_f16_f32_e32 v38, v39
	v_pack_b32_f16 v34, v34, v38
	v_cvt_f16_f32_e32 v38, v40
	v_pack_b32_f16 v35, v38, v35
	v_add_co_u32_e32 v38, vcc, v90, v82
	v_addc_co_u32_e32 v39, vcc, 0, v1, vcc
	v_cndmask_b32_e64 v173, v146, v39, s[6:7]
	v_cndmask_b32_e64 v172, v168, v38, s[6:7]
	flat_load_dwordx4 v[172:175], v[172:173]
	v_add_co_u32_e32 v38, vcc, v92, v82
	v_addc_co_u32_e32 v39, vcc, 0, v43, vcc
	v_cndmask_b32_e64 v181, v146, v39, s[84:85]
	v_cndmask_b32_e64 v180, v168, v38, s[84:85]
	v_add_co_u32_e32 v38, vcc, v94, v82
	v_addc_co_u32_e32 v39, vcc, 0, v45, vcc
	v_cndmask_b32_e64 v187, v146, v39, s[10:11]
	v_cndmask_b32_e64 v186, v168, v38, s[10:11]
	;; [unrolled: 4-line block ×7, first 2 shown]
	v_add_co_u32_e32 v90, vcc, s86, v90
	s_waitcnt vmcnt(0) lgkmcnt(0)
	ds_write_b128 v148, v[172:175]
	flat_load_dwordx4 v[172:175], v[180:181]
	s_waitcnt vmcnt(0) lgkmcnt(0)
	ds_write_b128 v117, v[172:175]
	flat_load_dwordx4 v[172:175], v[186:187]
	;; [unrolled: 3-line block ×7, first 2 shown]
	s_waitcnt vmcnt(0) lgkmcnt(0)
	ds_write_b128 v248, v[38:41]
	s_waitcnt lgkmcnt(0)
	s_barrier
	ds_read_u16 v138, v150 offset:528
	ds_read_u16 v139, v150 offset:1056
	ds_read_u16 v146, v151
	ds_read_u16 v168, v151 offset:32
	v_cvt_f32_f16_e32 v40, v169
	v_cvt_f32_f16_sdwa v41, v169 dst_sel:DWORD dst_unused:UNUSED_PAD src0_sel:WORD_1
	v_cvt_f32_f16_e32 v38, v171
	s_waitcnt lgkmcnt(1)
	v_perm_b32 v139, v146, v139, s98
	ds_read_u16 v146, v149
	ds_read_u16 v169, v149 offset:32
	v_cvt_f32_f16_sdwa v39, v171 dst_sel:DWORD dst_unused:UNUSED_PAD src0_sel:WORD_1
	v_accvgpr_write_b32 a0, v38
	v_accvgpr_write_b32 a2, v40
	s_waitcnt lgkmcnt(1)
	v_perm_b32 v138, v138, v146, s98
	v_accvgpr_write_b32 a1, v39
	v_accvgpr_write_b32 a3, v41
	s_nop 1
	v_mfma_f32_16x16x16f16 a[0:3], v[138:139], v[36:37], a[0:3]
	ds_read_u16 v138, v149 offset:16896
	ds_read_u16 v146, v243 offset:528
	;; [unrolled: 1-line block ×4, first 2 shown]
	s_waitcnt lgkmcnt(2)
	v_perm_b32 v138, v146, v138, s98
	s_waitcnt lgkmcnt(0)
	v_perm_b32 v139, v171, v139, s98
	ds_read_u16 v146, v244 offset:528
	ds_read_u16 v171, v244 offset:1056
	s_nop 0
	v_accvgpr_read_b32 v38, a0
	v_cvt_f16_f32_e32 v38, v38
	v_accvgpr_read_b32 v39, a1
	v_accvgpr_read_b32 v40, a2
	;; [unrolled: 1-line block ×3, first 2 shown]
	v_cvt_f16_f32_e32 v39, v39
	v_cvt_f16_f32_e32 v40, v40
	;; [unrolled: 1-line block ×3, first 2 shown]
	v_cvt_f32_f16_e32 v38, v38
	v_cvt_f32_f16_e32 v39, v39
	;; [unrolled: 1-line block ×4, first 2 shown]
	v_accvgpr_write_b32 a0, v38
	v_accvgpr_write_b32 a1, v39
	;; [unrolled: 1-line block ×4, first 2 shown]
	s_nop 1
	v_mfma_f32_16x16x16f16 a[0:3], v[138:139], v[34:35], a[0:3]
	s_nop 7
	s_nop 2
	v_accvgpr_read_b32 v38, a0
	v_accvgpr_read_b32 v39, a1
	v_cvt_f16_f32_e32 v38, v38
	v_cvt_f16_f32_e32 v39, v39
	v_accvgpr_read_b32 v40, a2
	v_accvgpr_read_b32 v41, a3
	v_cvt_f16_f32_e32 v40, v40
	v_cvt_f16_f32_e32 v41, v41
	v_pack_b32_f16 v139, v38, v39
	v_cvt_f32_f16_e32 v38, v143
	v_cvt_f32_f16_sdwa v39, v143 dst_sel:DWORD dst_unused:UNUSED_PAD src0_sel:WORD_1
	v_pack_b32_f16 v138, v40, v41
	v_cvt_f32_f16_e32 v40, v142
	v_cvt_f32_f16_sdwa v41, v142 dst_sel:DWORD dst_unused:UNUSED_PAD src0_sel:WORD_1
	s_waitcnt lgkmcnt(0)
	v_perm_b32 v143, v168, v171, s98
	v_perm_b32 v142, v146, v169, s98
	v_accvgpr_write_b32 a0, v38
	v_accvgpr_write_b32 a1, v39
	;; [unrolled: 1-line block ×4, first 2 shown]
	v_accvgpr_read_b32 v168, a26
	s_nop 0
	v_mfma_f32_16x16x16f16 a[0:3], v[142:143], v[36:37], a[0:3]
	v_accvgpr_read_b32 v142, a23
	v_accvgpr_read_b32 v143, a25
	ds_read_u16 v142, v142 offset:16896
	ds_read_u16 v146, v143 offset:528
	;; [unrolled: 1-line block ×4, first 2 shown]
	s_waitcnt lgkmcnt(2)
	v_perm_b32 v142, v146, v142, s98
	s_waitcnt lgkmcnt(0)
	v_perm_b32 v143, v168, v143, s98
	s_nop 0
	v_accvgpr_read_b32 v38, a0
	v_cvt_f16_f32_e32 v38, v38
	v_accvgpr_read_b32 v39, a1
	v_accvgpr_read_b32 v40, a2
	;; [unrolled: 1-line block ×3, first 2 shown]
	v_cvt_f16_f32_e32 v39, v39
	v_cvt_f16_f32_e32 v40, v40
	;; [unrolled: 1-line block ×3, first 2 shown]
	v_cvt_f32_f16_e32 v38, v38
	v_cvt_f32_f16_e32 v39, v39
	;; [unrolled: 1-line block ×4, first 2 shown]
	v_accvgpr_write_b32 a0, v38
	v_accvgpr_write_b32 a1, v39
	;; [unrolled: 1-line block ×4, first 2 shown]
	ds_read_u16 v146, v149 offset:64
	ds_read_u16 v168, v240 offset:528
	;; [unrolled: 1-line block ×4, first 2 shown]
	v_mfma_f32_16x16x16f16 a[0:3], v[142:143], v[34:35], a[0:3]
	s_nop 7
	s_nop 2
	v_accvgpr_read_b32 v38, a0
	v_accvgpr_read_b32 v39, a1
	v_cvt_f16_f32_e32 v38, v38
	v_cvt_f16_f32_e32 v39, v39
	v_accvgpr_read_b32 v40, a2
	v_accvgpr_read_b32 v41, a3
	v_cvt_f16_f32_e32 v40, v40
	v_cvt_f16_f32_e32 v41, v41
	v_pack_b32_f16 v143, v38, v39
	v_cvt_f32_f16_e32 v38, v145
	v_cvt_f32_f16_sdwa v39, v145 dst_sel:DWORD dst_unused:UNUSED_PAD src0_sel:WORD_1
	v_pack_b32_f16 v142, v40, v41
	v_cvt_f32_f16_e32 v40, v144
	v_cvt_f32_f16_sdwa v41, v144 dst_sel:DWORD dst_unused:UNUSED_PAD src0_sel:WORD_1
	s_waitcnt lgkmcnt(0)
	v_perm_b32 v145, v171, v169, s98
	v_perm_b32 v144, v168, v146, s98
	v_accvgpr_write_b32 a0, v38
	v_accvgpr_write_b32 a1, v39
	;; [unrolled: 1-line block ×4, first 2 shown]
	v_accvgpr_read_b32 v168, a29
	s_nop 0
	v_mfma_f32_16x16x16f16 a[0:3], v[144:145], v[36:37], a[0:3]
	v_accvgpr_read_b32 v144, a27
	v_accvgpr_read_b32 v145, a28
	ds_read_u16 v144, v144 offset:16896
	ds_read_u16 v146, v145 offset:528
	;; [unrolled: 1-line block ×4, first 2 shown]
	s_waitcnt lgkmcnt(2)
	v_perm_b32 v144, v146, v144, s98
	s_waitcnt lgkmcnt(0)
	v_perm_b32 v145, v168, v145, s98
	s_nop 0
	v_accvgpr_read_b32 v38, a0
	v_cvt_f16_f32_e32 v38, v38
	v_accvgpr_read_b32 v39, a1
	v_accvgpr_read_b32 v40, a2
	v_accvgpr_read_b32 v41, a3
	v_cvt_f16_f32_e32 v39, v39
	v_cvt_f16_f32_e32 v40, v40
	;; [unrolled: 1-line block ×3, first 2 shown]
	v_cvt_f32_f16_e32 v38, v38
	v_cvt_f32_f16_e32 v39, v39
	;; [unrolled: 1-line block ×4, first 2 shown]
	v_accvgpr_write_b32 a0, v38
	v_accvgpr_write_b32 a1, v39
	;; [unrolled: 1-line block ×4, first 2 shown]
	ds_read_u16 v146, v149 offset:96
	ds_read_u16 v168, v242 offset:528
	;; [unrolled: 1-line block ×4, first 2 shown]
	v_mfma_f32_16x16x16f16 a[0:3], v[144:145], v[34:35], a[0:3]
	s_waitcnt lgkmcnt(2)
	v_perm_b32 v168, v168, v146, s98
	v_accvgpr_read_b32 v146, a31
	s_waitcnt lgkmcnt(0)
	v_perm_b32 v169, v171, v169, s98
	s_nop 5
	v_accvgpr_read_b32 v38, a0
	v_accvgpr_read_b32 v39, a1
	v_cvt_f16_f32_e32 v38, v38
	v_cvt_f16_f32_e32 v39, v39
	v_accvgpr_read_b32 v40, a2
	v_accvgpr_read_b32 v41, a3
	v_cvt_f16_f32_e32 v40, v40
	v_cvt_f16_f32_e32 v41, v41
	v_pack_b32_f16 v145, v38, v39
	v_cvt_f32_f16_e32 v38, v166
	v_cvt_f32_f16_sdwa v39, v166 dst_sel:DWORD dst_unused:UNUSED_PAD src0_sel:WORD_1
	v_pack_b32_f16 v144, v40, v41
	v_cvt_f32_f16_e32 v40, v42
	v_cvt_f32_f16_sdwa v41, v42 dst_sel:DWORD dst_unused:UNUSED_PAD src0_sel:WORD_1
	v_accvgpr_write_b32 a0, v38
	v_accvgpr_write_b32 a1, v39
	;; [unrolled: 1-line block ×4, first 2 shown]
	v_accvgpr_read_b32 v42, a30
	ds_read_u16 v42, v42 offset:16896
	v_mfma_f32_16x16x16f16 a[0:3], v[168:169], v[36:37], a[0:3]
	v_accvgpr_read_b32 v168, a32
	ds_read_u16 v146, v146 offset:528
	ds_read_u16 v166, v226 offset:1056
	;; [unrolled: 1-line block ×3, first 2 shown]
	s_waitcnt lgkmcnt(0)
	v_perm_b32 v169, v168, v166, s98
	v_perm_b32 v168, v146, v42, s98
	s_nop 3
	v_accvgpr_read_b32 v38, a0
	v_cvt_f16_f32_e32 v38, v38
	v_accvgpr_read_b32 v39, a1
	v_accvgpr_read_b32 v40, a2
	;; [unrolled: 1-line block ×3, first 2 shown]
	v_cvt_f16_f32_e32 v39, v39
	v_cvt_f16_f32_e32 v40, v40
	;; [unrolled: 1-line block ×3, first 2 shown]
	v_cvt_f32_f16_e32 v38, v38
	v_cvt_f32_f16_e32 v39, v39
	;; [unrolled: 1-line block ×4, first 2 shown]
	v_accvgpr_write_b32 a0, v38
	v_accvgpr_write_b32 a1, v39
	;; [unrolled: 1-line block ×4, first 2 shown]
	s_nop 1
	v_mfma_f32_16x16x16f16 a[0:3], v[168:169], v[34:35], a[0:3]
	ds_read_u16 v166, v149 offset:128
	ds_read_u16 v168, v237 offset:528
	;; [unrolled: 1-line block ×4, first 2 shown]
	s_waitcnt lgkmcnt(2)
	v_perm_b32 v168, v168, v166, s98
	s_waitcnt lgkmcnt(0)
	v_perm_b32 v169, v171, v169, s98
	s_nop 2
	v_accvgpr_read_b32 v38, a0
	v_accvgpr_read_b32 v39, a1
	v_cvt_f16_f32_e32 v38, v38
	v_cvt_f16_f32_e32 v39, v39
	v_accvgpr_read_b32 v40, a2
	v_accvgpr_read_b32 v41, a3
	v_cvt_f16_f32_e32 v40, v40
	v_cvt_f16_f32_e32 v41, v41
	v_pack_b32_f16 v42, v38, v39
	v_cvt_f32_f16_e32 v38, v119
	v_cvt_f32_f16_sdwa v39, v119 dst_sel:DWORD dst_unused:UNUSED_PAD src0_sel:WORD_1
	v_pack_b32_f16 v146, v40, v41
	v_cvt_f32_f16_e32 v40, v46
	v_cvt_f32_f16_sdwa v41, v46 dst_sel:DWORD dst_unused:UNUSED_PAD src0_sel:WORD_1
	v_accvgpr_write_b32 a0, v38
	v_accvgpr_write_b32 a1, v39
	;; [unrolled: 1-line block ×4, first 2 shown]
	v_accvgpr_read_b32 v46, a33
	v_accvgpr_read_b32 v119, a34
	v_mfma_f32_16x16x16f16 a[0:3], v[168:169], v[36:37], a[0:3]
	v_accvgpr_read_b32 v168, a35
	ds_read_u16 v46, v46 offset:16896
	ds_read_u16 v119, v119 offset:528
	;; [unrolled: 1-line block ×4, first 2 shown]
	s_waitcnt lgkmcnt(0)
	v_perm_b32 v169, v168, v166, s98
	v_perm_b32 v168, v119, v46, s98
	s_nop 2
	v_accvgpr_read_b32 v38, a0
	v_cvt_f16_f32_e32 v38, v38
	v_accvgpr_read_b32 v39, a1
	v_accvgpr_read_b32 v40, a2
	v_accvgpr_read_b32 v41, a3
	v_cvt_f16_f32_e32 v39, v39
	v_cvt_f16_f32_e32 v40, v40
	;; [unrolled: 1-line block ×3, first 2 shown]
	v_cvt_f32_f16_e32 v38, v38
	v_cvt_f32_f16_e32 v39, v39
	;; [unrolled: 1-line block ×4, first 2 shown]
	v_accvgpr_write_b32 a0, v38
	v_accvgpr_write_b32 a1, v39
	v_accvgpr_write_b32 a2, v40
	v_accvgpr_write_b32 a3, v41
	s_nop 1
	v_mfma_f32_16x16x16f16 a[0:3], v[168:169], v[34:35], a[0:3]
	ds_read_u16 v166, v149 offset:160
	ds_read_u16 v168, v239 offset:528
	;; [unrolled: 1-line block ×4, first 2 shown]
	s_waitcnt lgkmcnt(2)
	v_perm_b32 v168, v168, v166, s98
	s_waitcnt lgkmcnt(0)
	v_perm_b32 v169, v171, v169, s98
	s_nop 2
	v_accvgpr_read_b32 v38, a0
	v_accvgpr_read_b32 v39, a1
	v_cvt_f16_f32_e32 v38, v38
	v_cvt_f16_f32_e32 v39, v39
	v_accvgpr_read_b32 v40, a2
	v_accvgpr_read_b32 v41, a3
	v_cvt_f16_f32_e32 v40, v40
	v_cvt_f16_f32_e32 v41, v41
	v_pack_b32_f16 v119, v38, v39
	v_cvt_f32_f16_e32 v38, v165
	v_cvt_f32_f16_sdwa v39, v165 dst_sel:DWORD dst_unused:UNUSED_PAD src0_sel:WORD_1
	v_pack_b32_f16 v46, v40, v41
	v_cvt_f32_f16_e32 v40, v44
	v_cvt_f32_f16_sdwa v41, v44 dst_sel:DWORD dst_unused:UNUSED_PAD src0_sel:WORD_1
	v_accvgpr_write_b32 a0, v38
	v_accvgpr_write_b32 a1, v39
	;; [unrolled: 1-line block ×4, first 2 shown]
	v_accvgpr_read_b32 v165, a36
	ds_read_u16 v44, v164 offset:16896
	v_mfma_f32_16x16x16f16 a[0:3], v[168:169], v[36:37], a[0:3]
	v_accvgpr_read_b32 v168, a37
	ds_read_u16 v165, v165 offset:528
	ds_read_u16 v166, v213 offset:1056
	ds_read_u16 v168, v168 offset:16896
	s_waitcnt lgkmcnt(0)
	v_perm_b32 v169, v168, v166, s98
	v_perm_b32 v168, v165, v44, s98
	s_nop 3
	v_accvgpr_read_b32 v38, a0
	v_cvt_f16_f32_e32 v38, v38
	v_accvgpr_read_b32 v39, a1
	v_accvgpr_read_b32 v40, a2
	v_accvgpr_read_b32 v41, a3
	v_cvt_f16_f32_e32 v39, v39
	v_cvt_f16_f32_e32 v40, v40
	v_cvt_f16_f32_e32 v41, v41
	v_cvt_f32_f16_e32 v38, v38
	v_cvt_f32_f16_e32 v39, v39
	v_cvt_f32_f16_e32 v40, v40
	v_cvt_f32_f16_e32 v41, v41
	v_accvgpr_write_b32 a0, v38
	v_accvgpr_write_b32 a1, v39
	v_accvgpr_write_b32 a2, v40
	v_accvgpr_write_b32 a3, v41
	s_nop 1
	v_mfma_f32_16x16x16f16 a[0:3], v[168:169], v[34:35], a[0:3]
	ds_read_u16 v165, v149 offset:192
	ds_read_u16 v166, v212 offset:528
	ds_read_u16 v168, v212 offset:1056
	ds_read_u16 v169, v151 offset:192
	s_waitcnt lgkmcnt(0)
	v_perm_b32 v169, v169, v168, s98
	v_perm_b32 v168, v166, v165, s98
	v_accvgpr_read_b32 v166, a38
	s_nop 2
	v_accvgpr_read_b32 v38, a0
	v_accvgpr_read_b32 v39, a1
	v_cvt_f16_f32_e32 v38, v38
	v_cvt_f16_f32_e32 v39, v39
	v_accvgpr_read_b32 v40, a2
	v_accvgpr_read_b32 v41, a3
	v_cvt_f16_f32_e32 v40, v40
	v_cvt_f16_f32_e32 v41, v41
	v_pack_b32_f16 v44, v38, v39
	v_cvt_f32_f16_e32 v38, v219
	v_cvt_f32_f16_sdwa v39, v219 dst_sel:DWORD dst_unused:UNUSED_PAD src0_sel:WORD_1
	v_pack_b32_f16 v199, v40, v41
	v_cvt_f32_f16_e32 v40, v217
	v_cvt_f32_f16_sdwa v41, v217 dst_sel:DWORD dst_unused:UNUSED_PAD src0_sel:WORD_1
	v_accvgpr_write_b32 a0, v38
	v_accvgpr_write_b32 a1, v39
	v_accvgpr_write_b32 a2, v40
	v_accvgpr_write_b32 a3, v41
	ds_read_u16 v165, v167 offset:16896
	s_nop 0
	v_mfma_f32_16x16x16f16 a[0:3], v[168:169], v[36:37], a[0:3]
	v_accvgpr_read_b32 v169, a39
	ds_read_u16 v166, v166 offset:528
	ds_read_u16 v168, v214 offset:1056
	ds_read_u16 v169, v169 offset:16896
	s_waitcnt lgkmcnt(0)
	v_perm_b32 v169, v169, v168, s98
	v_perm_b32 v168, v166, v165, s98
	s_nop 3
	v_accvgpr_read_b32 v38, a0
	v_cvt_f16_f32_e32 v38, v38
	v_accvgpr_read_b32 v39, a1
	v_accvgpr_read_b32 v40, a2
	v_accvgpr_read_b32 v41, a3
	v_cvt_f16_f32_e32 v39, v39
	v_cvt_f16_f32_e32 v40, v40
	v_cvt_f16_f32_e32 v41, v41
	v_cvt_f32_f16_e32 v38, v38
	v_cvt_f32_f16_e32 v39, v39
	v_cvt_f32_f16_e32 v40, v40
	v_cvt_f32_f16_e32 v41, v41
	v_accvgpr_write_b32 a0, v38
	v_accvgpr_write_b32 a1, v39
	v_accvgpr_write_b32 a2, v40
	v_accvgpr_write_b32 a3, v41
	s_nop 1
	v_mfma_f32_16x16x16f16 a[0:3], v[168:169], v[34:35], a[0:3]
	ds_read_u16 v165, v149 offset:224
	ds_read_u16 v166, v211 offset:528
	ds_read_u16 v168, v211 offset:1056
	ds_read_u16 v169, v151 offset:224
	s_waitcnt lgkmcnt(0)
	v_perm_b32 v169, v169, v168, s98
	v_perm_b32 v168, v166, v165, s98
	v_accvgpr_read_b32 v166, a40
	s_nop 2
	v_accvgpr_read_b32 v38, a0
	v_accvgpr_read_b32 v39, a1
	v_cvt_f16_f32_e32 v38, v38
	v_cvt_f16_f32_e32 v39, v39
	v_accvgpr_read_b32 v40, a2
	v_accvgpr_read_b32 v41, a3
	v_cvt_f16_f32_e32 v40, v40
	v_cvt_f16_f32_e32 v41, v41
	v_pack_b32_f16 v219, v38, v39
	v_cvt_f32_f16_e32 v38, v231
	v_cvt_f32_f16_sdwa v39, v231 dst_sel:DWORD dst_unused:UNUSED_PAD src0_sel:WORD_1
	v_pack_b32_f16 v217, v40, v41
	v_cvt_f32_f16_e32 v40, v221
	v_cvt_f32_f16_sdwa v41, v221 dst_sel:DWORD dst_unused:UNUSED_PAD src0_sel:WORD_1
	v_accvgpr_write_b32 a0, v38
	v_accvgpr_write_b32 a1, v39
	v_accvgpr_write_b32 a2, v40
	v_accvgpr_write_b32 a3, v41
	ds_read_u16 v165, v170 offset:16896
	s_nop 0
	v_mfma_f32_16x16x16f16 a[0:3], v[168:169], v[36:37], a[0:3]
	v_accvgpr_read_b32 v169, a41
	ds_read_u16 v166, v166 offset:528
	ds_read_u16 v168, v210 offset:1056
	ds_read_u16 v169, v169 offset:16896
	s_waitcnt lgkmcnt(0)
	v_perm_b32 v169, v169, v168, s98
	v_perm_b32 v168, v166, v165, s98
	s_nop 3
	v_accvgpr_read_b32 v38, a0
	v_cvt_f16_f32_e32 v38, v38
	v_accvgpr_read_b32 v39, a1
	v_accvgpr_read_b32 v40, a2
	v_accvgpr_read_b32 v41, a3
	v_cvt_f16_f32_e32 v39, v39
	v_cvt_f16_f32_e32 v40, v40
	v_cvt_f16_f32_e32 v41, v41
	v_cvt_f32_f16_e32 v38, v38
	v_cvt_f32_f16_e32 v39, v39
	v_cvt_f32_f16_e32 v40, v40
	v_cvt_f32_f16_e32 v41, v41
	v_accvgpr_write_b32 a0, v38
	v_accvgpr_write_b32 a1, v39
	v_accvgpr_write_b32 a2, v40
	v_accvgpr_write_b32 a3, v41
	s_nop 1
	v_mfma_f32_16x16x16f16 a[0:3], v[168:169], v[34:35], a[0:3]
	ds_read_u16 v165, v149 offset:256
	ds_read_u16 v166, v209 offset:528
	ds_read_u16 v168, v209 offset:1056
	ds_read_u16 v169, v151 offset:256
	s_waitcnt lgkmcnt(0)
	v_perm_b32 v169, v169, v168, s98
	v_perm_b32 v168, v166, v165, s98
	v_accvgpr_read_b32 v166, a42
	s_nop 2
	v_accvgpr_read_b32 v38, a0
	v_accvgpr_read_b32 v39, a1
	v_cvt_f16_f32_e32 v38, v38
	v_cvt_f16_f32_e32 v39, v39
	v_accvgpr_read_b32 v40, a2
	v_accvgpr_read_b32 v41, a3
	v_cvt_f16_f32_e32 v40, v40
	v_cvt_f16_f32_e32 v41, v41
	v_pack_b32_f16 v231, v38, v39
	v_cvt_f32_f16_e32 v38, v229
	v_cvt_f32_f16_sdwa v39, v229 dst_sel:DWORD dst_unused:UNUSED_PAD src0_sel:WORD_1
	v_pack_b32_f16 v221, v40, v41
	v_cvt_f32_f16_e32 v40, v228
	v_cvt_f32_f16_sdwa v41, v228 dst_sel:DWORD dst_unused:UNUSED_PAD src0_sel:WORD_1
	v_accvgpr_write_b32 a0, v38
	v_accvgpr_write_b32 a1, v39
	v_accvgpr_write_b32 a2, v40
	v_accvgpr_write_b32 a3, v41
	ds_read_u16 v165, v152 offset:16896
	s_nop 0
	v_mfma_f32_16x16x16f16 a[0:3], v[168:169], v[36:37], a[0:3]
	v_accvgpr_read_b32 v169, a43
	ds_read_u16 v166, v166 offset:528
	ds_read_u16 v168, v208 offset:1056
	;; [unrolled: 1-line block ×3, first 2 shown]
	s_waitcnt lgkmcnt(0)
	v_perm_b32 v169, v169, v168, s98
	v_perm_b32 v168, v166, v165, s98
	s_nop 3
	v_accvgpr_read_b32 v38, a0
	v_cvt_f16_f32_e32 v38, v38
	v_accvgpr_read_b32 v39, a1
	v_accvgpr_read_b32 v40, a2
	;; [unrolled: 1-line block ×3, first 2 shown]
	v_cvt_f16_f32_e32 v39, v39
	v_cvt_f16_f32_e32 v40, v40
	;; [unrolled: 1-line block ×3, first 2 shown]
	v_cvt_f32_f16_e32 v38, v38
	v_cvt_f32_f16_e32 v39, v39
	;; [unrolled: 1-line block ×4, first 2 shown]
	v_accvgpr_write_b32 a0, v38
	v_accvgpr_write_b32 a1, v39
	;; [unrolled: 1-line block ×4, first 2 shown]
	s_nop 1
	v_mfma_f32_16x16x16f16 a[0:3], v[168:169], v[34:35], a[0:3]
	ds_read_u16 v165, v149 offset:288
	ds_read_u16 v166, v207 offset:528
	;; [unrolled: 1-line block ×4, first 2 shown]
	s_waitcnt lgkmcnt(0)
	v_perm_b32 v169, v169, v168, s98
	v_perm_b32 v168, v166, v165, s98
	v_accvgpr_read_b32 v166, a45
	s_nop 2
	v_accvgpr_read_b32 v38, a0
	v_accvgpr_read_b32 v39, a1
	v_cvt_f16_f32_e32 v38, v38
	v_cvt_f16_f32_e32 v39, v39
	v_accvgpr_read_b32 v40, a2
	v_accvgpr_read_b32 v41, a3
	v_cvt_f16_f32_e32 v40, v40
	v_cvt_f16_f32_e32 v41, v41
	v_pack_b32_f16 v229, v38, v39
	v_cvt_f32_f16_e32 v38, v163
	v_cvt_f32_f16_sdwa v39, v163 dst_sel:DWORD dst_unused:UNUSED_PAD src0_sel:WORD_1
	v_pack_b32_f16 v228, v40, v41
	v_cvt_f32_f16_e32 v40, v153
	v_cvt_f32_f16_sdwa v41, v153 dst_sel:DWORD dst_unused:UNUSED_PAD src0_sel:WORD_1
	v_accvgpr_write_b32 a0, v38
	v_accvgpr_write_b32 a1, v39
	;; [unrolled: 1-line block ×4, first 2 shown]
	v_accvgpr_read_b32 v163, a44
	ds_read_u16 v153, v183 offset:16896
	v_mfma_f32_16x16x16f16 a[0:3], v[168:169], v[36:37], a[0:3]
	ds_read_u16 v163, v163 offset:528
	ds_read_u16 v165, v234 offset:1056
	;; [unrolled: 1-line block ×3, first 2 shown]
	s_waitcnt lgkmcnt(2)
	v_perm_b32 v168, v163, v153, s98
	s_waitcnt lgkmcnt(0)
	v_perm_b32 v169, v166, v165, s98
	s_nop 3
	v_accvgpr_read_b32 v38, a0
	v_cvt_f16_f32_e32 v38, v38
	v_accvgpr_read_b32 v39, a1
	v_accvgpr_read_b32 v40, a2
	;; [unrolled: 1-line block ×3, first 2 shown]
	v_cvt_f16_f32_e32 v39, v39
	v_cvt_f16_f32_e32 v40, v40
	;; [unrolled: 1-line block ×3, first 2 shown]
	v_cvt_f32_f16_e32 v38, v38
	v_cvt_f32_f16_e32 v39, v39
	;; [unrolled: 1-line block ×4, first 2 shown]
	v_accvgpr_write_b32 a0, v38
	v_accvgpr_write_b32 a1, v39
	;; [unrolled: 1-line block ×4, first 2 shown]
	s_nop 1
	v_mfma_f32_16x16x16f16 a[0:3], v[168:169], v[34:35], a[0:3]
	ds_read_u16 v163, v149 offset:320
	ds_read_u16 v165, v235 offset:528
	;; [unrolled: 1-line block ×4, first 2 shown]
	s_waitcnt lgkmcnt(0)
	v_perm_b32 v169, v168, v166, s98
	v_perm_b32 v168, v165, v163, s98
	v_accvgpr_read_b32 v165, a47
	s_nop 2
	v_accvgpr_read_b32 v38, a0
	v_accvgpr_read_b32 v39, a1
	v_cvt_f16_f32_e32 v38, v38
	v_cvt_f16_f32_e32 v39, v39
	v_accvgpr_read_b32 v40, a2
	v_accvgpr_read_b32 v41, a3
	v_cvt_f16_f32_e32 v40, v40
	v_cvt_f16_f32_e32 v41, v41
	v_pack_b32_f16 v153, v38, v39
	v_cvt_f32_f16_e32 v38, v156
	v_cvt_f32_f16_sdwa v39, v156 dst_sel:DWORD dst_unused:UNUSED_PAD src0_sel:WORD_1
	v_pack_b32_f16 v224, v40, v41
	v_cvt_f32_f16_e32 v40, v154
	v_cvt_f32_f16_sdwa v41, v154 dst_sel:DWORD dst_unused:UNUSED_PAD src0_sel:WORD_1
	v_accvgpr_write_b32 a0, v38
	v_accvgpr_write_b32 a1, v39
	;; [unrolled: 1-line block ×4, first 2 shown]
	v_accvgpr_read_b32 v156, a46
	ds_read_u16 v154, v179 offset:16896
	v_mfma_f32_16x16x16f16 a[0:3], v[168:169], v[36:37], a[0:3]
	ds_read_u16 v156, v156 offset:528
	ds_read_u16 v163, v236 offset:1056
	;; [unrolled: 1-line block ×3, first 2 shown]
	s_waitcnt lgkmcnt(2)
	v_perm_b32 v168, v156, v154, s98
	s_waitcnt lgkmcnt(0)
	v_perm_b32 v169, v165, v163, s98
	s_nop 3
	v_accvgpr_read_b32 v38, a0
	v_cvt_f16_f32_e32 v38, v38
	v_accvgpr_read_b32 v39, a1
	v_accvgpr_read_b32 v40, a2
	;; [unrolled: 1-line block ×3, first 2 shown]
	v_cvt_f16_f32_e32 v39, v39
	v_cvt_f16_f32_e32 v40, v40
	v_cvt_f16_f32_e32 v41, v41
	v_cvt_f32_f16_e32 v38, v38
	v_cvt_f32_f16_e32 v39, v39
	v_cvt_f32_f16_e32 v40, v40
	v_cvt_f32_f16_e32 v41, v41
	v_accvgpr_write_b32 a0, v38
	v_accvgpr_write_b32 a1, v39
	;; [unrolled: 1-line block ×4, first 2 shown]
	s_nop 1
	v_mfma_f32_16x16x16f16 a[0:3], v[168:169], v[34:35], a[0:3]
	ds_read_u16 v163, v149 offset:352
	ds_read_u16 v165, v206 offset:528
	;; [unrolled: 1-line block ×4, first 2 shown]
	s_waitcnt lgkmcnt(0)
	v_perm_b32 v169, v168, v166, s98
	v_perm_b32 v168, v165, v163, s98
	s_nop 3
	v_accvgpr_read_b32 v38, a0
	v_accvgpr_read_b32 v39, a1
	v_cvt_f16_f32_e32 v38, v38
	v_cvt_f16_f32_e32 v39, v39
	v_accvgpr_read_b32 v40, a2
	v_accvgpr_read_b32 v41, a3
	v_cvt_f16_f32_e32 v40, v40
	v_cvt_f16_f32_e32 v41, v41
	v_pack_b32_f16 v156, v38, v39
	v_cvt_f32_f16_e32 v38, v159
	v_cvt_f32_f16_sdwa v39, v159 dst_sel:DWORD dst_unused:UNUSED_PAD src0_sel:WORD_1
	v_pack_b32_f16 v154, v40, v41
	v_cvt_f32_f16_e32 v40, v157
	v_cvt_f32_f16_sdwa v41, v157 dst_sel:DWORD dst_unused:UNUSED_PAD src0_sel:WORD_1
	v_accvgpr_write_b32 a0, v38
	v_accvgpr_write_b32 a1, v39
	;; [unrolled: 1-line block ×4, first 2 shown]
	v_accvgpr_read_b32 v159, a48
	ds_read_u16 v157, v182 offset:16896
	v_mfma_f32_16x16x16f16 a[0:3], v[168:169], v[36:37], a[0:3]
	ds_read_u16 v159, v159 offset:528
	ds_read_u16 v163, v205 offset:1056
	;; [unrolled: 1-line block ×3, first 2 shown]
	s_waitcnt lgkmcnt(2)
	v_perm_b32 v168, v159, v157, s98
	s_waitcnt lgkmcnt(0)
	v_perm_b32 v169, v165, v163, s98
	s_nop 3
	v_accvgpr_read_b32 v38, a0
	v_cvt_f16_f32_e32 v38, v38
	v_accvgpr_read_b32 v39, a1
	v_accvgpr_read_b32 v40, a2
	;; [unrolled: 1-line block ×3, first 2 shown]
	v_cvt_f16_f32_e32 v39, v39
	v_cvt_f16_f32_e32 v40, v40
	;; [unrolled: 1-line block ×3, first 2 shown]
	v_cvt_f32_f16_e32 v38, v38
	v_cvt_f32_f16_e32 v39, v39
	;; [unrolled: 1-line block ×4, first 2 shown]
	v_accvgpr_write_b32 a0, v38
	v_accvgpr_write_b32 a1, v39
	v_accvgpr_write_b32 a2, v40
	v_accvgpr_write_b32 a3, v41
	s_nop 1
	v_mfma_f32_16x16x16f16 a[0:3], v[168:169], v[34:35], a[0:3]
	ds_read_u16 v165, v149 offset:384
	ds_read_u16 v166, v204 offset:528
	;; [unrolled: 1-line block ×4, first 2 shown]
	s_waitcnt lgkmcnt(0)
	v_perm_b32 v163, v168, v163, s98
	s_nop 4
	v_accvgpr_read_b32 v38, a0
	v_accvgpr_read_b32 v39, a1
	v_cvt_f16_f32_e32 v38, v38
	v_cvt_f16_f32_e32 v39, v39
	v_accvgpr_read_b32 v40, a2
	v_accvgpr_read_b32 v41, a3
	v_cvt_f16_f32_e32 v40, v40
	v_cvt_f16_f32_e32 v41, v41
	v_pack_b32_f16 v159, v38, v39
	v_cvt_f32_f16_e32 v38, v162
	v_cvt_f32_f16_sdwa v39, v162 dst_sel:DWORD dst_unused:UNUSED_PAD src0_sel:WORD_1
	v_pack_b32_f16 v157, v40, v41
	v_cvt_f32_f16_e32 v40, v160
	v_cvt_f32_f16_sdwa v41, v160 dst_sel:DWORD dst_unused:UNUSED_PAD src0_sel:WORD_1
	v_perm_b32 v162, v166, v165, s98
	v_accvgpr_write_b32 a0, v38
	v_accvgpr_write_b32 a1, v39
	;; [unrolled: 1-line block ×4, first 2 shown]
	s_nop 1
	v_mfma_f32_16x16x16f16 a[0:3], v[162:163], v[36:37], a[0:3]
	ds_read_u16 v160, v185 offset:16896
	ds_read_u16 v162, v178 offset:528
	ds_read_u16 v163, v222 offset:1056
	ds_read_u16 v165, v158 offset:16896
	s_waitcnt lgkmcnt(2)
	v_perm_b32 v162, v162, v160, s98
	s_waitcnt lgkmcnt(0)
	v_perm_b32 v163, v165, v163, s98
	s_nop 2
	v_accvgpr_read_b32 v38, a0
	v_cvt_f16_f32_e32 v38, v38
	v_accvgpr_read_b32 v39, a1
	v_accvgpr_read_b32 v40, a2
	v_accvgpr_read_b32 v41, a3
	v_cvt_f16_f32_e32 v39, v39
	v_cvt_f16_f32_e32 v40, v40
	v_cvt_f16_f32_e32 v41, v41
	v_cvt_f32_f16_e32 v38, v38
	v_cvt_f32_f16_e32 v39, v39
	v_cvt_f32_f16_e32 v40, v40
	v_cvt_f32_f16_e32 v41, v41
	v_accvgpr_write_b32 a0, v38
	v_accvgpr_write_b32 a1, v39
	v_accvgpr_write_b32 a2, v40
	v_accvgpr_write_b32 a3, v41
	s_nop 1
	v_mfma_f32_16x16x16f16 a[0:3], v[162:163], v[34:35], a[0:3]
	ds_read_u16 v163, v149 offset:416
	ds_read_u16 v165, v223 offset:528
	ds_read_u16 v166, v223 offset:1056
	ds_read_u16 v168, v151 offset:416
	s_waitcnt lgkmcnt(0)
	v_perm_b32 v169, v168, v166, s98
	v_perm_b32 v168, v165, v163, s98
	s_nop 3
	v_accvgpr_read_b32 v38, a0
	v_accvgpr_read_b32 v39, a1
	v_cvt_f16_f32_e32 v38, v38
	v_cvt_f16_f32_e32 v39, v39
	v_accvgpr_read_b32 v40, a2
	v_accvgpr_read_b32 v41, a3
	v_cvt_f16_f32_e32 v40, v40
	v_cvt_f16_f32_e32 v41, v41
	v_pack_b32_f16 v162, v38, v39
	v_cvt_f32_f16_e32 v38, v121
	v_cvt_f32_f16_sdwa v39, v121 dst_sel:DWORD dst_unused:UNUSED_PAD src0_sel:WORD_1
	v_pack_b32_f16 v160, v40, v41
	v_cvt_f32_f16_e32 v40, v216
	v_cvt_f32_f16_sdwa v41, v216 dst_sel:DWORD dst_unused:UNUSED_PAD src0_sel:WORD_1
	v_accvgpr_write_b32 a0, v38
	v_accvgpr_write_b32 a1, v39
	v_accvgpr_write_b32 a2, v40
	v_accvgpr_write_b32 a3, v41
	ds_read_u16 v121, v189 offset:16896
	ds_read_u16 v163, v188 offset:528
	ds_read_u16 v165, v227 offset:1056
	ds_read_u16 v166, v155 offset:16896
	v_mfma_f32_16x16x16f16 a[0:3], v[168:169], v[36:37], a[0:3]
	s_waitcnt lgkmcnt(2)
	v_perm_b32 v168, v163, v121, s98
	s_waitcnt lgkmcnt(0)
	v_perm_b32 v169, v166, v165, s98
	s_nop 6
	v_accvgpr_read_b32 v38, a0
	v_cvt_f16_f32_e32 v38, v38
	v_accvgpr_read_b32 v39, a1
	v_accvgpr_read_b32 v40, a2
	v_accvgpr_read_b32 v41, a3
	v_cvt_f16_f32_e32 v39, v39
	v_cvt_f16_f32_e32 v40, v40
	v_cvt_f16_f32_e32 v41, v41
	v_cvt_f32_f16_e32 v38, v38
	v_cvt_f32_f16_e32 v39, v39
	v_cvt_f32_f16_e32 v40, v40
	v_cvt_f32_f16_e32 v41, v41
	v_accvgpr_write_b32 a0, v38
	v_accvgpr_write_b32 a1, v39
	v_accvgpr_write_b32 a2, v40
	v_accvgpr_write_b32 a3, v41
	s_nop 1
	v_mfma_f32_16x16x16f16 a[0:3], v[168:169], v[34:35], a[0:3]
	ds_read_u16 v163, v149 offset:448
	ds_read_u16 v165, v215 offset:528
	ds_read_u16 v166, v215 offset:1056
	ds_read_u16 v168, v151 offset:448
	s_waitcnt lgkmcnt(0)
	v_perm_b32 v169, v168, v166, s98
	v_perm_b32 v168, v165, v163, s98
	s_nop 3
	v_accvgpr_read_b32 v38, a0
	v_accvgpr_read_b32 v39, a1
	v_cvt_f16_f32_e32 v38, v38
	v_cvt_f16_f32_e32 v39, v39
	v_accvgpr_read_b32 v40, a2
	v_accvgpr_read_b32 v41, a3
	v_cvt_f16_f32_e32 v40, v40
	v_cvt_f16_f32_e32 v41, v41
	v_pack_b32_f16 v121, v38, v39
	v_cvt_f32_f16_e32 v38, v202
	v_cvt_f32_f16_sdwa v39, v202 dst_sel:DWORD dst_unused:UNUSED_PAD src0_sel:WORD_1
	v_pack_b32_f16 v216, v40, v41
	v_cvt_f32_f16_e32 v40, v115
	v_cvt_f32_f16_sdwa v41, v115 dst_sel:DWORD dst_unused:UNUSED_PAD src0_sel:WORD_1
	v_accvgpr_write_b32 a0, v38
	v_accvgpr_write_b32 a1, v39
	v_accvgpr_write_b32 a2, v40
	v_accvgpr_write_b32 a3, v41
	ds_read_u16 v115, v192 offset:16896
	ds_read_u16 v163, v161 offset:528
	ds_read_u16 v165, v200 offset:1056
	ds_read_u16 v166, v193 offset:16896
	v_mfma_f32_16x16x16f16 a[0:3], v[168:169], v[36:37], a[0:3]
	;; [unrolled: 54-line block ×3, first 2 shown]
	s_waitcnt lgkmcnt(0)
	v_perm_b32 v40, v163, v40, s98
	s_barrier
	v_perm_b32 v41, v165, v41, s98
	s_nop 6
	v_accvgpr_read_b32 v36, a0
	v_cvt_f16_f32_e32 v36, v36
	v_accvgpr_read_b32 v37, a1
	v_accvgpr_read_b32 v38, a2
	;; [unrolled: 1-line block ×3, first 2 shown]
	v_cvt_f16_f32_e32 v37, v37
	v_cvt_f16_f32_e32 v38, v38
	v_cvt_f16_f32_e32 v39, v39
	v_cvt_f32_f16_e32 v36, v36
	v_cvt_f32_f16_e32 v37, v37
	;; [unrolled: 1-line block ×4, first 2 shown]
	v_accvgpr_write_b32 a0, v36
	v_accvgpr_write_b32 a1, v37
	;; [unrolled: 1-line block ×4, first 2 shown]
	s_nop 1
	v_mfma_f32_16x16x16f16 a[0:3], v[40:41], v[34:35], a[0:3]
	s_nop 7
	s_nop 2
	v_accvgpr_read_b32 v34, a0
	v_accvgpr_read_b32 v35, a1
	v_cvt_f16_f32_e32 v34, v34
	v_cvt_f16_f32_e32 v35, v35
	v_accvgpr_read_b32 v36, a2
	v_accvgpr_read_b32 v37, a3
	v_cvt_f16_f32_e32 v36, v36
	v_pack_b32_f16 v232, v34, v35
	v_mov_b32_e32 v34, s87
	v_addc_co_u32_e32 v1, vcc, v1, v34, vcc
	v_add_co_u32_e32 v92, vcc, s86, v92
	v_addc_co_u32_e32 v43, vcc, v43, v34, vcc
	v_add_co_u32_e32 v94, vcc, s86, v94
	;; [unrolled: 2-line block ×8, first 2 shown]
	v_mov_b32_e32 v34, s89
	v_addc_co_u32_e32 v97, vcc, v97, v34, vcc
	v_add_co_u32_e32 v108, vcc, s88, v108
	v_addc_co_u32_e32 v99, vcc, v99, v34, vcc
	v_add_co_u32_e32 v110, vcc, s88, v110
	;; [unrolled: 2-line block ×13, first 2 shown]
	v_cvt_f16_f32_e32 v37, v37
	v_addc_co_u32_e32 v133, vcc, 0, v133, vcc
	v_add_co_u32_e32 v134, vcc, 0x80, v134
	v_addc_co_u32_e32 v135, vcc, 0, v135, vcc
	v_add_co_u32_e32 v136, vcc, 0x80, v136
	v_pack_b32_f16 v168, v36, v37
	v_addc_co_u32_e32 v137, vcc, 0, v137, vcc
	s_cbranch_scc0 .LBB29_217
; %bb.215:                              ;   in Loop: Header=BB29_212 Depth=2
	v_mov_b32_e32 v163, v147
	v_mov_b32_e32 v165, v85
	v_cndmask_b32_e64 v34, 0, 1, s[48:49]
	v_cmp_ne_u32_e64 s[50:51], 1, v34
	s_andn2_b64 vcc, exec, s[48:49]
	s_cbranch_vccz .LBB29_207
	s_branch .LBB29_212
.LBB29_216:                             ;   in Loop: Header=BB29_14 Depth=1
	v_mov_b32_e32 v147, 0
	v_mov_b32_e32 v85, 0xfeffffff
	;; [unrolled: 1-line block ×33, first 2 shown]
	s_branch .LBB29_218
.LBB29_217:                             ;   in Loop: Header=BB29_14 Depth=1
	v_accvgpr_read_b32 v165, a8
	v_accvgpr_read_b32 v100, a22
	;; [unrolled: 1-line block ×12, first 2 shown]
.LBB29_218:                             ;   in Loop: Header=BB29_14 Depth=1
	s_lshl_b32 s42, s42, 6
	v_readlane_b32 s48, v254, 4
	v_cmp_eq_u64_e32 vcc, 0, v[86:87]
	s_mov_b64 s[82:83], s[64:65]
	s_sub_i32 s44, s48, s42
	v_cmp_ne_u64_e64 s[64:65], 0, v[86:87]
	v_readlane_b32 s49, v254, 5
	s_cbranch_vccnz .LBB29_228
; %bb.219:                              ;   in Loop: Header=BB29_14 Depth=1
	v_cmp_le_i32_e32 vcc, s44, v100
                                        ; implicit-def: $sgpr52
	s_and_saveexec_b64 s[48:49], vcc
	s_xor_b64 s[48:49], exec, s[48:49]
	s_cbranch_execz .LBB29_221
; %bb.220:                              ;   in Loop: Header=BB29_14 Depth=1
	v_accvgpr_read_b32 v1, a69
	ds_write_b16 v1, v203 offset:33792
	v_accvgpr_read_b32 v1, a161
	ds_write_b16 v1, v203 offset:33792
	s_mov_b32 s52, 0
                                        ; implicit-def: $vgpr249
                                        ; implicit-def: $vgpr251
                                        ; implicit-def: $vgpr218
                                        ; implicit-def: $vgpr220
.LBB29_221:                             ;   in Loop: Header=BB29_14 Depth=1
	s_or_saveexec_b64 s[50:51], s[48:49]
	s_lshl_b64 s[48:49], s[42:43], 1
	v_mov_b32_e32 v1, s49
	v_add_co_u32_e64 v34, s[48:49], s48, v86
	v_addc_co_u32_e64 v35, s[48:49], v87, v1, s[48:49]
	v_lshlrev_b32_e32 v1, 1, v100
	v_add_co_u32_e64 v1, s[48:49], v34, v1
	v_addc_co_u32_e64 v34, s[48:49], 0, v35, s[48:49]
	v_mov_b32_e32 v35, s52
	v_mov_b32_e32 v36, s52
	s_xor_b64 exec, exec, s[50:51]
	s_cbranch_execz .LBB29_223
; %bb.222:                              ;   in Loop: Header=BB29_14 Depth=1
	v_readlane_b32 s52, v254, 14
	v_mul_hi_u32 v35, s52, v249
	v_readlane_b32 s53, v254, 15
	v_add_u32_e32 v35, v249, v35
	v_lshrrev_b32_e32 v35, s53, v35
	v_mul_lo_u32 v35, v35, s76
	v_readlane_b32 s48, v255, 20
	v_sub_u32_e32 v35, v249, v35
	v_readlane_b32 s49, v255, 21
	s_mov_b32 s40, s48
	v_mad_i64_i32 v[36:37], s[48:49], v35, s40, 0
	v_lshlrev_b64 v[36:37], 1, v[36:37]
	v_add_co_u32_e64 v36, s[48:49], v1, v36
	v_addc_co_u32_e64 v37, s[48:49], v34, v37, s[48:49]
	flat_load_ushort v35, v[36:37]
	v_mul_hi_u32 v36, s52, v251
	v_add_u32_e32 v36, v251, v36
	v_lshrrev_b32_e32 v36, s53, v36
	v_mul_lo_u32 v36, v36, s76
	v_sub_u32_e32 v36, v251, v36
	v_mad_i64_i32 v[36:37], s[48:49], v36, s40, 0
	v_lshlrev_b64 v[36:37], 1, v[36:37]
	v_add_co_u32_e64 v36, s[48:49], v1, v36
	v_addc_co_u32_e64 v37, s[48:49], v34, v37, s[48:49]
	flat_load_ushort v36, v[36:37]
	v_accvgpr_read_b32 v37, a69
	s_waitcnt vmcnt(0) lgkmcnt(0)
	ds_write_b16 v37, v35 offset:33792
	v_accvgpr_read_b32 v35, a161
	ds_write_b16 v35, v36 offset:33792
	v_mul_hi_u32 v35, s52, v218
	v_add_u32_e32 v35, v218, v35
	v_lshrrev_b32_e32 v35, s53, v35
	v_mul_lo_u32 v35, v35, s76
	v_sub_u32_e32 v35, v218, v35
	v_mad_i64_i32 v[36:37], s[48:49], v35, s40, 0
	v_lshlrev_b64 v[36:37], 1, v[36:37]
	v_add_co_u32_e64 v36, s[48:49], v1, v36
	v_addc_co_u32_e64 v37, s[48:49], v34, v37, s[48:49]
	flat_load_ushort v35, v[36:37]
	v_mul_hi_u32 v36, s52, v220
	v_add_u32_e32 v36, v220, v36
	v_lshrrev_b32_e32 v36, s53, v36
	v_mul_lo_u32 v36, v36, s76
	v_sub_u32_e32 v36, v220, v36
	v_mad_i64_i32 v[36:37], s[48:49], v36, s40, 0
	v_lshlrev_b64 v[36:37], 1, v[36:37]
	v_add_co_u32_e64 v36, s[48:49], v1, v36
	v_addc_co_u32_e64 v37, s[48:49], v34, v37, s[48:49]
	flat_load_ushort v36, v[36:37]
.LBB29_223:                             ;   in Loop: Header=BB29_14 Depth=1
	s_or_b64 exec, exec, s[50:51]
	v_accvgpr_read_b32 v37, a162
	s_waitcnt vmcnt(0) lgkmcnt(0)
	ds_write_b16 v37, v35 offset:33792
	v_accvgpr_read_b32 v35, a163
	ds_write_b16 v35, v36 offset:33792
                                        ; implicit-def: $sgpr50
	s_and_saveexec_b64 s[48:49], vcc
	s_xor_b64 s[48:49], exec, s[48:49]
	s_cbranch_execz .LBB29_225
; %bb.224:                              ;   in Loop: Header=BB29_14 Depth=1
	v_accvgpr_read_b32 v1, a164
	ds_write_b16 v1, v203 offset:33792
	v_accvgpr_read_b32 v1, a165
	ds_write_b16 v1, v203 offset:33792
	s_mov_b32 s50, 0
                                        ; implicit-def: $vgpr247
                                        ; implicit-def: $vgpr1
                                        ; implicit-def: $vgpr34
                                        ; implicit-def: $vgpr225
                                        ; implicit-def: $vgpr197
                                        ; implicit-def: $vgpr113
.LBB29_225:                             ;   in Loop: Header=BB29_14 Depth=1
	s_or_saveexec_b64 s[48:49], s[48:49]
	v_mov_b32_e32 v35, s50
	v_mov_b32_e32 v36, s50
	s_xor_b64 exec, exec, s[48:49]
	s_cbranch_execz .LBB29_227
; %bb.226:                              ;   in Loop: Header=BB29_14 Depth=1
	v_readlane_b32 s52, v254, 14
	v_mul_hi_u32 v35, s52, v247
	v_readlane_b32 s53, v254, 15
	v_add_u32_e32 v35, v247, v35
	v_lshrrev_b32_e32 v35, s53, v35
	v_mul_lo_u32 v35, v35, s76
	v_readlane_b32 s50, v255, 20
	v_sub_u32_e32 v35, v247, v35
	v_readlane_b32 s51, v255, 21
	s_mov_b32 s40, s50
	v_mad_i64_i32 v[36:37], s[50:51], v35, s40, 0
	v_lshlrev_b64 v[36:37], 1, v[36:37]
	v_add_co_u32_e32 v36, vcc, v1, v36
	v_addc_co_u32_e32 v37, vcc, v34, v37, vcc
	flat_load_ushort v35, v[36:37]
	v_mul_hi_u32 v36, s52, v225
	v_add_u32_e32 v36, v225, v36
	v_lshrrev_b32_e32 v36, s53, v36
	v_mul_lo_u32 v36, v36, s76
	v_sub_u32_e32 v36, v225, v36
	v_mad_i64_i32 v[36:37], s[50:51], v36, s40, 0
	v_lshlrev_b64 v[36:37], 1, v[36:37]
	v_add_co_u32_e32 v36, vcc, v1, v36
	v_addc_co_u32_e32 v37, vcc, v34, v37, vcc
	flat_load_ushort v36, v[36:37]
	v_accvgpr_read_b32 v37, a164
	s_waitcnt vmcnt(0) lgkmcnt(0)
	ds_write_b16 v37, v35 offset:33792
	v_accvgpr_read_b32 v35, a165
	ds_write_b16 v35, v36 offset:33792
	v_mul_hi_u32 v35, s52, v197
	v_add_u32_e32 v35, v197, v35
	v_lshrrev_b32_e32 v35, s53, v35
	v_mul_lo_u32 v35, v35, s76
	v_sub_u32_e32 v35, v197, v35
	v_mad_i64_i32 v[36:37], s[50:51], v35, s40, 0
	v_lshlrev_b64 v[36:37], 1, v[36:37]
	v_add_co_u32_e32 v36, vcc, v1, v36
	v_addc_co_u32_e32 v37, vcc, v34, v37, vcc
	flat_load_ushort v35, v[36:37]
	v_mul_hi_u32 v36, s52, v113
	v_add_u32_e32 v36, v113, v36
	v_lshrrev_b32_e32 v36, s53, v36
	v_mul_lo_u32 v36, v36, s76
	v_sub_u32_e32 v36, v113, v36
	v_mad_i64_i32 v[36:37], s[50:51], v36, s40, 0
	v_lshlrev_b64 v[36:37], 1, v[36:37]
	v_add_co_u32_e32 v36, vcc, v1, v36
	v_addc_co_u32_e32 v37, vcc, v34, v37, vcc
	flat_load_ushort v36, v[36:37]
.LBB29_227:                             ;   in Loop: Header=BB29_14 Depth=1
	s_or_b64 exec, exec, s[48:49]
	v_accvgpr_read_b32 v1, a166
	s_waitcnt vmcnt(0) lgkmcnt(0)
	ds_write_b16 v1, v35 offset:33792
	v_accvgpr_read_b32 v1, a167
	ds_write_b16 v1, v36 offset:33792
.LBB29_228:                             ;   in Loop: Header=BB29_14 Depth=1
	s_mul_i32 s48, s42, s47
	s_mul_hi_u32 s49, s42, s46
	s_add_i32 s49, s49, s48
	s_mul_i32 s48, s42, s46
	s_lshl_b64 s[48:49], s[48:49], 2
	s_add_u32 s62, s92, s48
	s_addc_u32 s63, s93, s49
	v_mov_b32_e32 v1, s63
	v_add_co_u32_e32 v34, vcc, s62, v66
	v_accvgpr_read_b32 v36, a24
	v_addc_co_u32_e32 v1, vcc, v1, v67, vcc
	v_lshlrev_b32_e32 v88, 2, v36
	v_add_co_u32_e32 v34, vcc, v34, v88
	v_accvgpr_read_b32 v197, a21
	v_addc_co_u32_e32 v1, vcc, 0, v1, vcc
	v_mov_b32_e32 v40, s5
	v_cmp_gt_i32_e64 s[48:49], s44, v197
	v_cndmask_b32_e64 v35, v40, v1, s[48:49]
	v_mov_b32_e32 v1, s4
	buffer_store_dword v203, off, s[0:3], 0
	buffer_store_dword v203, off, s[0:3], 0 offset:4
	buffer_store_dword v203, off, s[0:3], 0 offset:8
	;; [unrolled: 1-line block ×3, first 2 shown]
	v_cndmask_b32_e64 v34, v1, v34, s[48:49]
	flat_load_dwordx4 v[34:37], v[34:35]
	v_mov_b32_e32 v38, s63
	v_add_co_u32_e32 v39, vcc, s62, v68
	v_addc_co_u32_e32 v38, vcc, v38, v69, vcc
	v_add_co_u32_e32 v41, vcc, v39, v88
	v_addc_co_u32_e32 v38, vcc, 0, v38, vcc
	v_cmp_gt_i32_e64 s[50:51], s44, v120
	v_cndmask_b32_e64 v39, v40, v38, s[50:51]
	v_cndmask_b32_e64 v38, v1, v41, s[50:51]
	v_cmp_gt_i32_e64 s[52:53], s44, v122
	v_cmp_gt_i32_e64 s[54:55], s44, v129
	s_waitcnt vmcnt(0) lgkmcnt(0)
	ds_write_b128 v148, v[34:37]
	flat_load_dwordx4 v[34:37], v[38:39]
	v_mov_b32_e32 v38, s63
	v_add_co_u32_e32 v39, vcc, s62, v70
	v_addc_co_u32_e32 v38, vcc, v38, v71, vcc
	v_add_co_u32_e32 v41, vcc, v39, v88
	v_addc_co_u32_e32 v38, vcc, 0, v38, vcc
	v_cndmask_b32_e64 v39, v40, v38, s[52:53]
	v_cndmask_b32_e64 v38, v1, v41, s[52:53]
	s_waitcnt vmcnt(0) lgkmcnt(0)
	ds_write_b128 v117, v[34:37]
	flat_load_dwordx4 v[34:37], v[38:39]
	v_mov_b32_e32 v38, s63
	v_add_co_u32_e32 v39, vcc, s62, v72
	v_addc_co_u32_e32 v38, vcc, v38, v73, vcc
	v_add_co_u32_e32 v41, vcc, v39, v88
	v_addc_co_u32_e32 v38, vcc, 0, v38, vcc
	v_cndmask_b32_e64 v39, v40, v38, s[54:55]
	v_cndmask_b32_e64 v38, v1, v41, s[54:55]
	s_waitcnt vmcnt(0) lgkmcnt(0)
	ds_write_b128 v0, v[34:37]
	flat_load_dwordx4 v[34:37], v[38:39]
	v_mov_b32_e32 v38, s63
	v_add_co_u32_e32 v39, vcc, s62, v74
	v_addc_co_u32_e32 v38, vcc, v38, v75, vcc
	v_add_co_u32_e32 v41, vcc, v39, v88
	v_accvgpr_read_b32 v39, a171
	v_addc_co_u32_e32 v38, vcc, 0, v38, vcc
	v_cmp_gt_i32_e64 s[56:57], s44, v39
	v_cndmask_b32_e64 v39, v40, v38, s[56:57]
	v_cndmask_b32_e64 v38, v1, v41, s[56:57]
	s_waitcnt vmcnt(0) lgkmcnt(0)
	ds_write_b128 v47, v[34:37]
	flat_load_dwordx4 v[34:37], v[38:39]
	v_mov_b32_e32 v38, s63
	v_add_co_u32_e32 v39, vcc, s62, v76
	v_addc_co_u32_e32 v38, vcc, v38, v77, vcc
	v_add_co_u32_e32 v41, vcc, v39, v88
	v_accvgpr_read_b32 v39, a172
	v_addc_co_u32_e32 v38, vcc, 0, v38, vcc
	v_cmp_gt_i32_e64 s[58:59], s44, v39
	;; [unrolled: 12-line block ×4, first 2 shown]
	v_cndmask_b32_e64 v39, v40, v38, s[62:63]
	v_cndmask_b32_e64 v38, v1, v41, s[62:63]
	v_add_u32_e32 v1, 0x4000, v198
	s_andn2_b64 vcc, exec, s[64:65]
	s_waitcnt vmcnt(0) lgkmcnt(0)
	ds_write_b128 v246, v[34:37]
	flat_load_dwordx4 v[34:37], v[38:39]
	s_waitcnt vmcnt(0) lgkmcnt(0)
	ds_write_b128 v248, v[34:37]
	s_waitcnt lgkmcnt(0)
	s_barrier
	ds_read2_b64 v[34:37], v198 offset1:4
	ds_read2_b64 v[38:41], v1 offset0:64 offset1:68
	s_waitcnt lgkmcnt(1)
	v_mfma_f32_16x16x16f16 a[0:3], v[34:35], v[30:31], 0
	s_waitcnt lgkmcnt(0)
	v_mfma_f32_16x16x16f16 a[4:7], v[38:39], v[30:31], 0
	v_mfma_f32_16x16x16f16 a[0:3], v[36:37], v[32:33], a[0:3]
	ds_read2_b64 v[34:37], v1 offset0:72 offset1:76
	v_mfma_f32_16x16x16f16 a[4:7], v[40:41], v[32:33], a[4:7]
	ds_read2_b64 v[30:33], v198 offset0:8 offset1:12
	s_waitcnt lgkmcnt(0)
	v_mfma_f32_16x16x16f16 a[0:3], v[30:31], v[26:27], a[0:3]
	v_mfma_f32_16x16x16f16 a[4:7], v[34:35], v[26:27], a[4:7]
	v_mfma_f32_16x16x16f16 a[0:3], v[32:33], v[28:29], a[0:3]
	ds_read2_b64 v[30:33], v1 offset0:80 offset1:84
	v_mfma_f32_16x16x16f16 a[4:7], v[36:37], v[28:29], a[4:7]
	ds_read2_b64 v[26:29], v198 offset0:16 offset1:20
	s_waitcnt lgkmcnt(0)
	v_mfma_f32_16x16x16f16 a[0:3], v[26:27], v[22:23], a[0:3]
	;; [unrolled: 7-line block ×6, first 2 shown]
	v_mfma_f32_16x16x16f16 a[4:7], v[14:15], v[6:7], a[4:7]
	v_mfma_f32_16x16x16f16 a[0:3], v[12:13], v[8:9], a[0:3]
	ds_read2_b64 v[10:13], v1 offset0:120 offset1:124
	v_mfma_f32_16x16x16f16 a[4:7], v[16:17], v[8:9], a[4:7]
	ds_read2_b64 v[6:9], v198 offset0:56 offset1:60
	s_waitcnt lgkmcnt(0)
	s_barrier
	v_mfma_f32_16x16x16f16 a[0:3], v[6:7], v[2:3], a[0:3]
	v_mfma_f32_16x16x16f16 a[4:7], v[10:11], v[2:3], a[4:7]
	;; [unrolled: 1-line block ×4, first 2 shown]
	s_cbranch_vccnz .LBB29_230
; %bb.229:                              ;   in Loop: Header=BB29_14 Depth=1
	v_accvgpr_read_b32 v1, a70
	v_add_u32_e32 v1, 0x8400, v1
	ds_read2_b32 v[10:11], v1 offset1:1
	v_accvgpr_read_b32 v1, a72
	ds_read_b32 v1, v1 offset:33792
	s_nop 3
	v_accvgpr_read_b32 v9, a3
	v_accvgpr_read_b32 v7, a1
	s_waitcnt lgkmcnt(1)
	v_cvt_f32_f16_e32 v12, v10
	v_cvt_f32_f16_sdwa v13, v10 dst_sel:DWORD dst_unused:UNUSED_PAD src0_sel:WORD_1
	v_accvgpr_read_b32 v6, a0
	v_accvgpr_read_b32 v8, a2
	v_cvt_f32_f16_e32 v10, v11
	v_pk_fma_f32 v[6:7], v[84:85], v[12:13], v[6:7] op_sel_hi:[0,1,1]
	v_accvgpr_write_b32 a0, v6
	v_accvgpr_write_b32 a1, v7
	s_waitcnt lgkmcnt(0)
	v_cvt_f32_f16_sdwa v7, v1 dst_sel:DWORD dst_unused:UNUSED_PAD src0_sel:WORD_1
	v_cvt_f32_f16_e32 v6, v1
	v_accvgpr_read_b32 v1, a74
	v_cvt_f32_f16_sdwa v11, v11 dst_sel:DWORD dst_unused:UNUSED_PAD src0_sel:WORD_1
	ds_read_b32 v1, v1 offset:33792
	v_accvgpr_read_b32 v2, a4
	v_accvgpr_read_b32 v3, a5
	v_pk_fma_f32 v[8:9], v[84:85], v[10:11], v[8:9] op_sel_hi:[0,1,1]
	v_accvgpr_write_b32 a2, v8
	v_accvgpr_write_b32 a3, v9
	s_waitcnt lgkmcnt(0)
	v_cvt_f32_f16_sdwa v9, v1 dst_sel:DWORD dst_unused:UNUSED_PAD src0_sel:WORD_1
	v_cvt_f32_f16_e32 v8, v1
	v_accvgpr_read_b32 v4, a6
	v_accvgpr_read_b32 v5, a7
	v_pk_fma_f32 v[2:3], v[84:85], v[6:7], v[2:3] op_sel_hi:[0,1,1]
	v_pk_fma_f32 v[4:5], v[84:85], v[8:9], v[4:5] op_sel_hi:[0,1,1]
	v_accvgpr_write_b32 a4, v2
	v_accvgpr_write_b32 a5, v3
	;; [unrolled: 1-line block ×4, first 2 shown]
.LBB29_230:                             ;   in Loop: Header=BB29_14 Depth=1
	s_nop 7
	s_nop 0
	v_accvgpr_read_b32 v7, a3
	v_accvgpr_read_b32 v4, a0
	v_add_f32_e32 v1, 0x40051340, v4
	v_max_f32_e32 v2, v85, v85
	v_cmp_gt_u32_e64 s[76:77], s44, v101
	v_max_f32_e32 v1, v2, v1
	v_accvgpr_read_b32 v5, a1
	v_cndmask_b32_e64 v1, v85, v1, s[76:77]
	v_accvgpr_read_b32 v2, a175
	v_cmp_gt_u32_e64 s[78:79], s44, v2
	v_add_f32_e32 v2, 0x40051340, v5
	v_max_f32_e32 v3, v1, v1
	v_max_f32_e32 v2, v3, v2
	v_accvgpr_read_b32 v6, a2
	v_cndmask_b32_e64 v1, v1, v2, s[78:79]
	v_accvgpr_read_b32 v2, a176
	v_cmp_gt_u32_e64 s[72:73], s44, v2
	v_add_f32_e32 v2, 0x40051340, v6
	v_max_f32_e32 v3, v1, v1
	v_max_f32_e32 v2, v3, v2
	v_cndmask_b32_e64 v1, v1, v2, s[72:73]
	v_accvgpr_read_b32 v2, a177
	v_cmp_gt_u32_e64 s[70:71], s44, v2
	v_add_f32_e32 v2, 0x40051340, v7
	v_max_f32_e32 v3, v1, v1
	v_accvgpr_read_b32 v11, a7
	v_max_f32_e32 v2, v3, v2
	v_accvgpr_read_b32 v8, a4
	v_cndmask_b32_e64 v1, v1, v2, s[70:71]
	v_add_f32_e32 v2, 0x40051340, v8
	v_max_f32_e32 v3, v1, v1
	v_cmp_gt_u32_e64 s[68:69], s44, v103
	v_max_f32_e32 v2, v3, v2
	v_accvgpr_read_b32 v9, a5
	v_cndmask_b32_e64 v1, v1, v2, s[68:69]
	v_accvgpr_read_b32 v2, a178
	v_cmp_gt_u32_e64 s[66:67], s44, v2
	v_add_f32_e32 v2, 0x40051340, v9
	v_max_f32_e32 v3, v1, v1
	v_max_f32_e32 v2, v3, v2
	v_accvgpr_read_b32 v10, a6
	v_cndmask_b32_e64 v1, v1, v2, s[66:67]
	v_add_f32_e32 v2, 0x40051340, v10
	v_max_f32_e32 v3, v1, v1
	v_cmp_gt_u32_e64 s[64:65], s44, v104
	v_max_f32_e32 v2, v3, v2
	v_cndmask_b32_e64 v1, v1, v2, s[64:65]
	v_accvgpr_read_b32 v2, a179
	v_cmp_gt_u32_e32 vcc, s44, v2
	v_add_f32_e32 v2, 0x40051340, v11
	v_max_f32_e32 v3, v1, v1
	v_max_f32_e32 v2, v3, v2
	v_cndmask_b32_e32 v1, v1, v2, vcc
	v_and_b32_e32 v2, 64, v123
	v_add_u32_e32 v2, 64, v2
	v_xor_b32_e32 v3, 32, v123
	v_cmp_lt_i32_e64 s[80:81], v3, v2
	v_cndmask_b32_e64 v3, v123, v3, s[80:81]
	v_lshlrev_b32_e32 v3, 2, v3
	ds_bpermute_b32 v12, v3, v1
	v_max_f32_e32 v1, v1, v1
	v_cndmask_b32_e64 v6, v6, v6, s[78:79]
	v_cndmask_b32_e64 v7, v7, v7, s[78:79]
	;; [unrolled: 1-line block ×3, first 2 shown]
	s_waitcnt lgkmcnt(0)
	v_max_f32_e32 v12, v12, v12
	v_max_f32_e32 v1, v1, v12
	v_xor_b32_e32 v12, 16, v123
	v_cmp_lt_i32_e64 s[80:81], v12, v2
	v_cndmask_b32_e64 v2, v123, v12, s[80:81]
	v_lshlrev_b32_e32 v37, 2, v2
	ds_bpermute_b32 v2, v37, v1
	v_cndmask_b32_e64 v10, v10, v10, s[68:69]
	s_mul_i32 s44, s42, s9
	buffer_store_dword v203, off, s[0:3], 0
	buffer_store_dword v203, off, s[0:3], 0 offset:4
	buffer_store_dword v203, off, s[0:3], 0 offset:8
	;; [unrolled: 1-line block ×3, first 2 shown]
	v_accvgpr_read_b32 v218, a34
	s_waitcnt lgkmcnt(0)
	v_max_f32_e32 v2, v2, v2
	v_max_f32_e32 v2, v1, v2
	v_sub_f32_e32 v1, v4, v2
	v_mul_f32_e32 v4, 0x3fb8aa3b, v1
	v_fma_f32 v12, v1, s91, -v4
	v_rndne_f32_e32 v13, v4
	v_fmac_f32_e32 v12, 0x32a5705f, v1
	v_sub_f32_e32 v4, v4, v13
	v_add_f32_e32 v4, v4, v12
	v_exp_f32_e32 v4, v4
	v_cvt_i32_f32_e32 v12, v13
	v_cmp_ngt_f32_e64 s[80:81], s96, v1
	v_accvgpr_read_b32 v220, a35
	v_accvgpr_read_b32 v225, a36
	v_ldexp_f32 v4, v4, v12
	v_cndmask_b32_e64 v4, 0, v4, s[80:81]
	v_cmp_nlt_f32_e64 s[80:81], s45, v1
	v_cndmask_b32_e64 v1, v253, v4, s[80:81]
	v_cndmask_b32_e64 v4, 0, v1, s[76:77]
	v_sub_f32_e32 v1, v5, v2
	v_mul_f32_e32 v5, 0x3fb8aa3b, v1
	v_fma_f32 v12, v1, s91, -v5
	v_rndne_f32_e32 v13, v5
	v_fmac_f32_e32 v12, 0x32a5705f, v1
	v_sub_f32_e32 v5, v5, v13
	v_add_f32_e32 v5, v5, v12
	v_exp_f32_e32 v5, v5
	v_cvt_i32_f32_e32 v12, v13
	v_cmp_ngt_f32_e64 s[76:77], s96, v1
	v_accvgpr_read_b32 v233, a37
	v_accvgpr_read_b32 v247, a38
	v_ldexp_f32 v5, v5, v12
	v_cndmask_b32_e64 v5, 0, v5, s[76:77]
	v_cmp_nlt_f32_e64 s[76:77], s45, v1
	v_cndmask_b32_e64 v5, v253, v5, s[76:77]
	v_mov_b32_e32 v1, s43
	v_add_f32_e32 v12, v5, v4
	v_cndmask_b32_e64 v13, v1, v5, s[78:79]
	v_sub_f32_e32 v5, v6, v2
	v_mul_f32_e32 v6, 0x3fb8aa3b, v5
	v_cndmask_b32_e64 v1, v4, v12, s[78:79]
	v_fma_f32 v12, v5, s91, -v6
	v_rndne_f32_e32 v14, v6
	v_fmac_f32_e32 v12, 0x32a5705f, v5
	v_sub_f32_e32 v6, v6, v14
	v_add_f32_e32 v6, v6, v12
	v_exp_f32_e32 v6, v6
	v_cvt_i32_f32_e32 v12, v14
	v_cmp_ngt_f32_e64 s[76:77], s96, v5
	v_cvt_f16_f32_e32 v4, v4
	v_accvgpr_read_b32 v249, a39
	v_ldexp_f32 v6, v6, v12
	v_cndmask_b32_e64 v6, 0, v6, s[76:77]
	v_cmp_nlt_f32_e64 s[76:77], s45, v5
	v_cndmask_b32_e64 v5, v253, v6, s[76:77]
	v_mov_b32_e32 v6, s43
	v_add_f32_e32 v12, v1, v5
	v_cndmask_b32_e64 v14, v6, v5, s[72:73]
	v_sub_f32_e32 v5, v7, v2
	v_mul_f32_e32 v6, 0x3fb8aa3b, v5
	v_cndmask_b32_e64 v1, v1, v12, s[72:73]
	v_fma_f32 v7, v5, s91, -v6
	v_rndne_f32_e32 v12, v6
	v_fmac_f32_e32 v7, 0x32a5705f, v5
	v_sub_f32_e32 v6, v6, v12
	v_add_f32_e32 v6, v6, v7
	v_exp_f32_e32 v6, v6
	v_cvt_i32_f32_e32 v7, v12
	v_cmp_ngt_f32_e64 s[72:73], s96, v5
	v_ldexp_f32 v6, v6, v7
	v_cndmask_b32_e64 v6, 0, v6, s[72:73]
	v_cmp_nlt_f32_e64 s[72:73], s45, v5
	v_cndmask_b32_e64 v6, v253, v6, s[72:73]
	v_mov_b32_e32 v5, s43
	v_cndmask_b32_e64 v12, v5, v6, s[70:71]
	v_sub_f32_e32 v5, v8, v2
	v_add_f32_e32 v7, v1, v6
	v_mul_f32_e32 v6, 0x3fb8aa3b, v5
	v_cndmask_b32_e64 v1, v1, v7, s[70:71]
	v_fma_f32 v7, v5, s91, -v6
	v_rndne_f32_e32 v8, v6
	v_fmac_f32_e32 v7, 0x32a5705f, v5
	v_sub_f32_e32 v6, v6, v8
	v_add_f32_e32 v6, v6, v7
	v_exp_f32_e32 v6, v6
	v_cvt_i32_f32_e32 v7, v8
	v_cmp_ngt_f32_e64 s[70:71], s96, v5
	v_cndmask_b32_e64 v8, v11, v11, s[68:69]
	v_ldexp_f32 v6, v6, v7
	v_cndmask_b32_e64 v6, 0, v6, s[70:71]
	v_cmp_nlt_f32_e64 s[70:71], s45, v5
	v_cndmask_b32_e64 v5, v253, v6, s[70:71]
	v_add_f32_e32 v7, v5, v1
	v_mov_b32_e32 v6, s43
	v_cndmask_b32_e64 v11, v6, v5, s[68:69]
	v_cndmask_b32_e64 v5, v1, v7, s[68:69]
	v_sub_f32_e32 v1, v9, v2
	v_mul_f32_e32 v6, 0x3fb8aa3b, v1
	v_fma_f32 v7, v1, s91, -v6
	v_rndne_f32_e32 v9, v6
	v_fmac_f32_e32 v7, 0x32a5705f, v1
	v_sub_f32_e32 v6, v6, v9
	v_add_f32_e32 v6, v6, v7
	v_exp_f32_e32 v6, v6
	v_cvt_i32_f32_e32 v7, v9
	v_cmp_ngt_f32_e64 s[68:69], s96, v1
	v_ldexp_f32 v6, v6, v7
	v_cndmask_b32_e64 v6, 0, v6, s[68:69]
	v_cmp_nlt_f32_e64 s[68:69], s45, v1
	v_cndmask_b32_e64 v6, v253, v6, s[68:69]
	v_add_f32_e32 v7, v6, v5
	v_mov_b32_e32 v1, s43
	v_cndmask_b32_e64 v9, v1, v6, s[66:67]
	v_cndmask_b32_e64 v1, v5, v7, s[66:67]
	v_sub_f32_e32 v5, v10, v2
	v_mul_f32_e32 v6, 0x3fb8aa3b, v5
	v_fma_f32 v7, v5, s91, -v6
	v_rndne_f32_e32 v10, v6
	v_fmac_f32_e32 v7, 0x32a5705f, v5
	v_sub_f32_e32 v6, v6, v10
	v_add_f32_e32 v6, v6, v7
	v_exp_f32_e32 v6, v6
	v_cvt_i32_f32_e32 v7, v10
	v_cmp_ngt_f32_e64 s[66:67], s96, v5
	v_ldexp_f32 v6, v6, v7
	v_cndmask_b32_e64 v6, 0, v6, s[66:67]
	v_cmp_nlt_f32_e64 s[66:67], s45, v5
	v_cndmask_b32_e64 v5, v253, v6, s[66:67]
	v_mov_b32_e32 v6, s43
	v_add_f32_e32 v7, v5, v1
	v_cndmask_b32_e64 v10, v6, v5, s[64:65]
	v_sub_f32_e32 v5, v8, v2
	v_mul_f32_e32 v6, 0x3fb8aa3b, v5
	v_cndmask_b32_e64 v1, v1, v7, s[64:65]
	v_fma_f32 v7, v5, s91, -v6
	v_rndne_f32_e32 v8, v6
	v_fmac_f32_e32 v7, 0x32a5705f, v5
	v_sub_f32_e32 v6, v6, v8
	v_add_f32_e32 v6, v6, v7
	v_exp_f32_e32 v6, v6
	v_cvt_i32_f32_e32 v7, v8
	v_cmp_ngt_f32_e64 s[64:65], s96, v5
	v_ldexp_f32 v6, v6, v7
	v_cndmask_b32_e64 v6, 0, v6, s[64:65]
	v_cmp_nlt_f32_e64 s[64:65], s45, v5
	v_cndmask_b32_e64 v6, v253, v6, s[64:65]
	v_add_f32_e32 v7, v6, v1
	v_mov_b32_e32 v5, s43
	v_cndmask_b32_e32 v38, v1, v7, vcc
	v_sub_f32_e32 v1, v85, v2
	v_cndmask_b32_e32 v5, v5, v6, vcc
	v_mul_f32_e32 v6, 0x3fb8aa3b, v1
	v_fma_f32 v7, v1, s91, -v6
	v_rndne_f32_e32 v8, v6
	v_fmac_f32_e32 v7, 0x32a5705f, v1
	v_sub_f32_e32 v6, v6, v8
	v_add_f32_e32 v6, v6, v7
	v_exp_f32_e32 v6, v6
	v_cvt_i32_f32_e32 v7, v8
	v_cmp_ngt_f32_e32 vcc, s96, v1
	v_cvt_f16_f32_e32 v8, v9
	s_mul_hi_u32 s64, s42, s8
	v_ldexp_f32 v6, v6, v7
	v_cndmask_b32_e32 v6, 0, v6, vcc
	v_cmp_nlt_f32_e32 vcc, s45, v1
	v_cndmask_b32_e32 v6, v253, v6, vcc
	v_cmp_le_f32_e32 vcc, s33, v1
	v_cndmask_b32_e32 v1, 0, v6, vcc
	v_cvt_f16_f32_e32 v6, v1
	v_fmac_f32_e32 v38, v147, v1
	v_cvt_f16_f32_e32 v7, v12
	v_cvt_f16_f32_e32 v5, v5
	v_pk_mul_f16 v87, v6, v139 op_sel_hi:[0,1]
	v_pk_mul_f16 v1, v6, v138 op_sel_hi:[0,1]
	;; [unrolled: 1-line block ×32, first 2 shown]
	v_cvt_f16_f32_e32 v6, v13
	s_add_i32 s65, s64, s44
	s_mul_i32 s64, s42, s8
	s_lshl_b64 s[64:65], s[64:65], 2
	v_pack_b32_f16 v6, v4, v6
	v_cvt_f16_f32_e32 v4, v14
	s_add_u32 s42, s90, s64
	s_addc_u32 s41, s41, s65
	v_mov_b32_e32 v9, s41
	v_pack_b32_f16 v7, v4, v7
	v_cvt_f16_f32_e32 v4, v11
	v_mov_b32_e32 v44, s5
	v_mov_b32_e32 v46, s4
	v_accvgpr_read_b32 v199, a23
	v_pack_b32_f16 v4, v4, v8
	v_cvt_f16_f32_e32 v8, v10
	v_accvgpr_read_b32 v216, a25
	v_accvgpr_read_b32 v217, a26
	;; [unrolled: 1-line block ×3, first 2 shown]
	v_pack_b32_f16 v5, v8, v5
	v_add_co_u32_e32 v8, vcc, s42, v50
	v_addc_co_u32_e32 v9, vcc, v9, v51, vcc
	v_add_co_u32_e32 v8, vcc, v8, v88
	v_addc_co_u32_e32 v9, vcc, 0, v9, vcc
	v_cndmask_b32_e64 v91, v44, v9, s[48:49]
	v_cndmask_b32_e64 v90, v46, v8, s[48:49]
	v_add_co_u32_e32 v8, vcc, s42, v52
	v_mov_b32_e32 v9, s41
	v_addc_co_u32_e32 v9, vcc, v9, v53, vcc
	v_add_co_u32_e32 v8, vcc, v8, v88
	v_addc_co_u32_e32 v9, vcc, 0, v9, vcc
	v_cndmask_b32_e64 v93, v44, v9, s[50:51]
	v_cndmask_b32_e64 v92, v46, v8, s[50:51]
	v_add_co_u32_e32 v8, vcc, s42, v54
	v_mov_b32_e32 v9, s41
	;; [unrolled: 7-line block ×7, first 2 shown]
	v_addc_co_u32_e32 v9, vcc, v9, v65, vcc
	v_add_co_u32_e32 v8, vcc, v8, v88
	flat_load_dwordx4 v[88:91], v[90:91]
	v_addc_co_u32_e32 v9, vcc, 0, v9, vcc
	v_cndmask_b32_e64 v9, v44, v9, s[62:63]
	v_cndmask_b32_e64 v8, v46, v8, s[62:63]
	v_accvgpr_read_b32 v221, a28
	v_accvgpr_read_b32 v224, a29
	;; [unrolled: 1-line block ×6, first 2 shown]
	ds_bpermute_b32 v3, v3, v38
	v_readlane_b32 s40, v255, 12
	s_cmp_eq_u64 s[82:83], 0
	v_readlane_b32 s41, v255, 13
	s_cselect_b64 s[48:49], -1, 0
	s_waitcnt lgkmcnt(0)
	v_add_f32_e32 v3, v38, v3
	s_xor_b64 s[50:51], s[40:41], -1
	s_or_b64 s[48:49], s[50:51], s[48:49]
	s_waitcnt vmcnt(0)
	ds_write_b128 v148, v[88:91]
	flat_load_dwordx4 v[88:91], v[92:93]
	s_waitcnt vmcnt(0) lgkmcnt(0)
	ds_write_b128 v117, v[88:91]
	flat_load_dwordx4 v[88:91], v[94:95]
	s_waitcnt vmcnt(0) lgkmcnt(0)
	;; [unrolled: 3-line block ×7, first 2 shown]
	ds_write_b128 v248, v[8:11]
	s_waitcnt lgkmcnt(0)
	s_barrier
	ds_read_u16 v12, v150 offset:528
	ds_read_u16 v13, v150 offset:1056
	v_cvt_f32_f16_e32 v10, v1
	v_cvt_f32_f16_sdwa v11, v1 dst_sel:DWORD dst_unused:UNUSED_PAD src0_sel:WORD_1
	ds_read_u16 v1, v151
	ds_read_u16 v14, v151 offset:32
	v_cvt_f32_f16_e32 v8, v87
	v_cvt_f32_f16_sdwa v9, v87 dst_sel:DWORD dst_unused:UNUSED_PAD src0_sel:WORD_1
	v_cvt_f32_f16_sdwa v87, v42 dst_sel:DWORD dst_unused:UNUSED_PAD src0_sel:WORD_1
	s_waitcnt lgkmcnt(1)
	v_perm_b32 v13, v1, v13, s98
	ds_read_u16 v1, v149
	ds_read_u16 v16, v149 offset:32
	v_accvgpr_write_b32 a0, v8
	v_accvgpr_write_b32 a1, v9
	;; [unrolled: 1-line block ×3, first 2 shown]
	s_waitcnt lgkmcnt(1)
	v_perm_b32 v12, v12, v1, s98
	v_accvgpr_write_b32 a3, v11
	s_nop 1
	v_mfma_f32_16x16x16f16 a[0:3], v[12:13], v[6:7], a[0:3]
	ds_read_u16 v12, v149 offset:16896
	ds_read_u16 v15, v243 offset:528
	;; [unrolled: 1-line block ×4, first 2 shown]
	s_waitcnt lgkmcnt(2)
	v_perm_b32 v12, v15, v12, s98
	s_waitcnt lgkmcnt(0)
	v_perm_b32 v13, v17, v13, s98
	s_nop 2
	v_accvgpr_read_b32 v8, a1
	v_accvgpr_read_b32 v1, a0
	v_cvt_f16_f32_e32 v9, v8
	v_accvgpr_read_b32 v8, a2
	v_cvt_f16_f32_e32 v1, v1
	v_cvt_f16_f32_e32 v10, v8
	v_accvgpr_read_b32 v8, a3
	v_cvt_f16_f32_e32 v11, v8
	v_cvt_f32_f16_e32 v8, v1
	v_cvt_f32_f16_e32 v9, v9
	;; [unrolled: 1-line block ×4, first 2 shown]
	v_accvgpr_write_b32 a0, v8
	v_accvgpr_write_b32 a1, v9
	;; [unrolled: 1-line block ×4, first 2 shown]
	v_cvt_f32_f16_sdwa v11, v86 dst_sel:DWORD dst_unused:UNUSED_PAD src0_sel:WORD_1
	s_nop 0
	v_mfma_f32_16x16x16f16 a[0:3], v[12:13], v[4:5], a[0:3]
	v_cvt_f32_f16_e32 v12, v85
	v_cvt_f32_f16_sdwa v13, v85 dst_sel:DWORD dst_unused:UNUSED_PAD src0_sel:WORD_1
	v_cvt_f32_f16_sdwa v85, v43 dst_sel:DWORD dst_unused:UNUSED_PAD src0_sel:WORD_1
	s_nop 7
	v_accvgpr_read_b32 v1, a0
	v_accvgpr_read_b32 v8, a1
	;; [unrolled: 1-line block ×4, first 2 shown]
	v_cvt_f16_f32_e32 v1, v1
	v_cvt_f16_f32_e32 v8, v8
	;; [unrolled: 1-line block ×4, first 2 shown]
	v_pack_b32_f16 v8, v1, v8
	v_pack_b32_f16 v1, v9, v10
	ds_read_u16 v9, v244 offset:528
	ds_read_u16 v15, v244 offset:1056
	v_cvt_f32_f16_e32 v10, v86
	v_cvt_f32_f16_e32 v86, v42
	s_waitcnt lgkmcnt(0)
	v_perm_b32 v15, v14, v15, s98
	v_perm_b32 v14, v9, v16, s98
	v_accvgpr_write_b32 a0, v10
	v_accvgpr_write_b32 a1, v11
	;; [unrolled: 1-line block ×4, first 2 shown]
	s_nop 1
	v_mfma_f32_16x16x16f16 a[0:3], v[14:15], v[6:7], a[0:3]
	ds_read_u16 v14, v199 offset:16896
	ds_read_u16 v16, v216 offset:528
	;; [unrolled: 1-line block ×4, first 2 shown]
	s_waitcnt lgkmcnt(2)
	v_perm_b32 v14, v16, v14, s98
	s_waitcnt lgkmcnt(0)
	v_perm_b32 v15, v17, v15, s98
	s_nop 2
	v_accvgpr_read_b32 v10, a1
	v_accvgpr_read_b32 v9, a0
	v_cvt_f16_f32_e32 v11, v10
	v_accvgpr_read_b32 v10, a2
	v_cvt_f16_f32_e32 v9, v9
	v_cvt_f16_f32_e32 v12, v10
	v_accvgpr_read_b32 v10, a3
	v_cvt_f16_f32_e32 v13, v10
	v_cvt_f32_f16_e32 v10, v9
	v_cvt_f32_f16_e32 v11, v11
	;; [unrolled: 1-line block ×4, first 2 shown]
	v_accvgpr_write_b32 a0, v10
	v_accvgpr_write_b32 a1, v11
	;; [unrolled: 1-line block ×4, first 2 shown]
	v_cvt_f32_f16_sdwa v13, v84 dst_sel:DWORD dst_unused:UNUSED_PAD src0_sel:WORD_1
	s_nop 0
	v_mfma_f32_16x16x16f16 a[0:3], v[14:15], v[4:5], a[0:3]
	v_cvt_f32_f16_e32 v14, v83
	v_cvt_f32_f16_sdwa v15, v83 dst_sel:DWORD dst_unused:UNUSED_PAD src0_sel:WORD_1
	s_nop 7
	s_nop 0
	v_accvgpr_read_b32 v9, a0
	v_accvgpr_read_b32 v10, a1
	;; [unrolled: 1-line block ×4, first 2 shown]
	v_cvt_f16_f32_e32 v9, v9
	v_cvt_f16_f32_e32 v10, v10
	;; [unrolled: 1-line block ×4, first 2 shown]
	v_pack_b32_f16 v10, v9, v10
	v_pack_b32_f16 v9, v11, v12
	ds_read_u16 v11, v149 offset:64
	ds_read_u16 v16, v240 offset:528
	;; [unrolled: 1-line block ×4, first 2 shown]
	v_cvt_f32_f16_e32 v12, v84
	v_cvt_f32_f16_e32 v84, v43
	s_waitcnt lgkmcnt(2)
	v_perm_b32 v16, v16, v11, s98
	s_waitcnt lgkmcnt(0)
	v_perm_b32 v17, v44, v17, s98
	v_accvgpr_write_b32 a0, v12
	v_accvgpr_write_b32 a1, v13
	;; [unrolled: 1-line block ×4, first 2 shown]
	s_nop 1
	v_mfma_f32_16x16x16f16 a[0:3], v[16:17], v[6:7], a[0:3]
	ds_read_u16 v16, v219 offset:16896
	ds_read_u16 v44, v221 offset:528
	;; [unrolled: 1-line block ×4, first 2 shown]
	s_waitcnt lgkmcnt(2)
	v_perm_b32 v16, v44, v16, s98
	s_waitcnt lgkmcnt(0)
	v_perm_b32 v17, v46, v17, s98
	s_nop 2
	v_accvgpr_read_b32 v12, a1
	v_accvgpr_read_b32 v11, a0
	v_cvt_f16_f32_e32 v13, v12
	v_accvgpr_read_b32 v12, a2
	v_cvt_f16_f32_e32 v11, v11
	v_cvt_f16_f32_e32 v14, v12
	v_accvgpr_read_b32 v12, a3
	v_cvt_f16_f32_e32 v15, v12
	v_cvt_f32_f16_e32 v12, v11
	v_cvt_f32_f16_e32 v13, v13
	;; [unrolled: 1-line block ×4, first 2 shown]
	v_accvgpr_write_b32 a0, v12
	v_accvgpr_write_b32 a1, v13
	;; [unrolled: 1-line block ×4, first 2 shown]
	v_cvt_f32_f16_sdwa v15, v49 dst_sel:DWORD dst_unused:UNUSED_PAD src0_sel:WORD_1
	s_nop 0
	v_mfma_f32_16x16x16f16 a[0:3], v[16:17], v[4:5], a[0:3]
	v_cvt_f32_f16_e32 v16, v45
	v_cvt_f32_f16_sdwa v17, v45 dst_sel:DWORD dst_unused:UNUSED_PAD src0_sel:WORD_1
	s_nop 7
	s_nop 0
	v_accvgpr_read_b32 v11, a0
	v_accvgpr_read_b32 v12, a1
	;; [unrolled: 1-line block ×4, first 2 shown]
	v_cvt_f16_f32_e32 v11, v11
	v_cvt_f16_f32_e32 v12, v12
	;; [unrolled: 1-line block ×4, first 2 shown]
	v_pack_b32_f16 v12, v11, v12
	v_pack_b32_f16 v11, v13, v14
	ds_read_u16 v13, v149 offset:96
	ds_read_u16 v44, v242 offset:528
	;; [unrolled: 1-line block ×4, first 2 shown]
	v_cvt_f32_f16_e32 v14, v49
	s_waitcnt lgkmcnt(2)
	v_perm_b32 v44, v44, v13, s98
	s_waitcnt lgkmcnt(0)
	v_perm_b32 v45, v83, v46, s98
	v_accvgpr_write_b32 a0, v14
	v_accvgpr_write_b32 a1, v15
	;; [unrolled: 1-line block ×4, first 2 shown]
	s_nop 1
	v_mfma_f32_16x16x16f16 a[0:3], v[44:45], v[6:7], a[0:3]
	ds_read_u16 v44, v228 offset:16896
	ds_read_u16 v46, v229 offset:528
	;; [unrolled: 1-line block ×4, first 2 shown]
	s_waitcnt lgkmcnt(2)
	v_perm_b32 v44, v46, v44, s98
	s_waitcnt lgkmcnt(0)
	v_perm_b32 v45, v49, v45, s98
	s_nop 2
	v_accvgpr_read_b32 v14, a1
	v_accvgpr_read_b32 v13, a0
	v_cvt_f16_f32_e32 v15, v14
	v_accvgpr_read_b32 v14, a2
	v_cvt_f16_f32_e32 v13, v13
	v_cvt_f16_f32_e32 v16, v14
	v_accvgpr_read_b32 v14, a3
	v_cvt_f16_f32_e32 v17, v14
	v_cvt_f32_f16_e32 v14, v13
	v_cvt_f32_f16_e32 v15, v15
	;; [unrolled: 1-line block ×4, first 2 shown]
	v_accvgpr_write_b32 a0, v14
	v_accvgpr_write_b32 a1, v15
	;; [unrolled: 1-line block ×4, first 2 shown]
	s_nop 1
	v_mfma_f32_16x16x16f16 a[0:3], v[44:45], v[4:5], a[0:3]
	s_nop 7
	s_nop 2
	v_accvgpr_read_b32 v13, a0
	v_accvgpr_read_b32 v14, a1
	v_accvgpr_read_b32 v15, a2
	v_accvgpr_read_b32 v16, a3
	v_cvt_f16_f32_e32 v13, v13
	v_cvt_f16_f32_e32 v14, v14
	v_cvt_f16_f32_e32 v15, v15
	v_cvt_f16_f32_e32 v16, v16
	v_accvgpr_write_b32 a0, v84
	v_pack_b32_f16 v14, v13, v14
	v_accvgpr_write_b32 a1, v85
	v_pack_b32_f16 v13, v15, v16
	ds_read_u16 v15, v149 offset:128
	ds_read_u16 v16, v237 offset:528
	;; [unrolled: 1-line block ×4, first 2 shown]
	v_accvgpr_write_b32 a2, v86
	v_accvgpr_write_b32 a3, v87
	s_waitcnt lgkmcnt(2)
	v_perm_b32 v16, v16, v15, s98
	ds_read_u16 v46, v232 offset:16896
	s_waitcnt lgkmcnt(1)
	v_perm_b32 v17, v44, v17, s98
	ds_read_u16 v49, v218 offset:528
	ds_read_u16 v83, v238 offset:1056
	v_mfma_f32_16x16x16f16 a[0:3], v[16:17], v[6:7], a[0:3]
	ds_read_u16 v84, v220 offset:16896
	s_nop 7
	s_nop 1
	v_accvgpr_read_b32 v15, a0
	v_cvt_f16_f32_e32 v15, v15
	v_accvgpr_read_b32 v16, a1
	v_accvgpr_read_b32 v17, a2
	;; [unrolled: 1-line block ×3, first 2 shown]
	v_cvt_f16_f32_e32 v16, v16
	v_cvt_f16_f32_e32 v17, v17
	;; [unrolled: 1-line block ×3, first 2 shown]
	v_cvt_f32_f16_e32 v42, v15
	v_cvt_f32_f16_e32 v43, v16
	;; [unrolled: 1-line block ×4, first 2 shown]
	s_waitcnt lgkmcnt(0)
	v_perm_b32 v17, v84, v83, s98
	v_perm_b32 v16, v49, v46, s98
	v_accvgpr_write_b32 a0, v42
	v_accvgpr_write_b32 a1, v43
	;; [unrolled: 1-line block ×4, first 2 shown]
	v_cvt_f32_f16_sdwa v43, v41 dst_sel:DWORD dst_unused:UNUSED_PAD src0_sel:WORD_1
	v_cvt_f32_f16_e32 v44, v18
	v_mfma_f32_16x16x16f16 a[0:3], v[16:17], v[4:5], a[0:3]
	v_cvt_f32_f16_sdwa v45, v18 dst_sel:DWORD dst_unused:UNUSED_PAD src0_sel:WORD_1
	s_nop 7
	s_nop 1
	v_accvgpr_read_b32 v15, a0
	v_accvgpr_read_b32 v16, a1
	;; [unrolled: 1-line block ×4, first 2 shown]
	v_cvt_f16_f32_e32 v15, v15
	v_cvt_f16_f32_e32 v16, v16
	;; [unrolled: 1-line block ×4, first 2 shown]
	v_pack_b32_f16 v16, v15, v16
	v_pack_b32_f16 v15, v17, v42
	ds_read_u16 v17, v149 offset:160
	ds_read_u16 v46, v239 offset:528
	;; [unrolled: 1-line block ×4, first 2 shown]
	v_cvt_f32_f16_e32 v42, v41
	s_waitcnt lgkmcnt(2)
	v_perm_b32 v84, v46, v17, s98
	ds_read_u16 v46, v164 offset:16896
	s_waitcnt lgkmcnt(1)
	v_perm_b32 v85, v83, v49, s98
	v_accvgpr_write_b32 a0, v42
	v_accvgpr_write_b32 a1, v43
	;; [unrolled: 1-line block ×4, first 2 shown]
	ds_read_u16 v49, v225 offset:528
	ds_read_u16 v83, v213 offset:1056
	v_mfma_f32_16x16x16f16 a[0:3], v[84:85], v[6:7], a[0:3]
	ds_read_u16 v84, v233 offset:16896
	s_waitcnt lgkmcnt(0)
	v_perm_b32 v85, v84, v83, s98
	v_perm_b32 v84, v49, v46, s98
	s_nop 6
	v_accvgpr_read_b32 v17, a0
	v_cvt_f16_f32_e32 v17, v17
	v_accvgpr_read_b32 v18, a1
	v_accvgpr_read_b32 v41, a2
	;; [unrolled: 1-line block ×3, first 2 shown]
	v_cvt_f16_f32_e32 v18, v18
	v_cvt_f16_f32_e32 v41, v41
	;; [unrolled: 1-line block ×3, first 2 shown]
	v_cvt_f32_f16_e32 v42, v17
	v_cvt_f32_f16_e32 v43, v18
	;; [unrolled: 1-line block ×4, first 2 shown]
	v_accvgpr_write_b32 a0, v42
	v_accvgpr_write_b32 a1, v43
	;; [unrolled: 1-line block ×4, first 2 shown]
	v_cvt_f32_f16_sdwa v43, v20 dst_sel:DWORD dst_unused:UNUSED_PAD src0_sel:WORD_1
	v_cvt_f32_f16_e32 v44, v19
	v_mfma_f32_16x16x16f16 a[0:3], v[84:85], v[4:5], a[0:3]
	v_cvt_f32_f16_sdwa v45, v19 dst_sel:DWORD dst_unused:UNUSED_PAD src0_sel:WORD_1
	s_nop 7
	s_nop 1
	v_accvgpr_read_b32 v17, a0
	v_accvgpr_read_b32 v18, a1
	;; [unrolled: 1-line block ×4, first 2 shown]
	v_cvt_f16_f32_e32 v17, v17
	v_cvt_f16_f32_e32 v18, v18
	;; [unrolled: 1-line block ×4, first 2 shown]
	v_pack_b32_f16 v18, v17, v18
	v_pack_b32_f16 v17, v41, v42
	ds_read_u16 v41, v149 offset:192
	ds_read_u16 v46, v212 offset:528
	;; [unrolled: 1-line block ×4, first 2 shown]
	v_cvt_f32_f16_e32 v42, v20
	s_waitcnt lgkmcnt(2)
	v_perm_b32 v84, v46, v41, s98
	ds_read_u16 v46, v167 offset:16896
	s_waitcnt lgkmcnt(1)
	v_perm_b32 v85, v83, v49, s98
	v_accvgpr_write_b32 a0, v42
	v_accvgpr_write_b32 a1, v43
	;; [unrolled: 1-line block ×4, first 2 shown]
	ds_read_u16 v49, v247 offset:528
	ds_read_u16 v83, v214 offset:1056
	v_mfma_f32_16x16x16f16 a[0:3], v[84:85], v[6:7], a[0:3]
	ds_read_u16 v84, v249 offset:16896
	s_waitcnt lgkmcnt(0)
	v_perm_b32 v85, v84, v83, s98
	v_perm_b32 v84, v49, v46, s98
	s_nop 6
	v_accvgpr_read_b32 v19, a0
	v_cvt_f16_f32_e32 v19, v19
	v_accvgpr_read_b32 v20, a1
	v_accvgpr_read_b32 v41, a2
	;; [unrolled: 1-line block ×3, first 2 shown]
	v_cvt_f16_f32_e32 v20, v20
	v_cvt_f16_f32_e32 v41, v41
	;; [unrolled: 1-line block ×3, first 2 shown]
	v_cvt_f32_f16_e32 v42, v19
	v_cvt_f32_f16_e32 v43, v20
	;; [unrolled: 1-line block ×4, first 2 shown]
	v_accvgpr_write_b32 a0, v42
	v_accvgpr_write_b32 a1, v43
	v_accvgpr_write_b32 a2, v44
	v_accvgpr_write_b32 a3, v45
	v_cvt_f32_f16_sdwa v43, v22 dst_sel:DWORD dst_unused:UNUSED_PAD src0_sel:WORD_1
	v_cvt_f32_f16_e32 v44, v21
	v_mfma_f32_16x16x16f16 a[0:3], v[84:85], v[4:5], a[0:3]
	v_cvt_f32_f16_sdwa v45, v21 dst_sel:DWORD dst_unused:UNUSED_PAD src0_sel:WORD_1
	s_nop 7
	s_nop 1
	v_accvgpr_read_b32 v19, a0
	v_accvgpr_read_b32 v20, a1
	v_accvgpr_read_b32 v41, a2
	v_accvgpr_read_b32 v42, a3
	v_cvt_f16_f32_e32 v19, v19
	v_cvt_f16_f32_e32 v20, v20
	v_cvt_f16_f32_e32 v41, v41
	v_cvt_f16_f32_e32 v42, v42
	v_pack_b32_f16 v20, v19, v20
	v_pack_b32_f16 v19, v41, v42
	ds_read_u16 v41, v149 offset:224
	ds_read_u16 v46, v211 offset:528
	ds_read_u16 v49, v211 offset:1056
	ds_read_u16 v83, v151 offset:224
	v_cvt_f32_f16_e32 v42, v22
	s_waitcnt lgkmcnt(2)
	v_perm_b32 v84, v46, v41, s98
	ds_read_u16 v46, v170 offset:16896
	s_waitcnt lgkmcnt(1)
	v_perm_b32 v85, v83, v49, s98
	v_accvgpr_write_b32 a0, v42
	v_accvgpr_write_b32 a1, v43
	v_accvgpr_write_b32 a2, v44
	v_accvgpr_write_b32 a3, v45
	s_nop 1
	v_mfma_f32_16x16x16f16 a[0:3], v[84:85], v[6:7], a[0:3]
	s_nop 7
	s_nop 2
	v_accvgpr_read_b32 v42, a3
	v_cvt_f16_f32_e32 v45, v42
	v_accvgpr_read_b32 v42, a40
	v_accvgpr_read_b32 v21, a0
	ds_read_u16 v49, v42 offset:528
	ds_read_u16 v83, v210 offset:1056
	v_accvgpr_read_b32 v42, a41
	v_cvt_f16_f32_e32 v21, v21
	v_accvgpr_read_b32 v22, a1
	v_accvgpr_read_b32 v41, a2
	ds_read_u16 v84, v42 offset:16896
	v_cvt_f16_f32_e32 v22, v22
	v_cvt_f16_f32_e32 v41, v41
	v_cvt_f32_f16_e32 v42, v21
	v_cvt_f32_f16_e32 v45, v45
	v_cvt_f32_f16_e32 v43, v22
	v_cvt_f32_f16_e32 v44, v41
	s_waitcnt lgkmcnt(0)
	v_perm_b32 v85, v84, v83, s98
	v_perm_b32 v84, v49, v46, s98
	v_accvgpr_write_b32 a0, v42
	v_accvgpr_write_b32 a1, v43
	v_accvgpr_write_b32 a2, v44
	v_accvgpr_write_b32 a3, v45
	v_cvt_f32_f16_sdwa v43, v24 dst_sel:DWORD dst_unused:UNUSED_PAD src0_sel:WORD_1
	v_cvt_f32_f16_e32 v44, v23
	v_mfma_f32_16x16x16f16 a[0:3], v[84:85], v[4:5], a[0:3]
	v_cvt_f32_f16_sdwa v45, v23 dst_sel:DWORD dst_unused:UNUSED_PAD src0_sel:WORD_1
	s_nop 7
	s_nop 1
	v_accvgpr_read_b32 v21, a0
	v_accvgpr_read_b32 v22, a1
	v_accvgpr_read_b32 v41, a2
	v_accvgpr_read_b32 v42, a3
	v_cvt_f16_f32_e32 v21, v21
	v_cvt_f16_f32_e32 v22, v22
	v_cvt_f16_f32_e32 v41, v41
	v_cvt_f16_f32_e32 v42, v42
	v_pack_b32_f16 v22, v21, v22
	v_pack_b32_f16 v21, v41, v42
	ds_read_u16 v41, v149 offset:256
	ds_read_u16 v46, v209 offset:528
	ds_read_u16 v49, v209 offset:1056
	ds_read_u16 v83, v151 offset:256
	v_cvt_f32_f16_e32 v42, v24
	s_waitcnt lgkmcnt(2)
	v_perm_b32 v84, v46, v41, s98
	ds_read_u16 v46, v152 offset:16896
	s_waitcnt lgkmcnt(1)
	v_perm_b32 v85, v83, v49, s98
	v_accvgpr_write_b32 a0, v42
	v_accvgpr_write_b32 a1, v43
	v_accvgpr_write_b32 a2, v44
	v_accvgpr_write_b32 a3, v45
	s_nop 1
	v_mfma_f32_16x16x16f16 a[0:3], v[84:85], v[6:7], a[0:3]
	s_nop 7
	s_nop 2
	v_accvgpr_read_b32 v42, a3
	v_cvt_f16_f32_e32 v45, v42
	v_accvgpr_read_b32 v42, a42
	v_accvgpr_read_b32 v23, a0
	ds_read_u16 v49, v42 offset:528
	ds_read_u16 v83, v208 offset:1056
	v_accvgpr_read_b32 v42, a43
	v_cvt_f16_f32_e32 v23, v23
	v_accvgpr_read_b32 v24, a1
	v_accvgpr_read_b32 v41, a2
	ds_read_u16 v84, v42 offset:16896
	v_cvt_f16_f32_e32 v24, v24
	v_cvt_f16_f32_e32 v41, v41
	v_cvt_f32_f16_e32 v42, v23
	v_cvt_f32_f16_e32 v45, v45
	v_cvt_f32_f16_e32 v43, v24
	v_cvt_f32_f16_e32 v44, v41
	s_waitcnt lgkmcnt(0)
	v_perm_b32 v85, v84, v83, s98
	v_perm_b32 v84, v49, v46, s98
	;; [unrolled: 58-line block ×4, first 2 shown]
	v_accvgpr_write_b32 a0, v42
	v_accvgpr_write_b32 a1, v43
	;; [unrolled: 1-line block ×4, first 2 shown]
	v_cvt_f32_f16_sdwa v43, v30 dst_sel:DWORD dst_unused:UNUSED_PAD src0_sel:WORD_1
	v_cvt_f32_f16_e32 v44, v29
	v_mfma_f32_16x16x16f16 a[0:3], v[84:85], v[4:5], a[0:3]
	v_cvt_f32_f16_sdwa v45, v29 dst_sel:DWORD dst_unused:UNUSED_PAD src0_sel:WORD_1
	s_nop 7
	s_nop 1
	v_accvgpr_read_b32 v27, a0
	v_accvgpr_read_b32 v28, a1
	;; [unrolled: 1-line block ×4, first 2 shown]
	v_cvt_f16_f32_e32 v27, v27
	v_cvt_f16_f32_e32 v28, v28
	;; [unrolled: 1-line block ×4, first 2 shown]
	v_pack_b32_f16 v28, v27, v28
	v_pack_b32_f16 v27, v41, v42
	ds_read_u16 v41, v149 offset:352
	ds_read_u16 v46, v206 offset:528
	;; [unrolled: 1-line block ×4, first 2 shown]
	v_cvt_f32_f16_e32 v42, v30
	s_waitcnt lgkmcnt(2)
	v_perm_b32 v84, v46, v41, s98
	ds_read_u16 v46, v182 offset:16896
	s_waitcnt lgkmcnt(1)
	v_perm_b32 v85, v83, v49, s98
	v_accvgpr_write_b32 a0, v42
	v_accvgpr_write_b32 a1, v43
	;; [unrolled: 1-line block ×4, first 2 shown]
	s_nop 1
	v_mfma_f32_16x16x16f16 a[0:3], v[84:85], v[6:7], a[0:3]
	s_nop 7
	s_nop 2
	v_accvgpr_read_b32 v42, a3
	v_accvgpr_read_b32 v29, a0
	v_cvt_f16_f32_e32 v45, v42
	v_accvgpr_read_b32 v42, a48
	v_cvt_f16_f32_e32 v29, v29
	v_accvgpr_read_b32 v30, a1
	v_accvgpr_read_b32 v41, a2
	ds_read_u16 v49, v42 offset:528
	ds_read_u16 v83, v205 offset:1056
	;; [unrolled: 1-line block ×3, first 2 shown]
	v_cvt_f16_f32_e32 v30, v30
	v_cvt_f16_f32_e32 v41, v41
	v_cvt_f32_f16_e32 v42, v29
	v_cvt_f32_f16_e32 v45, v45
	;; [unrolled: 1-line block ×4, first 2 shown]
	s_waitcnt lgkmcnt(0)
	v_perm_b32 v85, v84, v83, s98
	v_perm_b32 v84, v49, v46, s98
	v_accvgpr_write_b32 a0, v42
	v_accvgpr_write_b32 a1, v43
	v_accvgpr_write_b32 a2, v44
	v_accvgpr_write_b32 a3, v45
	v_cvt_f32_f16_sdwa v43, v32 dst_sel:DWORD dst_unused:UNUSED_PAD src0_sel:WORD_1
	v_cvt_f32_f16_e32 v44, v31
	v_mfma_f32_16x16x16f16 a[0:3], v[84:85], v[4:5], a[0:3]
	v_cvt_f32_f16_sdwa v45, v31 dst_sel:DWORD dst_unused:UNUSED_PAD src0_sel:WORD_1
	s_nop 7
	s_nop 1
	v_accvgpr_read_b32 v29, a0
	v_accvgpr_read_b32 v30, a1
	v_accvgpr_read_b32 v41, a2
	v_accvgpr_read_b32 v42, a3
	v_cvt_f16_f32_e32 v29, v29
	v_cvt_f16_f32_e32 v30, v30
	v_cvt_f16_f32_e32 v41, v41
	v_cvt_f16_f32_e32 v42, v42
	v_pack_b32_f16 v30, v29, v30
	v_pack_b32_f16 v29, v41, v42
	ds_read_u16 v41, v149 offset:384
	ds_read_u16 v46, v204 offset:528
	ds_read_u16 v49, v204 offset:1056
	ds_read_u16 v83, v151 offset:384
	v_cvt_f32_f16_e32 v42, v32
	s_waitcnt lgkmcnt(2)
	v_perm_b32 v84, v46, v41, s98
	s_waitcnt lgkmcnt(0)
	v_perm_b32 v85, v83, v49, s98
	v_accvgpr_write_b32 a0, v42
	v_accvgpr_write_b32 a1, v43
	v_accvgpr_write_b32 a2, v44
	v_accvgpr_write_b32 a3, v45
	s_nop 1
	v_mfma_f32_16x16x16f16 a[0:3], v[84:85], v[6:7], a[0:3]
	ds_read_u16 v46, v185 offset:16896
	ds_read_u16 v49, v178 offset:528
	ds_read_u16 v83, v222 offset:1056
	ds_read_u16 v84, v158 offset:16896
	s_waitcnt lgkmcnt(0)
	v_perm_b32 v85, v84, v83, s98
	v_perm_b32 v84, v49, v46, s98
	s_nop 3
	v_accvgpr_read_b32 v31, a0
	v_cvt_f16_f32_e32 v31, v31
	v_accvgpr_read_b32 v32, a1
	v_accvgpr_read_b32 v41, a2
	v_accvgpr_read_b32 v42, a3
	v_cvt_f16_f32_e32 v32, v32
	v_cvt_f16_f32_e32 v41, v41
	v_cvt_f16_f32_e32 v45, v42
	v_cvt_f32_f16_e32 v42, v31
	v_cvt_f32_f16_e32 v43, v32
	v_cvt_f32_f16_e32 v44, v41
	v_cvt_f32_f16_e32 v45, v45
	v_accvgpr_write_b32 a0, v42
	v_accvgpr_write_b32 a1, v43
	v_accvgpr_write_b32 a2, v44
	v_accvgpr_write_b32 a3, v45
	v_cvt_f32_f16_sdwa v43, v34 dst_sel:DWORD dst_unused:UNUSED_PAD src0_sel:WORD_1
	v_cvt_f32_f16_e32 v44, v33
	v_mfma_f32_16x16x16f16 a[0:3], v[84:85], v[4:5], a[0:3]
	v_cvt_f32_f16_sdwa v45, v33 dst_sel:DWORD dst_unused:UNUSED_PAD src0_sel:WORD_1
	s_nop 7
	s_nop 1
	v_accvgpr_read_b32 v31, a0
	v_accvgpr_read_b32 v32, a1
	v_accvgpr_read_b32 v41, a2
	v_accvgpr_read_b32 v42, a3
	v_cvt_f16_f32_e32 v31, v31
	v_cvt_f16_f32_e32 v32, v32
	v_cvt_f16_f32_e32 v41, v41
	v_cvt_f16_f32_e32 v42, v42
	v_pack_b32_f16 v32, v31, v32
	v_pack_b32_f16 v31, v41, v42
	ds_read_u16 v41, v149 offset:416
	ds_read_u16 v46, v223 offset:528
	ds_read_u16 v49, v223 offset:1056
	ds_read_u16 v83, v151 offset:416
	v_cvt_f32_f16_e32 v42, v34
	s_waitcnt lgkmcnt(2)
	v_perm_b32 v84, v46, v41, s98
	s_waitcnt lgkmcnt(0)
	v_perm_b32 v85, v83, v49, s98
	v_accvgpr_write_b32 a0, v42
	v_accvgpr_write_b32 a1, v43
	v_accvgpr_write_b32 a2, v44
	v_accvgpr_write_b32 a3, v45
	s_nop 1
	v_mfma_f32_16x16x16f16 a[0:3], v[84:85], v[6:7], a[0:3]
	ds_read_u16 v46, v189 offset:16896
	ds_read_u16 v49, v188 offset:528
	ds_read_u16 v83, v227 offset:1056
	ds_read_u16 v84, v155 offset:16896
	s_waitcnt lgkmcnt(0)
	v_perm_b32 v85, v84, v83, s98
	v_perm_b32 v84, v49, v46, s98
	s_nop 3
	v_accvgpr_read_b32 v33, a0
	v_cvt_f16_f32_e32 v33, v33
	v_accvgpr_read_b32 v34, a1
	v_accvgpr_read_b32 v41, a2
	v_accvgpr_read_b32 v42, a3
	v_cvt_f16_f32_e32 v34, v34
	v_cvt_f16_f32_e32 v41, v41
	v_cvt_f16_f32_e32 v45, v42
	v_cvt_f32_f16_e32 v42, v33
	v_cvt_f32_f16_e32 v43, v34
	v_cvt_f32_f16_e32 v44, v41
	v_cvt_f32_f16_e32 v45, v45
	;; [unrolled: 55-line block ×3, first 2 shown]
	v_accvgpr_write_b32 a0, v42
	v_accvgpr_write_b32 a1, v43
	;; [unrolled: 1-line block ×4, first 2 shown]
	v_cvt_f32_f16_sdwa v43, v40 dst_sel:DWORD dst_unused:UNUSED_PAD src0_sel:WORD_1
	v_cvt_f32_f16_e32 v44, v39
	v_mfma_f32_16x16x16f16 a[0:3], v[84:85], v[4:5], a[0:3]
	v_cvt_f32_f16_sdwa v45, v39 dst_sel:DWORD dst_unused:UNUSED_PAD src0_sel:WORD_1
	s_nop 7
	s_nop 1
	v_accvgpr_read_b32 v35, a0
	v_accvgpr_read_b32 v36, a1
	;; [unrolled: 1-line block ×4, first 2 shown]
	v_cvt_f16_f32_e32 v35, v35
	v_cvt_f16_f32_e32 v36, v36
	;; [unrolled: 1-line block ×4, first 2 shown]
	v_pack_b32_f16 v36, v35, v36
	v_pack_b32_f16 v35, v41, v42
	ds_read_u16 v46, v149 offset:480
	ds_read_u16 v49, v230 offset:528
	;; [unrolled: 1-line block ×4, first 2 shown]
	v_cvt_f32_f16_e32 v42, v40
	s_waitcnt lgkmcnt(2)
	v_perm_b32 v40, v49, v46, s98
	s_waitcnt lgkmcnt(0)
	v_perm_b32 v41, v83, v41, s98
	v_accvgpr_write_b32 a0, v42
	v_accvgpr_write_b32 a1, v43
	;; [unrolled: 1-line block ×4, first 2 shown]
	s_nop 1
	v_mfma_f32_16x16x16f16 a[0:3], v[40:41], v[6:7], a[0:3]
	ds_read_u16 v41, v194 offset:16896
	ds_read_u16 v46, v196 offset:528
	;; [unrolled: 1-line block ×4, first 2 shown]
	s_waitcnt lgkmcnt(0)
	s_barrier
	s_nop 4
	v_accvgpr_read_b32 v6, a0
	v_cvt_f16_f32_e32 v6, v6
	v_accvgpr_read_b32 v7, a1
	v_accvgpr_read_b32 v39, a2
	v_accvgpr_read_b32 v40, a3
	v_cvt_f16_f32_e32 v7, v7
	v_cvt_f16_f32_e32 v39, v39
	;; [unrolled: 1-line block ×3, first 2 shown]
	v_cvt_f32_f16_e32 v42, v6
	v_cvt_f32_f16_e32 v43, v7
	;; [unrolled: 1-line block ×4, first 2 shown]
	v_perm_b32 v7, v83, v49, s98
	v_perm_b32 v6, v46, v41, s98
	v_accvgpr_write_b32 a0, v42
	v_accvgpr_write_b32 a1, v43
	;; [unrolled: 1-line block ×4, first 2 shown]
	s_nop 1
	v_mfma_f32_16x16x16f16 a[0:3], v[6:7], v[4:5], a[0:3]
	s_nop 7
	s_nop 2
	v_accvgpr_read_b32 v4, a0
	v_accvgpr_read_b32 v5, a1
	;; [unrolled: 1-line block ×4, first 2 shown]
	v_cvt_f16_f32_e32 v4, v4
	v_cvt_f16_f32_e32 v5, v5
	;; [unrolled: 1-line block ×4, first 2 shown]
	v_pack_b32_f16 v4, v4, v5
	v_pack_b32_f16 v5, v6, v7
	ds_bpermute_b32 v6, v37, v3
	s_waitcnt lgkmcnt(0)
	v_add_f32_e32 v3, v3, v6
	s_and_saveexec_b64 s[50:51], s[48:49]
	s_xor_b64 s[48:49], exec, s[50:51]
	s_or_saveexec_b64 s[48:49], s[48:49]
	v_accvgpr_read_b32 v166, a13
	v_accvgpr_read_b32 v171, a14
	;; [unrolled: 1-line block ×10, first 2 shown]
	s_xor_b64 exec, exec, s[48:49]
	s_cbranch_execz .LBB29_232
; %bb.231:                              ;   in Loop: Header=BB29_14 Depth=1
	global_load_dword v7, v203, s[82:83]
	v_max_f32_e32 v38, v2, v2
	s_waitcnt vmcnt(0)
	v_max_f32_e32 v6, v7, v7
	v_max_f32_e32 v6, v38, v6
	v_sub_f32_e32 v2, v2, v6
	v_mul_f32_e32 v38, 0x3fb8aa3b, v2
	v_fma_f32 v39, v2, s91, -v38
	v_rndne_f32_e32 v40, v38
	v_fmac_f32_e32 v39, 0x32a5705f, v2
	v_sub_f32_e32 v38, v38, v40
	v_add_f32_e32 v38, v38, v39
	v_exp_f32_e32 v38, v38
	v_cvt_i32_f32_e32 v39, v40
	v_cmp_ngt_f32_e32 vcc, s96, v2
	v_sub_f32_e32 v7, v7, v6
	v_ldexp_f32 v38, v38, v39
	v_cndmask_b32_e32 v38, 0, v38, vcc
	v_cmp_nlt_f32_e32 vcc, s45, v2
	v_cndmask_b32_e32 v38, v253, v38, vcc
	v_cmp_le_f32_e32 vcc, s33, v2
	v_cndmask_b32_e32 v2, 0, v38, vcc
	v_cvt_f16_f32_e32 v38, v2
	v_cmp_ngt_f32_e32 vcc, s96, v7
	v_pk_mul_f16 v8, v38, v8 op_sel_hi:[0,1]
	v_pk_mul_f16 v1, v38, v1 op_sel_hi:[0,1]
	;; [unrolled: 1-line block ×32, first 2 shown]
	v_mul_f32_e32 v38, 0x3fb8aa3b, v7
	v_fma_f32 v39, v7, s91, -v38
	v_rndne_f32_e32 v40, v38
	v_fmac_f32_e32 v39, 0x32a5705f, v7
	v_sub_f32_e32 v38, v38, v40
	v_add_f32_e32 v38, v38, v39
	v_exp_f32_e32 v38, v38
	v_cvt_i32_f32_e32 v39, v40
	v_ldexp_f32 v38, v38, v39
	v_cndmask_b32_e32 v38, 0, v38, vcc
	v_cmp_nlt_f32_e32 vcc, s45, v7
	v_cndmask_b32_e32 v7, v253, v38, vcc
	v_fmac_f32_e32 v7, v3, v2
	v_pk_mov_b32 v[2:3], v[6:7], v[6:7] op_sel:[0,1]
.LBB29_232:                             ;   in Loop: Header=BB29_14 Depth=1
	s_or_b64 exec, exec, s[48:49]
	v_readlane_b32 s40, v255, 16
	v_readlane_b32 s41, v255, 17
	s_and_saveexec_b64 s[48:49], s[40:41]
	v_readlane_b32 s80, v255, 24
	v_readlane_b32 s76, v254, 10
	;; [unrolled: 1-line block ×6, first 2 shown]
	s_cbranch_execz .LBB29_234
; %bb.233:                              ;   in Loop: Header=BB29_14 Depth=1
	v_accvgpr_read_b32 v6, a75
	v_add_u32_e32 v6, 0, v6
	ds_write2_b32 v6, v2, v3 offset0:128 offset1:129
.LBB29_234:                             ;   in Loop: Header=BB29_14 Depth=1
	s_or_b64 exec, exec, s[48:49]
	v_readlane_b32 s40, v255, 14
	v_readlane_b32 s41, v255, 15
	s_waitcnt lgkmcnt(0)
	s_barrier
	s_and_saveexec_b64 s[48:49], s[40:41]
	s_xor_b64 s[48:49], exec, s[48:49]
	s_cbranch_execz .LBB29_236
; %bb.235:                              ;   in Loop: Header=BB29_14 Depth=1
	s_barrier
	s_waitcnt lgkmcnt(0)
                                        ; implicit-def: $vgpr37
.LBB29_236:                             ;   in Loop: Header=BB29_14 Depth=1
	s_andn2_saveexec_b64 s[48:49], s[48:49]
	s_cbranch_execz .LBB29_240
; %bb.237:                              ;   in Loop: Header=BB29_14 Depth=1
	v_accvgpr_read_b32 v2, a76
	v_add_u32_e32 v6, 0, v2
	ds_read_b64 v[2:3], v6 offset:512
	v_readlane_b32 s40, v255, 18
	v_readlane_b32 s41, v255, 19
	s_waitcnt lgkmcnt(0)
	s_barrier
	ds_bpermute_b32 v7, v37, v2
	v_max_f32_e32 v38, v2, v2
	s_waitcnt lgkmcnt(0)
	v_max_f32_e32 v7, v7, v7
	v_max_f32_e32 v7, v38, v7
	v_sub_f32_e32 v2, v2, v7
	v_mul_f32_e32 v7, 0x3fb8aa3b, v2
	v_fma_f32 v38, v2, s91, -v7
	v_rndne_f32_e32 v39, v7
	v_fmac_f32_e32 v38, 0x32a5705f, v2
	v_sub_f32_e32 v7, v7, v39
	v_add_f32_e32 v7, v7, v38
	v_cvt_i32_f32_e32 v39, v39
	v_exp_f32_e32 v7, v7
	v_cmp_ngt_f32_e32 vcc, s96, v2
	v_ldexp_f32 v7, v7, v39
	v_cndmask_b32_e32 v7, 0, v7, vcc
	v_cmp_nlt_f32_e32 vcc, s45, v2
	v_cndmask_b32_e32 v2, v253, v7, vcc
	v_mul_f32_e32 v3, v3, v2
	ds_bpermute_b32 v7, v37, v3
	s_and_saveexec_b64 s[50:51], s[40:41]
	s_cbranch_execz .LBB29_239
; %bb.238:                              ;   in Loop: Header=BB29_14 Depth=1
	s_waitcnt lgkmcnt(0)
	v_add_f32_e32 v3, v3, v7
	ds_write_b64 v6, v[2:3] offset:512
.LBB29_239:                             ;   in Loop: Header=BB29_14 Depth=1
	s_or_b64 exec, exec, s[50:51]
.LBB29_240:                             ;   in Loop: Header=BB29_14 Depth=1
	s_or_b64 exec, exec, s[48:49]
	v_readlane_b32 s40, v255, 12
	v_readlane_b32 s41, v255, 13
	ds_write2_b32 v105, v8, v1 offset1:1
	ds_write2_b32 v105, v10, v9 offset0:8 offset1:9
	ds_write2_b32 v105, v12, v11 offset0:16 offset1:17
	;; [unrolled: 1-line block ×15, first 2 shown]
	s_waitcnt lgkmcnt(0)
	s_barrier
	s_and_saveexec_b64 s[48:49], s[40:41]
	s_cbranch_execz .LBB29_318
; %bb.241:                              ;   in Loop: Header=BB29_14 Depth=1
	v_accvgpr_read_b32 v1, a53
	v_add_u32_e32 v4, s94, v1
	v_cmp_gt_i32_e32 vcc, s76, v4
	v_mov_b32_e32 v1, 0x47
	s_and_saveexec_b64 s[50:51], vcc
	s_cbranch_execz .LBB29_243
; %bb.242:                              ;   in Loop: Header=BB29_14 Depth=1
	v_accvgpr_read_b32 v1, a81
	v_add_u32_e32 v1, 0, v1
	ds_read2_b32 v[2:3], v1 offset0:128 offset1:129
	ds_read_b32 v6, v1 offset:8960
	v_accvgpr_read_b32 v1, a80
	ds_read2st64_b32 v[8:9], v1 offset1:1
	ds_read_b32 v1, v1 offset:8448
	v_readlane_b32 s40, v255, 2
	v_mad_u64_u32 v[4:5], s[52:53], s40, v4, v[100:101]
	s_waitcnt lgkmcnt(1)
	v_cvt_f32_f16_sdwa v11, v8 dst_sel:DWORD dst_unused:UNUSED_PAD src0_sel:WORD_1
	v_cvt_f32_f16_e32 v10, v8
	s_waitcnt lgkmcnt(0)
	v_cvt_f32_f16_sdwa v13, v1 dst_sel:DWORD dst_unused:UNUSED_PAD src0_sel:WORD_1
	v_cvt_f32_f16_e32 v12, v1
	v_ashrrev_i32_e32 v5, 31, v4
	v_mov_b32_e32 v7, s74
	v_pk_fma_f32 v[10:11], v[2:3], v[10:11], 0 op_sel_hi:[0,1,0]
	v_lshlrev_b64 v[4:5], 3, v[4:5]
	v_pk_fma_f32 v[10:11], v[6:7], v[12:13], v[10:11] op_sel_hi:[0,1,1]
	v_add_co_u32_e32 v4, vcc, s75, v4
	v_div_scale_f32 v1, s[52:53], v3, v3, v11
	v_addc_co_u32_e32 v5, vcc, v7, v5, vcc
	v_rcp_f32_e32 v7, v1
	v_fma_f32 v8, -v1, v7, 1.0
	v_fmac_f32_e32 v7, v8, v7
	v_div_scale_f32 v8, vcc, v11, v3, v11
	v_mul_f32_e32 v12, v8, v7
	v_fma_f32 v13, -v1, v12, v8
	v_fmac_f32_e32 v12, v13, v7
	v_fma_f32 v1, -v1, v12, v8
	v_div_fmas_f32 v1, v1, v7, v12
	v_div_fixup_f32 v11, v1, v3, v11
	v_div_scale_f32 v1, s[52:53], v3, v3, v10
	v_rcp_f32_e32 v7, v1
	v_fma_f32 v8, -v1, v7, 1.0
	v_fmac_f32_e32 v7, v8, v7
	v_div_scale_f32 v8, vcc, v10, v3, v10
	v_mul_f32_e32 v12, v8, v7
	v_fma_f32 v13, -v1, v12, v8
	v_fmac_f32_e32 v12, v13, v7
	v_fma_f32 v1, -v1, v12, v8
	v_div_fmas_f32 v1, v1, v7, v12
	v_div_fixup_f32 v10, v1, v3, v10
	v_accvgpr_read_b32 v1, a82
	ds_read_b32 v1, v1 offset:8448
	global_store_dwordx2 v[4:5], v[10:11], off
	v_cvt_f32_f16_sdwa v11, v9 dst_sel:DWORD dst_unused:UNUSED_PAD src0_sel:WORD_1
	v_cvt_f32_f16_e32 v10, v9
	v_pk_fma_f32 v[8:9], v[2:3], v[10:11], 0 op_sel_hi:[0,1,0]
	s_waitcnt lgkmcnt(0)
	v_cvt_f32_f16_sdwa v11, v1 dst_sel:DWORD dst_unused:UNUSED_PAD src0_sel:WORD_1
	v_cvt_f32_f16_e32 v10, v1
	v_pk_fma_f32 v[6:7], v[6:7], v[10:11], v[8:9] op_sel_hi:[0,1,1]
	v_div_scale_f32 v1, s[52:53], v3, v3, v7
	v_rcp_f32_e32 v2, v1
	v_fma_f32 v8, -v1, v2, 1.0
	v_fmac_f32_e32 v2, v8, v2
	v_div_scale_f32 v8, vcc, v7, v3, v7
	v_mul_f32_e32 v9, v8, v2
	v_fma_f32 v10, -v1, v9, v8
	v_fmac_f32_e32 v9, v10, v2
	v_fma_f32 v1, -v1, v9, v8
	v_div_fmas_f32 v1, v1, v2, v9
	v_div_fixup_f32 v7, v1, v3, v7
	v_div_scale_f32 v1, s[52:53], v3, v3, v6
	v_rcp_f32_e32 v2, v1
	v_fma_f32 v8, -v1, v2, 1.0
	v_fmac_f32_e32 v2, v8, v2
	v_div_scale_f32 v8, vcc, v6, v3, v6
	v_mul_f32_e32 v9, v8, v2
	v_fma_f32 v10, -v1, v9, v8
	v_fmac_f32_e32 v9, v10, v2
	v_fma_f32 v1, -v1, v9, v8
	v_div_fmas_f32 v1, v1, v2, v9
	v_div_fixup_f32 v6, v1, v3, v6
	v_mov_b32_e32 v1, 0
	global_store_dwordx2 v[4:5], v[6:7], off offset:512
.LBB29_243:                             ;   in Loop: Header=BB29_14 Depth=1
	s_or_b64 exec, exec, s[50:51]
	s_movk_i32 s40, 0x47
	v_cmp_gt_i32_e32 vcc, s40, v1
	s_mov_b64 s[50:51], -1
	s_and_saveexec_b64 s[52:53], vcc
; %bb.244:                              ;   in Loop: Header=BB29_14 Depth=1
	v_cmp_eq_u32_e32 vcc, 0, v1
	s_orn2_b64 s[50:51], vcc, exec
; %bb.245:                              ;   in Loop: Header=BB29_14 Depth=1
	s_or_b64 exec, exec, s[52:53]
	s_and_b64 exec, exec, s[50:51]
	s_cbranch_execz .LBB29_318
; %bb.246:                              ;   in Loop: Header=BB29_14 Depth=1
	v_accvgpr_read_b32 v1, a54
	v_add_u32_e32 v4, s94, v1
	v_cmp_gt_i32_e32 vcc, s76, v4
	v_mov_b32_e32 v1, 0x47
	s_and_saveexec_b64 s[50:51], vcc
	s_cbranch_execz .LBB29_248
; %bb.247:                              ;   in Loop: Header=BB29_14 Depth=1
	v_accvgpr_read_b32 v1, a84
	v_add_u32_e32 v1, 0, v1
	ds_read2_b32 v[2:3], v1 offset0:128 offset1:129
	ds_read_b32 v6, v1 offset:8960
	v_accvgpr_read_b32 v1, a83
	ds_read2st64_b32 v[8:9], v1 offset1:1
	ds_read_b32 v1, v1 offset:8448
	v_readlane_b32 s40, v255, 2
	v_mad_u64_u32 v[4:5], s[52:53], s40, v4, v[100:101]
	s_waitcnt lgkmcnt(1)
	v_cvt_f32_f16_sdwa v11, v8 dst_sel:DWORD dst_unused:UNUSED_PAD src0_sel:WORD_1
	v_cvt_f32_f16_e32 v10, v8
	s_waitcnt lgkmcnt(0)
	v_cvt_f32_f16_sdwa v13, v1 dst_sel:DWORD dst_unused:UNUSED_PAD src0_sel:WORD_1
	v_cvt_f32_f16_e32 v12, v1
	v_ashrrev_i32_e32 v5, 31, v4
	v_mov_b32_e32 v7, s74
	v_pk_fma_f32 v[10:11], v[2:3], v[10:11], 0 op_sel_hi:[0,1,0]
	v_lshlrev_b64 v[4:5], 3, v[4:5]
	v_pk_fma_f32 v[10:11], v[6:7], v[12:13], v[10:11] op_sel_hi:[0,1,1]
	v_add_co_u32_e32 v4, vcc, s75, v4
	v_div_scale_f32 v1, s[52:53], v3, v3, v11
	v_addc_co_u32_e32 v5, vcc, v7, v5, vcc
	v_rcp_f32_e32 v7, v1
	v_fma_f32 v8, -v1, v7, 1.0
	v_fmac_f32_e32 v7, v8, v7
	v_div_scale_f32 v8, vcc, v11, v3, v11
	v_mul_f32_e32 v12, v8, v7
	v_fma_f32 v13, -v1, v12, v8
	v_fmac_f32_e32 v12, v13, v7
	v_fma_f32 v1, -v1, v12, v8
	v_div_fmas_f32 v1, v1, v7, v12
	v_div_fixup_f32 v11, v1, v3, v11
	v_div_scale_f32 v1, s[52:53], v3, v3, v10
	v_rcp_f32_e32 v7, v1
	v_fma_f32 v8, -v1, v7, 1.0
	v_fmac_f32_e32 v7, v8, v7
	v_div_scale_f32 v8, vcc, v10, v3, v10
	v_mul_f32_e32 v12, v8, v7
	v_fma_f32 v13, -v1, v12, v8
	v_fmac_f32_e32 v12, v13, v7
	v_fma_f32 v1, -v1, v12, v8
	v_div_fmas_f32 v1, v1, v7, v12
	v_div_fixup_f32 v10, v1, v3, v10
	v_accvgpr_read_b32 v1, a85
	ds_read_b32 v1, v1 offset:8448
	global_store_dwordx2 v[4:5], v[10:11], off
	v_cvt_f32_f16_sdwa v11, v9 dst_sel:DWORD dst_unused:UNUSED_PAD src0_sel:WORD_1
	v_cvt_f32_f16_e32 v10, v9
	v_pk_fma_f32 v[8:9], v[2:3], v[10:11], 0 op_sel_hi:[0,1,0]
	s_waitcnt lgkmcnt(0)
	v_cvt_f32_f16_sdwa v11, v1 dst_sel:DWORD dst_unused:UNUSED_PAD src0_sel:WORD_1
	v_cvt_f32_f16_e32 v10, v1
	v_pk_fma_f32 v[6:7], v[6:7], v[10:11], v[8:9] op_sel_hi:[0,1,1]
	v_div_scale_f32 v1, s[52:53], v3, v3, v7
	v_rcp_f32_e32 v2, v1
	v_fma_f32 v8, -v1, v2, 1.0
	v_fmac_f32_e32 v2, v8, v2
	v_div_scale_f32 v8, vcc, v7, v3, v7
	v_mul_f32_e32 v9, v8, v2
	v_fma_f32 v10, -v1, v9, v8
	v_fmac_f32_e32 v9, v10, v2
	v_fma_f32 v1, -v1, v9, v8
	v_div_fmas_f32 v1, v1, v2, v9
	v_div_fixup_f32 v7, v1, v3, v7
	v_div_scale_f32 v1, s[52:53], v3, v3, v6
	v_rcp_f32_e32 v2, v1
	v_fma_f32 v8, -v1, v2, 1.0
	v_fmac_f32_e32 v2, v8, v2
	v_div_scale_f32 v8, vcc, v6, v3, v6
	v_mul_f32_e32 v9, v8, v2
	v_fma_f32 v10, -v1, v9, v8
	v_fmac_f32_e32 v9, v10, v2
	v_fma_f32 v1, -v1, v9, v8
	v_div_fmas_f32 v1, v1, v2, v9
	v_div_fixup_f32 v6, v1, v3, v6
	v_mov_b32_e32 v1, 0
	global_store_dwordx2 v[4:5], v[6:7], off offset:512
.LBB29_248:                             ;   in Loop: Header=BB29_14 Depth=1
	s_or_b64 exec, exec, s[50:51]
	s_movk_i32 s40, 0x47
	v_cmp_gt_i32_e32 vcc, s40, v1
	s_mov_b64 s[50:51], -1
	s_and_saveexec_b64 s[52:53], vcc
; %bb.249:                              ;   in Loop: Header=BB29_14 Depth=1
	v_cmp_eq_u32_e32 vcc, 0, v1
	s_orn2_b64 s[50:51], vcc, exec
; %bb.250:                              ;   in Loop: Header=BB29_14 Depth=1
	s_or_b64 exec, exec, s[52:53]
	s_and_b64 exec, exec, s[50:51]
	s_cbranch_execz .LBB29_318
; %bb.251:                              ;   in Loop: Header=BB29_14 Depth=1
	v_accvgpr_read_b32 v1, a55
	v_add_u32_e32 v4, s94, v1
	v_cmp_gt_i32_e32 vcc, s76, v4
	v_mov_b32_e32 v1, 0x47
	s_and_saveexec_b64 s[50:51], vcc
	s_cbranch_execz .LBB29_253
; %bb.252:                              ;   in Loop: Header=BB29_14 Depth=1
	v_accvgpr_read_b32 v1, a87
	v_add_u32_e32 v1, 0, v1
	ds_read2_b32 v[2:3], v1 offset0:128 offset1:129
	ds_read_b32 v6, v1 offset:8960
	v_accvgpr_read_b32 v1, a86
	ds_read2st64_b32 v[8:9], v1 offset1:1
	ds_read_b32 v1, v1 offset:8448
	v_readlane_b32 s40, v255, 2
	v_mad_u64_u32 v[4:5], s[52:53], s40, v4, v[100:101]
	s_waitcnt lgkmcnt(1)
	v_cvt_f32_f16_sdwa v11, v8 dst_sel:DWORD dst_unused:UNUSED_PAD src0_sel:WORD_1
	v_cvt_f32_f16_e32 v10, v8
	s_waitcnt lgkmcnt(0)
	v_cvt_f32_f16_sdwa v13, v1 dst_sel:DWORD dst_unused:UNUSED_PAD src0_sel:WORD_1
	v_cvt_f32_f16_e32 v12, v1
	v_ashrrev_i32_e32 v5, 31, v4
	v_mov_b32_e32 v7, s74
	v_pk_fma_f32 v[10:11], v[2:3], v[10:11], 0 op_sel_hi:[0,1,0]
	v_lshlrev_b64 v[4:5], 3, v[4:5]
	v_pk_fma_f32 v[10:11], v[6:7], v[12:13], v[10:11] op_sel_hi:[0,1,1]
	v_add_co_u32_e32 v4, vcc, s75, v4
	v_div_scale_f32 v1, s[52:53], v3, v3, v11
	v_addc_co_u32_e32 v5, vcc, v7, v5, vcc
	v_rcp_f32_e32 v7, v1
	v_fma_f32 v8, -v1, v7, 1.0
	v_fmac_f32_e32 v7, v8, v7
	v_div_scale_f32 v8, vcc, v11, v3, v11
	v_mul_f32_e32 v12, v8, v7
	v_fma_f32 v13, -v1, v12, v8
	v_fmac_f32_e32 v12, v13, v7
	v_fma_f32 v1, -v1, v12, v8
	v_div_fmas_f32 v1, v1, v7, v12
	v_div_fixup_f32 v11, v1, v3, v11
	v_div_scale_f32 v1, s[52:53], v3, v3, v10
	v_rcp_f32_e32 v7, v1
	v_fma_f32 v8, -v1, v7, 1.0
	v_fmac_f32_e32 v7, v8, v7
	v_div_scale_f32 v8, vcc, v10, v3, v10
	v_mul_f32_e32 v12, v8, v7
	v_fma_f32 v13, -v1, v12, v8
	v_fmac_f32_e32 v12, v13, v7
	v_fma_f32 v1, -v1, v12, v8
	v_div_fmas_f32 v1, v1, v7, v12
	v_div_fixup_f32 v10, v1, v3, v10
	v_accvgpr_read_b32 v1, a88
	ds_read_b32 v1, v1 offset:8448
	global_store_dwordx2 v[4:5], v[10:11], off
	v_cvt_f32_f16_sdwa v11, v9 dst_sel:DWORD dst_unused:UNUSED_PAD src0_sel:WORD_1
	v_cvt_f32_f16_e32 v10, v9
	v_pk_fma_f32 v[8:9], v[2:3], v[10:11], 0 op_sel_hi:[0,1,0]
	s_waitcnt lgkmcnt(0)
	v_cvt_f32_f16_sdwa v11, v1 dst_sel:DWORD dst_unused:UNUSED_PAD src0_sel:WORD_1
	v_cvt_f32_f16_e32 v10, v1
	v_pk_fma_f32 v[6:7], v[6:7], v[10:11], v[8:9] op_sel_hi:[0,1,1]
	v_div_scale_f32 v1, s[52:53], v3, v3, v7
	v_rcp_f32_e32 v2, v1
	v_fma_f32 v8, -v1, v2, 1.0
	v_fmac_f32_e32 v2, v8, v2
	v_div_scale_f32 v8, vcc, v7, v3, v7
	v_mul_f32_e32 v9, v8, v2
	v_fma_f32 v10, -v1, v9, v8
	v_fmac_f32_e32 v9, v10, v2
	v_fma_f32 v1, -v1, v9, v8
	v_div_fmas_f32 v1, v1, v2, v9
	v_div_fixup_f32 v7, v1, v3, v7
	v_div_scale_f32 v1, s[52:53], v3, v3, v6
	v_rcp_f32_e32 v2, v1
	v_fma_f32 v8, -v1, v2, 1.0
	v_fmac_f32_e32 v2, v8, v2
	v_div_scale_f32 v8, vcc, v6, v3, v6
	v_mul_f32_e32 v9, v8, v2
	v_fma_f32 v10, -v1, v9, v8
	v_fmac_f32_e32 v9, v10, v2
	v_fma_f32 v1, -v1, v9, v8
	v_div_fmas_f32 v1, v1, v2, v9
	v_div_fixup_f32 v6, v1, v3, v6
	v_mov_b32_e32 v1, 0
	global_store_dwordx2 v[4:5], v[6:7], off offset:512
.LBB29_253:                             ;   in Loop: Header=BB29_14 Depth=1
	s_or_b64 exec, exec, s[50:51]
	s_movk_i32 s40, 0x47
	v_cmp_gt_i32_e32 vcc, s40, v1
	s_mov_b64 s[50:51], -1
	s_and_saveexec_b64 s[52:53], vcc
; %bb.254:                              ;   in Loop: Header=BB29_14 Depth=1
	v_cmp_eq_u32_e32 vcc, 0, v1
	s_orn2_b64 s[50:51], vcc, exec
; %bb.255:                              ;   in Loop: Header=BB29_14 Depth=1
	s_or_b64 exec, exec, s[52:53]
	s_and_b64 exec, exec, s[50:51]
	s_cbranch_execz .LBB29_318
; %bb.256:                              ;   in Loop: Header=BB29_14 Depth=1
	v_accvgpr_read_b32 v1, a56
	v_add_u32_e32 v4, s94, v1
	v_cmp_gt_i32_e32 vcc, s76, v4
	v_mov_b32_e32 v1, 0x47
	s_and_saveexec_b64 s[50:51], vcc
	s_cbranch_execz .LBB29_258
; %bb.257:                              ;   in Loop: Header=BB29_14 Depth=1
	v_accvgpr_read_b32 v1, a90
	v_add_u32_e32 v1, 0, v1
	ds_read2_b32 v[2:3], v1 offset0:128 offset1:129
	ds_read_b32 v6, v1 offset:8960
	v_accvgpr_read_b32 v1, a89
	ds_read2st64_b32 v[8:9], v1 offset1:1
	ds_read_b32 v1, v1 offset:8448
	v_readlane_b32 s40, v255, 2
	v_mad_u64_u32 v[4:5], s[52:53], s40, v4, v[100:101]
	s_waitcnt lgkmcnt(1)
	v_cvt_f32_f16_sdwa v11, v8 dst_sel:DWORD dst_unused:UNUSED_PAD src0_sel:WORD_1
	v_cvt_f32_f16_e32 v10, v8
	s_waitcnt lgkmcnt(0)
	v_cvt_f32_f16_sdwa v13, v1 dst_sel:DWORD dst_unused:UNUSED_PAD src0_sel:WORD_1
	v_cvt_f32_f16_e32 v12, v1
	v_ashrrev_i32_e32 v5, 31, v4
	v_mov_b32_e32 v7, s74
	v_pk_fma_f32 v[10:11], v[2:3], v[10:11], 0 op_sel_hi:[0,1,0]
	v_lshlrev_b64 v[4:5], 3, v[4:5]
	v_pk_fma_f32 v[10:11], v[6:7], v[12:13], v[10:11] op_sel_hi:[0,1,1]
	v_add_co_u32_e32 v4, vcc, s75, v4
	v_div_scale_f32 v1, s[52:53], v3, v3, v11
	v_addc_co_u32_e32 v5, vcc, v7, v5, vcc
	v_rcp_f32_e32 v7, v1
	v_fma_f32 v8, -v1, v7, 1.0
	v_fmac_f32_e32 v7, v8, v7
	v_div_scale_f32 v8, vcc, v11, v3, v11
	v_mul_f32_e32 v12, v8, v7
	v_fma_f32 v13, -v1, v12, v8
	v_fmac_f32_e32 v12, v13, v7
	v_fma_f32 v1, -v1, v12, v8
	v_div_fmas_f32 v1, v1, v7, v12
	v_div_fixup_f32 v11, v1, v3, v11
	v_div_scale_f32 v1, s[52:53], v3, v3, v10
	v_rcp_f32_e32 v7, v1
	v_fma_f32 v8, -v1, v7, 1.0
	v_fmac_f32_e32 v7, v8, v7
	v_div_scale_f32 v8, vcc, v10, v3, v10
	v_mul_f32_e32 v12, v8, v7
	v_fma_f32 v13, -v1, v12, v8
	v_fmac_f32_e32 v12, v13, v7
	v_fma_f32 v1, -v1, v12, v8
	v_div_fmas_f32 v1, v1, v7, v12
	v_div_fixup_f32 v10, v1, v3, v10
	v_accvgpr_read_b32 v1, a91
	ds_read_b32 v1, v1 offset:8448
	global_store_dwordx2 v[4:5], v[10:11], off
	v_cvt_f32_f16_sdwa v11, v9 dst_sel:DWORD dst_unused:UNUSED_PAD src0_sel:WORD_1
	v_cvt_f32_f16_e32 v10, v9
	v_pk_fma_f32 v[8:9], v[2:3], v[10:11], 0 op_sel_hi:[0,1,0]
	s_waitcnt lgkmcnt(0)
	v_cvt_f32_f16_sdwa v11, v1 dst_sel:DWORD dst_unused:UNUSED_PAD src0_sel:WORD_1
	v_cvt_f32_f16_e32 v10, v1
	v_pk_fma_f32 v[6:7], v[6:7], v[10:11], v[8:9] op_sel_hi:[0,1,1]
	v_div_scale_f32 v1, s[52:53], v3, v3, v7
	v_rcp_f32_e32 v2, v1
	v_fma_f32 v8, -v1, v2, 1.0
	v_fmac_f32_e32 v2, v8, v2
	v_div_scale_f32 v8, vcc, v7, v3, v7
	v_mul_f32_e32 v9, v8, v2
	v_fma_f32 v10, -v1, v9, v8
	v_fmac_f32_e32 v9, v10, v2
	v_fma_f32 v1, -v1, v9, v8
	v_div_fmas_f32 v1, v1, v2, v9
	v_div_fixup_f32 v7, v1, v3, v7
	v_div_scale_f32 v1, s[52:53], v3, v3, v6
	v_rcp_f32_e32 v2, v1
	v_fma_f32 v8, -v1, v2, 1.0
	v_fmac_f32_e32 v2, v8, v2
	v_div_scale_f32 v8, vcc, v6, v3, v6
	v_mul_f32_e32 v9, v8, v2
	v_fma_f32 v10, -v1, v9, v8
	v_fmac_f32_e32 v9, v10, v2
	v_fma_f32 v1, -v1, v9, v8
	v_div_fmas_f32 v1, v1, v2, v9
	v_div_fixup_f32 v6, v1, v3, v6
	v_mov_b32_e32 v1, 0
	global_store_dwordx2 v[4:5], v[6:7], off offset:512
.LBB29_258:                             ;   in Loop: Header=BB29_14 Depth=1
	s_or_b64 exec, exec, s[50:51]
	s_movk_i32 s40, 0x47
	v_cmp_gt_i32_e32 vcc, s40, v1
	s_mov_b64 s[50:51], -1
	s_and_saveexec_b64 s[52:53], vcc
; %bb.259:                              ;   in Loop: Header=BB29_14 Depth=1
	v_cmp_eq_u32_e32 vcc, 0, v1
	s_orn2_b64 s[50:51], vcc, exec
; %bb.260:                              ;   in Loop: Header=BB29_14 Depth=1
	s_or_b64 exec, exec, s[52:53]
	s_and_b64 exec, exec, s[50:51]
	s_cbranch_execz .LBB29_318
; %bb.261:                              ;   in Loop: Header=BB29_14 Depth=1
	v_accvgpr_read_b32 v1, a57
	v_add_u32_e32 v4, s94, v1
	v_cmp_gt_i32_e32 vcc, s76, v4
	v_mov_b32_e32 v1, 0x47
	s_and_saveexec_b64 s[50:51], vcc
	s_cbranch_execz .LBB29_263
; %bb.262:                              ;   in Loop: Header=BB29_14 Depth=1
	v_accvgpr_read_b32 v1, a93
	v_add_u32_e32 v1, 0, v1
	ds_read2_b32 v[2:3], v1 offset0:128 offset1:129
	ds_read_b32 v6, v1 offset:8960
	v_accvgpr_read_b32 v1, a92
	ds_read2st64_b32 v[8:9], v1 offset1:1
	ds_read_b32 v1, v1 offset:8448
	v_readlane_b32 s40, v255, 2
	v_mad_u64_u32 v[4:5], s[52:53], s40, v4, v[100:101]
	s_waitcnt lgkmcnt(1)
	v_cvt_f32_f16_sdwa v11, v8 dst_sel:DWORD dst_unused:UNUSED_PAD src0_sel:WORD_1
	v_cvt_f32_f16_e32 v10, v8
	s_waitcnt lgkmcnt(0)
	v_cvt_f32_f16_sdwa v13, v1 dst_sel:DWORD dst_unused:UNUSED_PAD src0_sel:WORD_1
	v_cvt_f32_f16_e32 v12, v1
	v_ashrrev_i32_e32 v5, 31, v4
	v_mov_b32_e32 v7, s74
	v_pk_fma_f32 v[10:11], v[2:3], v[10:11], 0 op_sel_hi:[0,1,0]
	v_lshlrev_b64 v[4:5], 3, v[4:5]
	v_pk_fma_f32 v[10:11], v[6:7], v[12:13], v[10:11] op_sel_hi:[0,1,1]
	v_add_co_u32_e32 v4, vcc, s75, v4
	v_div_scale_f32 v1, s[52:53], v3, v3, v11
	v_addc_co_u32_e32 v5, vcc, v7, v5, vcc
	v_rcp_f32_e32 v7, v1
	v_fma_f32 v8, -v1, v7, 1.0
	v_fmac_f32_e32 v7, v8, v7
	v_div_scale_f32 v8, vcc, v11, v3, v11
	v_mul_f32_e32 v12, v8, v7
	v_fma_f32 v13, -v1, v12, v8
	v_fmac_f32_e32 v12, v13, v7
	v_fma_f32 v1, -v1, v12, v8
	v_div_fmas_f32 v1, v1, v7, v12
	v_div_fixup_f32 v11, v1, v3, v11
	v_div_scale_f32 v1, s[52:53], v3, v3, v10
	v_rcp_f32_e32 v7, v1
	v_fma_f32 v8, -v1, v7, 1.0
	v_fmac_f32_e32 v7, v8, v7
	v_div_scale_f32 v8, vcc, v10, v3, v10
	v_mul_f32_e32 v12, v8, v7
	v_fma_f32 v13, -v1, v12, v8
	v_fmac_f32_e32 v12, v13, v7
	v_fma_f32 v1, -v1, v12, v8
	v_div_fmas_f32 v1, v1, v7, v12
	v_div_fixup_f32 v10, v1, v3, v10
	v_accvgpr_read_b32 v1, a94
	ds_read_b32 v1, v1 offset:8448
	global_store_dwordx2 v[4:5], v[10:11], off
	v_cvt_f32_f16_sdwa v11, v9 dst_sel:DWORD dst_unused:UNUSED_PAD src0_sel:WORD_1
	v_cvt_f32_f16_e32 v10, v9
	v_pk_fma_f32 v[8:9], v[2:3], v[10:11], 0 op_sel_hi:[0,1,0]
	s_waitcnt lgkmcnt(0)
	v_cvt_f32_f16_sdwa v11, v1 dst_sel:DWORD dst_unused:UNUSED_PAD src0_sel:WORD_1
	v_cvt_f32_f16_e32 v10, v1
	v_pk_fma_f32 v[6:7], v[6:7], v[10:11], v[8:9] op_sel_hi:[0,1,1]
	v_div_scale_f32 v1, s[52:53], v3, v3, v7
	v_rcp_f32_e32 v2, v1
	v_fma_f32 v8, -v1, v2, 1.0
	v_fmac_f32_e32 v2, v8, v2
	v_div_scale_f32 v8, vcc, v7, v3, v7
	v_mul_f32_e32 v9, v8, v2
	v_fma_f32 v10, -v1, v9, v8
	v_fmac_f32_e32 v9, v10, v2
	v_fma_f32 v1, -v1, v9, v8
	v_div_fmas_f32 v1, v1, v2, v9
	v_div_fixup_f32 v7, v1, v3, v7
	v_div_scale_f32 v1, s[52:53], v3, v3, v6
	v_rcp_f32_e32 v2, v1
	v_fma_f32 v8, -v1, v2, 1.0
	v_fmac_f32_e32 v2, v8, v2
	v_div_scale_f32 v8, vcc, v6, v3, v6
	v_mul_f32_e32 v9, v8, v2
	v_fma_f32 v10, -v1, v9, v8
	v_fmac_f32_e32 v9, v10, v2
	v_fma_f32 v1, -v1, v9, v8
	v_div_fmas_f32 v1, v1, v2, v9
	v_div_fixup_f32 v6, v1, v3, v6
	v_mov_b32_e32 v1, 0
	global_store_dwordx2 v[4:5], v[6:7], off offset:512
.LBB29_263:                             ;   in Loop: Header=BB29_14 Depth=1
	s_or_b64 exec, exec, s[50:51]
	s_movk_i32 s40, 0x47
	v_cmp_gt_i32_e32 vcc, s40, v1
	s_mov_b64 s[50:51], -1
	s_and_saveexec_b64 s[52:53], vcc
; %bb.264:                              ;   in Loop: Header=BB29_14 Depth=1
	v_cmp_eq_u32_e32 vcc, 0, v1
	s_orn2_b64 s[50:51], vcc, exec
; %bb.265:                              ;   in Loop: Header=BB29_14 Depth=1
	s_or_b64 exec, exec, s[52:53]
	s_and_b64 exec, exec, s[50:51]
	s_cbranch_execz .LBB29_318
; %bb.266:                              ;   in Loop: Header=BB29_14 Depth=1
	v_accvgpr_read_b32 v1, a58
	v_add_u32_e32 v4, s94, v1
	v_cmp_gt_i32_e32 vcc, s76, v4
	v_mov_b32_e32 v1, 0x47
	s_and_saveexec_b64 s[50:51], vcc
	s_cbranch_execz .LBB29_268
; %bb.267:                              ;   in Loop: Header=BB29_14 Depth=1
	v_accvgpr_read_b32 v1, a96
	v_add_u32_e32 v1, 0, v1
	ds_read2_b32 v[2:3], v1 offset0:128 offset1:129
	ds_read_b32 v6, v1 offset:8960
	v_accvgpr_read_b32 v1, a95
	ds_read2st64_b32 v[8:9], v1 offset1:1
	ds_read_b32 v1, v1 offset:8448
	v_readlane_b32 s40, v255, 2
	v_mad_u64_u32 v[4:5], s[52:53], s40, v4, v[100:101]
	s_waitcnt lgkmcnt(1)
	v_cvt_f32_f16_sdwa v11, v8 dst_sel:DWORD dst_unused:UNUSED_PAD src0_sel:WORD_1
	v_cvt_f32_f16_e32 v10, v8
	s_waitcnt lgkmcnt(0)
	v_cvt_f32_f16_sdwa v13, v1 dst_sel:DWORD dst_unused:UNUSED_PAD src0_sel:WORD_1
	v_cvt_f32_f16_e32 v12, v1
	v_ashrrev_i32_e32 v5, 31, v4
	v_mov_b32_e32 v7, s74
	v_pk_fma_f32 v[10:11], v[2:3], v[10:11], 0 op_sel_hi:[0,1,0]
	v_lshlrev_b64 v[4:5], 3, v[4:5]
	v_pk_fma_f32 v[10:11], v[6:7], v[12:13], v[10:11] op_sel_hi:[0,1,1]
	v_add_co_u32_e32 v4, vcc, s75, v4
	v_div_scale_f32 v1, s[52:53], v3, v3, v11
	v_addc_co_u32_e32 v5, vcc, v7, v5, vcc
	v_rcp_f32_e32 v7, v1
	v_fma_f32 v8, -v1, v7, 1.0
	v_fmac_f32_e32 v7, v8, v7
	v_div_scale_f32 v8, vcc, v11, v3, v11
	v_mul_f32_e32 v12, v8, v7
	v_fma_f32 v13, -v1, v12, v8
	v_fmac_f32_e32 v12, v13, v7
	v_fma_f32 v1, -v1, v12, v8
	v_div_fmas_f32 v1, v1, v7, v12
	v_div_fixup_f32 v11, v1, v3, v11
	v_div_scale_f32 v1, s[52:53], v3, v3, v10
	v_rcp_f32_e32 v7, v1
	v_fma_f32 v8, -v1, v7, 1.0
	v_fmac_f32_e32 v7, v8, v7
	v_div_scale_f32 v8, vcc, v10, v3, v10
	v_mul_f32_e32 v12, v8, v7
	v_fma_f32 v13, -v1, v12, v8
	v_fmac_f32_e32 v12, v13, v7
	v_fma_f32 v1, -v1, v12, v8
	v_div_fmas_f32 v1, v1, v7, v12
	v_div_fixup_f32 v10, v1, v3, v10
	v_accvgpr_read_b32 v1, a97
	ds_read_b32 v1, v1 offset:8448
	global_store_dwordx2 v[4:5], v[10:11], off
	v_cvt_f32_f16_sdwa v11, v9 dst_sel:DWORD dst_unused:UNUSED_PAD src0_sel:WORD_1
	v_cvt_f32_f16_e32 v10, v9
	v_pk_fma_f32 v[8:9], v[2:3], v[10:11], 0 op_sel_hi:[0,1,0]
	s_waitcnt lgkmcnt(0)
	v_cvt_f32_f16_sdwa v11, v1 dst_sel:DWORD dst_unused:UNUSED_PAD src0_sel:WORD_1
	v_cvt_f32_f16_e32 v10, v1
	v_pk_fma_f32 v[6:7], v[6:7], v[10:11], v[8:9] op_sel_hi:[0,1,1]
	v_div_scale_f32 v1, s[52:53], v3, v3, v7
	v_rcp_f32_e32 v2, v1
	v_fma_f32 v8, -v1, v2, 1.0
	v_fmac_f32_e32 v2, v8, v2
	v_div_scale_f32 v8, vcc, v7, v3, v7
	v_mul_f32_e32 v9, v8, v2
	v_fma_f32 v10, -v1, v9, v8
	v_fmac_f32_e32 v9, v10, v2
	v_fma_f32 v1, -v1, v9, v8
	v_div_fmas_f32 v1, v1, v2, v9
	v_div_fixup_f32 v7, v1, v3, v7
	v_div_scale_f32 v1, s[52:53], v3, v3, v6
	v_rcp_f32_e32 v2, v1
	v_fma_f32 v8, -v1, v2, 1.0
	v_fmac_f32_e32 v2, v8, v2
	v_div_scale_f32 v8, vcc, v6, v3, v6
	v_mul_f32_e32 v9, v8, v2
	v_fma_f32 v10, -v1, v9, v8
	v_fmac_f32_e32 v9, v10, v2
	v_fma_f32 v1, -v1, v9, v8
	v_div_fmas_f32 v1, v1, v2, v9
	v_div_fixup_f32 v6, v1, v3, v6
	v_mov_b32_e32 v1, 0
	global_store_dwordx2 v[4:5], v[6:7], off offset:512
.LBB29_268:                             ;   in Loop: Header=BB29_14 Depth=1
	s_or_b64 exec, exec, s[50:51]
	s_movk_i32 s40, 0x47
	v_cmp_gt_i32_e32 vcc, s40, v1
	s_mov_b64 s[50:51], -1
	s_and_saveexec_b64 s[52:53], vcc
; %bb.269:                              ;   in Loop: Header=BB29_14 Depth=1
	v_cmp_eq_u32_e32 vcc, 0, v1
	s_orn2_b64 s[50:51], vcc, exec
; %bb.270:                              ;   in Loop: Header=BB29_14 Depth=1
	s_or_b64 exec, exec, s[52:53]
	s_and_b64 exec, exec, s[50:51]
	s_cbranch_execz .LBB29_318
; %bb.271:                              ;   in Loop: Header=BB29_14 Depth=1
	v_accvgpr_read_b32 v1, a59
	v_add_u32_e32 v4, s94, v1
	v_cmp_gt_i32_e32 vcc, s76, v4
	v_mov_b32_e32 v1, 0x47
	s_and_saveexec_b64 s[50:51], vcc
	s_cbranch_execz .LBB29_273
; %bb.272:                              ;   in Loop: Header=BB29_14 Depth=1
	v_accvgpr_read_b32 v1, a99
	v_add_u32_e32 v1, 0, v1
	ds_read2_b32 v[2:3], v1 offset0:128 offset1:129
	ds_read_b32 v6, v1 offset:8960
	v_accvgpr_read_b32 v1, a98
	ds_read2st64_b32 v[8:9], v1 offset1:1
	ds_read_b32 v1, v1 offset:8448
	v_readlane_b32 s40, v255, 2
	v_mad_u64_u32 v[4:5], s[52:53], s40, v4, v[100:101]
	s_waitcnt lgkmcnt(1)
	v_cvt_f32_f16_sdwa v11, v8 dst_sel:DWORD dst_unused:UNUSED_PAD src0_sel:WORD_1
	v_cvt_f32_f16_e32 v10, v8
	s_waitcnt lgkmcnt(0)
	v_cvt_f32_f16_sdwa v13, v1 dst_sel:DWORD dst_unused:UNUSED_PAD src0_sel:WORD_1
	v_cvt_f32_f16_e32 v12, v1
	v_ashrrev_i32_e32 v5, 31, v4
	v_mov_b32_e32 v7, s74
	v_pk_fma_f32 v[10:11], v[2:3], v[10:11], 0 op_sel_hi:[0,1,0]
	v_lshlrev_b64 v[4:5], 3, v[4:5]
	v_pk_fma_f32 v[10:11], v[6:7], v[12:13], v[10:11] op_sel_hi:[0,1,1]
	v_add_co_u32_e32 v4, vcc, s75, v4
	v_div_scale_f32 v1, s[52:53], v3, v3, v11
	v_addc_co_u32_e32 v5, vcc, v7, v5, vcc
	v_rcp_f32_e32 v7, v1
	v_fma_f32 v8, -v1, v7, 1.0
	v_fmac_f32_e32 v7, v8, v7
	v_div_scale_f32 v8, vcc, v11, v3, v11
	v_mul_f32_e32 v12, v8, v7
	v_fma_f32 v13, -v1, v12, v8
	v_fmac_f32_e32 v12, v13, v7
	v_fma_f32 v1, -v1, v12, v8
	v_div_fmas_f32 v1, v1, v7, v12
	v_div_fixup_f32 v11, v1, v3, v11
	v_div_scale_f32 v1, s[52:53], v3, v3, v10
	v_rcp_f32_e32 v7, v1
	v_fma_f32 v8, -v1, v7, 1.0
	v_fmac_f32_e32 v7, v8, v7
	v_div_scale_f32 v8, vcc, v10, v3, v10
	v_mul_f32_e32 v12, v8, v7
	v_fma_f32 v13, -v1, v12, v8
	v_fmac_f32_e32 v12, v13, v7
	v_fma_f32 v1, -v1, v12, v8
	v_div_fmas_f32 v1, v1, v7, v12
	v_div_fixup_f32 v10, v1, v3, v10
	v_accvgpr_read_b32 v1, a100
	ds_read_b32 v1, v1 offset:8448
	global_store_dwordx2 v[4:5], v[10:11], off
	v_cvt_f32_f16_sdwa v11, v9 dst_sel:DWORD dst_unused:UNUSED_PAD src0_sel:WORD_1
	v_cvt_f32_f16_e32 v10, v9
	v_pk_fma_f32 v[8:9], v[2:3], v[10:11], 0 op_sel_hi:[0,1,0]
	s_waitcnt lgkmcnt(0)
	v_cvt_f32_f16_sdwa v11, v1 dst_sel:DWORD dst_unused:UNUSED_PAD src0_sel:WORD_1
	v_cvt_f32_f16_e32 v10, v1
	v_pk_fma_f32 v[6:7], v[6:7], v[10:11], v[8:9] op_sel_hi:[0,1,1]
	v_div_scale_f32 v1, s[52:53], v3, v3, v7
	v_rcp_f32_e32 v2, v1
	v_fma_f32 v8, -v1, v2, 1.0
	v_fmac_f32_e32 v2, v8, v2
	v_div_scale_f32 v8, vcc, v7, v3, v7
	v_mul_f32_e32 v9, v8, v2
	v_fma_f32 v10, -v1, v9, v8
	v_fmac_f32_e32 v9, v10, v2
	v_fma_f32 v1, -v1, v9, v8
	v_div_fmas_f32 v1, v1, v2, v9
	v_div_fixup_f32 v7, v1, v3, v7
	v_div_scale_f32 v1, s[52:53], v3, v3, v6
	v_rcp_f32_e32 v2, v1
	v_fma_f32 v8, -v1, v2, 1.0
	v_fmac_f32_e32 v2, v8, v2
	v_div_scale_f32 v8, vcc, v6, v3, v6
	v_mul_f32_e32 v9, v8, v2
	v_fma_f32 v10, -v1, v9, v8
	v_fmac_f32_e32 v9, v10, v2
	v_fma_f32 v1, -v1, v9, v8
	v_div_fmas_f32 v1, v1, v2, v9
	v_div_fixup_f32 v6, v1, v3, v6
	v_mov_b32_e32 v1, 0
	global_store_dwordx2 v[4:5], v[6:7], off offset:512
.LBB29_273:                             ;   in Loop: Header=BB29_14 Depth=1
	s_or_b64 exec, exec, s[50:51]
	s_movk_i32 s40, 0x47
	v_cmp_gt_i32_e32 vcc, s40, v1
	s_mov_b64 s[50:51], -1
	s_and_saveexec_b64 s[52:53], vcc
; %bb.274:                              ;   in Loop: Header=BB29_14 Depth=1
	v_cmp_eq_u32_e32 vcc, 0, v1
	s_orn2_b64 s[50:51], vcc, exec
; %bb.275:                              ;   in Loop: Header=BB29_14 Depth=1
	s_or_b64 exec, exec, s[52:53]
	s_and_b64 exec, exec, s[50:51]
	s_cbranch_execz .LBB29_318
; %bb.276:                              ;   in Loop: Header=BB29_14 Depth=1
	v_accvgpr_read_b32 v1, a60
	v_add_u32_e32 v4, s94, v1
	v_cmp_gt_i32_e32 vcc, s76, v4
	v_mov_b32_e32 v1, 0x47
	s_and_saveexec_b64 s[50:51], vcc
	s_cbranch_execz .LBB29_278
; %bb.277:                              ;   in Loop: Header=BB29_14 Depth=1
	v_accvgpr_read_b32 v1, a102
	v_add_u32_e32 v1, 0, v1
	ds_read2_b32 v[2:3], v1 offset0:128 offset1:129
	ds_read_b32 v6, v1 offset:8960
	v_accvgpr_read_b32 v1, a101
	ds_read2st64_b32 v[8:9], v1 offset1:1
	ds_read_b32 v1, v1 offset:8448
	v_readlane_b32 s40, v255, 2
	v_mad_u64_u32 v[4:5], s[52:53], s40, v4, v[100:101]
	s_waitcnt lgkmcnt(1)
	v_cvt_f32_f16_sdwa v11, v8 dst_sel:DWORD dst_unused:UNUSED_PAD src0_sel:WORD_1
	v_cvt_f32_f16_e32 v10, v8
	s_waitcnt lgkmcnt(0)
	v_cvt_f32_f16_sdwa v13, v1 dst_sel:DWORD dst_unused:UNUSED_PAD src0_sel:WORD_1
	v_cvt_f32_f16_e32 v12, v1
	v_ashrrev_i32_e32 v5, 31, v4
	v_mov_b32_e32 v7, s74
	v_pk_fma_f32 v[10:11], v[2:3], v[10:11], 0 op_sel_hi:[0,1,0]
	v_lshlrev_b64 v[4:5], 3, v[4:5]
	v_pk_fma_f32 v[10:11], v[6:7], v[12:13], v[10:11] op_sel_hi:[0,1,1]
	v_add_co_u32_e32 v4, vcc, s75, v4
	v_div_scale_f32 v1, s[52:53], v3, v3, v11
	v_addc_co_u32_e32 v5, vcc, v7, v5, vcc
	v_rcp_f32_e32 v7, v1
	v_fma_f32 v8, -v1, v7, 1.0
	v_fmac_f32_e32 v7, v8, v7
	v_div_scale_f32 v8, vcc, v11, v3, v11
	v_mul_f32_e32 v12, v8, v7
	v_fma_f32 v13, -v1, v12, v8
	v_fmac_f32_e32 v12, v13, v7
	v_fma_f32 v1, -v1, v12, v8
	v_div_fmas_f32 v1, v1, v7, v12
	v_div_fixup_f32 v11, v1, v3, v11
	v_div_scale_f32 v1, s[52:53], v3, v3, v10
	v_rcp_f32_e32 v7, v1
	v_fma_f32 v8, -v1, v7, 1.0
	v_fmac_f32_e32 v7, v8, v7
	v_div_scale_f32 v8, vcc, v10, v3, v10
	v_mul_f32_e32 v12, v8, v7
	v_fma_f32 v13, -v1, v12, v8
	v_fmac_f32_e32 v12, v13, v7
	v_fma_f32 v1, -v1, v12, v8
	v_div_fmas_f32 v1, v1, v7, v12
	v_div_fixup_f32 v10, v1, v3, v10
	v_accvgpr_read_b32 v1, a103
	ds_read_b32 v1, v1 offset:8448
	global_store_dwordx2 v[4:5], v[10:11], off
	v_cvt_f32_f16_sdwa v11, v9 dst_sel:DWORD dst_unused:UNUSED_PAD src0_sel:WORD_1
	v_cvt_f32_f16_e32 v10, v9
	v_pk_fma_f32 v[8:9], v[2:3], v[10:11], 0 op_sel_hi:[0,1,0]
	s_waitcnt lgkmcnt(0)
	v_cvt_f32_f16_sdwa v11, v1 dst_sel:DWORD dst_unused:UNUSED_PAD src0_sel:WORD_1
	v_cvt_f32_f16_e32 v10, v1
	v_pk_fma_f32 v[6:7], v[6:7], v[10:11], v[8:9] op_sel_hi:[0,1,1]
	v_div_scale_f32 v1, s[52:53], v3, v3, v7
	v_rcp_f32_e32 v2, v1
	v_fma_f32 v8, -v1, v2, 1.0
	v_fmac_f32_e32 v2, v8, v2
	v_div_scale_f32 v8, vcc, v7, v3, v7
	v_mul_f32_e32 v9, v8, v2
	v_fma_f32 v10, -v1, v9, v8
	v_fmac_f32_e32 v9, v10, v2
	v_fma_f32 v1, -v1, v9, v8
	v_div_fmas_f32 v1, v1, v2, v9
	v_div_fixup_f32 v7, v1, v3, v7
	v_div_scale_f32 v1, s[52:53], v3, v3, v6
	v_rcp_f32_e32 v2, v1
	v_fma_f32 v8, -v1, v2, 1.0
	v_fmac_f32_e32 v2, v8, v2
	v_div_scale_f32 v8, vcc, v6, v3, v6
	v_mul_f32_e32 v9, v8, v2
	v_fma_f32 v10, -v1, v9, v8
	v_fmac_f32_e32 v9, v10, v2
	v_fma_f32 v1, -v1, v9, v8
	v_div_fmas_f32 v1, v1, v2, v9
	v_div_fixup_f32 v6, v1, v3, v6
	v_mov_b32_e32 v1, 0
	global_store_dwordx2 v[4:5], v[6:7], off offset:512
.LBB29_278:                             ;   in Loop: Header=BB29_14 Depth=1
	s_or_b64 exec, exec, s[50:51]
	s_movk_i32 s40, 0x47
	v_cmp_gt_i32_e32 vcc, s40, v1
	s_mov_b64 s[50:51], -1
	s_and_saveexec_b64 s[52:53], vcc
; %bb.279:                              ;   in Loop: Header=BB29_14 Depth=1
	v_cmp_eq_u32_e32 vcc, 0, v1
	s_orn2_b64 s[50:51], vcc, exec
; %bb.280:                              ;   in Loop: Header=BB29_14 Depth=1
	s_or_b64 exec, exec, s[52:53]
	s_and_b64 exec, exec, s[50:51]
	s_cbranch_execz .LBB29_318
; %bb.281:                              ;   in Loop: Header=BB29_14 Depth=1
	v_accvgpr_read_b32 v1, a79
	v_add_u32_e32 v4, s94, v1
	v_cmp_gt_i32_e32 vcc, s76, v4
	v_mov_b32_e32 v1, 0x47
	s_and_saveexec_b64 s[50:51], vcc
	s_cbranch_execz .LBB29_283
; %bb.282:                              ;   in Loop: Header=BB29_14 Depth=1
	v_accvgpr_read_b32 v1, a105
	v_add_u32_e32 v1, 0, v1
	ds_read2_b32 v[2:3], v1 offset0:128 offset1:129
	ds_read_b32 v6, v1 offset:8960
	v_accvgpr_read_b32 v1, a104
	ds_read2st64_b32 v[8:9], v1 offset1:1
	ds_read_b32 v1, v1 offset:8448
	v_readlane_b32 s40, v255, 2
	v_mad_u64_u32 v[4:5], s[52:53], s40, v4, v[100:101]
	s_waitcnt lgkmcnt(1)
	v_cvt_f32_f16_sdwa v11, v8 dst_sel:DWORD dst_unused:UNUSED_PAD src0_sel:WORD_1
	v_cvt_f32_f16_e32 v10, v8
	s_waitcnt lgkmcnt(0)
	v_cvt_f32_f16_sdwa v13, v1 dst_sel:DWORD dst_unused:UNUSED_PAD src0_sel:WORD_1
	v_cvt_f32_f16_e32 v12, v1
	v_ashrrev_i32_e32 v5, 31, v4
	v_mov_b32_e32 v7, s74
	v_pk_fma_f32 v[10:11], v[2:3], v[10:11], 0 op_sel_hi:[0,1,0]
	v_lshlrev_b64 v[4:5], 3, v[4:5]
	v_pk_fma_f32 v[10:11], v[6:7], v[12:13], v[10:11] op_sel_hi:[0,1,1]
	v_add_co_u32_e32 v4, vcc, s75, v4
	v_div_scale_f32 v1, s[52:53], v3, v3, v11
	v_addc_co_u32_e32 v5, vcc, v7, v5, vcc
	v_rcp_f32_e32 v7, v1
	v_fma_f32 v8, -v1, v7, 1.0
	v_fmac_f32_e32 v7, v8, v7
	v_div_scale_f32 v8, vcc, v11, v3, v11
	v_mul_f32_e32 v12, v8, v7
	v_fma_f32 v13, -v1, v12, v8
	v_fmac_f32_e32 v12, v13, v7
	v_fma_f32 v1, -v1, v12, v8
	v_div_fmas_f32 v1, v1, v7, v12
	v_div_fixup_f32 v11, v1, v3, v11
	v_div_scale_f32 v1, s[52:53], v3, v3, v10
	v_rcp_f32_e32 v7, v1
	v_fma_f32 v8, -v1, v7, 1.0
	v_fmac_f32_e32 v7, v8, v7
	v_div_scale_f32 v8, vcc, v10, v3, v10
	v_mul_f32_e32 v12, v8, v7
	v_fma_f32 v13, -v1, v12, v8
	v_fmac_f32_e32 v12, v13, v7
	v_fma_f32 v1, -v1, v12, v8
	v_div_fmas_f32 v1, v1, v7, v12
	v_div_fixup_f32 v10, v1, v3, v10
	v_accvgpr_read_b32 v1, a106
	ds_read_b32 v1, v1 offset:8448
	global_store_dwordx2 v[4:5], v[10:11], off
	v_cvt_f32_f16_sdwa v11, v9 dst_sel:DWORD dst_unused:UNUSED_PAD src0_sel:WORD_1
	v_cvt_f32_f16_e32 v10, v9
	v_pk_fma_f32 v[8:9], v[2:3], v[10:11], 0 op_sel_hi:[0,1,0]
	s_waitcnt lgkmcnt(0)
	v_cvt_f32_f16_sdwa v11, v1 dst_sel:DWORD dst_unused:UNUSED_PAD src0_sel:WORD_1
	v_cvt_f32_f16_e32 v10, v1
	v_pk_fma_f32 v[6:7], v[6:7], v[10:11], v[8:9] op_sel_hi:[0,1,1]
	v_div_scale_f32 v1, s[52:53], v3, v3, v7
	v_rcp_f32_e32 v2, v1
	v_fma_f32 v8, -v1, v2, 1.0
	v_fmac_f32_e32 v2, v8, v2
	v_div_scale_f32 v8, vcc, v7, v3, v7
	v_mul_f32_e32 v9, v8, v2
	v_fma_f32 v10, -v1, v9, v8
	v_fmac_f32_e32 v9, v10, v2
	v_fma_f32 v1, -v1, v9, v8
	v_div_fmas_f32 v1, v1, v2, v9
	v_div_fixup_f32 v7, v1, v3, v7
	v_div_scale_f32 v1, s[52:53], v3, v3, v6
	v_rcp_f32_e32 v2, v1
	v_fma_f32 v8, -v1, v2, 1.0
	v_fmac_f32_e32 v2, v8, v2
	v_div_scale_f32 v8, vcc, v6, v3, v6
	v_mul_f32_e32 v9, v8, v2
	v_fma_f32 v10, -v1, v9, v8
	v_fmac_f32_e32 v9, v10, v2
	v_fma_f32 v1, -v1, v9, v8
	v_div_fmas_f32 v1, v1, v2, v9
	v_div_fixup_f32 v6, v1, v3, v6
	v_mov_b32_e32 v1, 0
	global_store_dwordx2 v[4:5], v[6:7], off offset:512
.LBB29_283:                             ;   in Loop: Header=BB29_14 Depth=1
	s_or_b64 exec, exec, s[50:51]
	s_movk_i32 s40, 0x47
	v_cmp_gt_i32_e32 vcc, s40, v1
	s_mov_b64 s[50:51], -1
	s_and_saveexec_b64 s[52:53], vcc
; %bb.284:                              ;   in Loop: Header=BB29_14 Depth=1
	v_cmp_eq_u32_e32 vcc, 0, v1
	s_orn2_b64 s[50:51], vcc, exec
; %bb.285:                              ;   in Loop: Header=BB29_14 Depth=1
	s_or_b64 exec, exec, s[52:53]
	s_and_b64 exec, exec, s[50:51]
	s_cbranch_execz .LBB29_318
; %bb.286:                              ;   in Loop: Header=BB29_14 Depth=1
	v_accvgpr_read_b32 v1, a61
	v_add_u32_e32 v4, s94, v1
	v_cmp_gt_i32_e32 vcc, s76, v4
	v_mov_b32_e32 v1, 0x47
	s_and_saveexec_b64 s[50:51], vcc
	s_cbranch_execz .LBB29_288
; %bb.287:                              ;   in Loop: Header=BB29_14 Depth=1
	v_accvgpr_read_b32 v1, a108
	v_add_u32_e32 v1, 0, v1
	ds_read2_b32 v[2:3], v1 offset0:128 offset1:129
	ds_read_b32 v6, v1 offset:8960
	v_accvgpr_read_b32 v1, a107
	ds_read2st64_b32 v[8:9], v1 offset1:1
	ds_read_b32 v1, v1 offset:8448
	v_readlane_b32 s40, v255, 2
	v_mad_u64_u32 v[4:5], s[52:53], s40, v4, v[100:101]
	s_waitcnt lgkmcnt(1)
	v_cvt_f32_f16_sdwa v11, v8 dst_sel:DWORD dst_unused:UNUSED_PAD src0_sel:WORD_1
	v_cvt_f32_f16_e32 v10, v8
	s_waitcnt lgkmcnt(0)
	v_cvt_f32_f16_sdwa v13, v1 dst_sel:DWORD dst_unused:UNUSED_PAD src0_sel:WORD_1
	v_cvt_f32_f16_e32 v12, v1
	v_ashrrev_i32_e32 v5, 31, v4
	v_mov_b32_e32 v7, s74
	v_pk_fma_f32 v[10:11], v[2:3], v[10:11], 0 op_sel_hi:[0,1,0]
	v_lshlrev_b64 v[4:5], 3, v[4:5]
	v_pk_fma_f32 v[10:11], v[6:7], v[12:13], v[10:11] op_sel_hi:[0,1,1]
	v_add_co_u32_e32 v4, vcc, s75, v4
	v_div_scale_f32 v1, s[52:53], v3, v3, v11
	v_addc_co_u32_e32 v5, vcc, v7, v5, vcc
	v_rcp_f32_e32 v7, v1
	v_fma_f32 v8, -v1, v7, 1.0
	v_fmac_f32_e32 v7, v8, v7
	v_div_scale_f32 v8, vcc, v11, v3, v11
	v_mul_f32_e32 v12, v8, v7
	v_fma_f32 v13, -v1, v12, v8
	v_fmac_f32_e32 v12, v13, v7
	v_fma_f32 v1, -v1, v12, v8
	v_div_fmas_f32 v1, v1, v7, v12
	v_div_fixup_f32 v11, v1, v3, v11
	v_div_scale_f32 v1, s[52:53], v3, v3, v10
	v_rcp_f32_e32 v7, v1
	v_fma_f32 v8, -v1, v7, 1.0
	v_fmac_f32_e32 v7, v8, v7
	v_div_scale_f32 v8, vcc, v10, v3, v10
	v_mul_f32_e32 v12, v8, v7
	v_fma_f32 v13, -v1, v12, v8
	v_fmac_f32_e32 v12, v13, v7
	v_fma_f32 v1, -v1, v12, v8
	v_div_fmas_f32 v1, v1, v7, v12
	v_div_fixup_f32 v10, v1, v3, v10
	v_accvgpr_read_b32 v1, a109
	ds_read_b32 v1, v1 offset:8448
	global_store_dwordx2 v[4:5], v[10:11], off
	v_cvt_f32_f16_sdwa v11, v9 dst_sel:DWORD dst_unused:UNUSED_PAD src0_sel:WORD_1
	v_cvt_f32_f16_e32 v10, v9
	v_pk_fma_f32 v[8:9], v[2:3], v[10:11], 0 op_sel_hi:[0,1,0]
	s_waitcnt lgkmcnt(0)
	v_cvt_f32_f16_sdwa v11, v1 dst_sel:DWORD dst_unused:UNUSED_PAD src0_sel:WORD_1
	v_cvt_f32_f16_e32 v10, v1
	v_pk_fma_f32 v[6:7], v[6:7], v[10:11], v[8:9] op_sel_hi:[0,1,1]
	v_div_scale_f32 v1, s[52:53], v3, v3, v7
	v_rcp_f32_e32 v2, v1
	v_fma_f32 v8, -v1, v2, 1.0
	v_fmac_f32_e32 v2, v8, v2
	v_div_scale_f32 v8, vcc, v7, v3, v7
	v_mul_f32_e32 v9, v8, v2
	v_fma_f32 v10, -v1, v9, v8
	v_fmac_f32_e32 v9, v10, v2
	v_fma_f32 v1, -v1, v9, v8
	v_div_fmas_f32 v1, v1, v2, v9
	v_div_fixup_f32 v7, v1, v3, v7
	v_div_scale_f32 v1, s[52:53], v3, v3, v6
	v_rcp_f32_e32 v2, v1
	v_fma_f32 v8, -v1, v2, 1.0
	v_fmac_f32_e32 v2, v8, v2
	v_div_scale_f32 v8, vcc, v6, v3, v6
	v_mul_f32_e32 v9, v8, v2
	v_fma_f32 v10, -v1, v9, v8
	v_fmac_f32_e32 v9, v10, v2
	v_fma_f32 v1, -v1, v9, v8
	v_div_fmas_f32 v1, v1, v2, v9
	v_div_fixup_f32 v6, v1, v3, v6
	v_mov_b32_e32 v1, 0
	global_store_dwordx2 v[4:5], v[6:7], off offset:512
.LBB29_288:                             ;   in Loop: Header=BB29_14 Depth=1
	s_or_b64 exec, exec, s[50:51]
	s_movk_i32 s40, 0x47
	v_cmp_gt_i32_e32 vcc, s40, v1
	s_mov_b64 s[50:51], -1
	s_and_saveexec_b64 s[52:53], vcc
; %bb.289:                              ;   in Loop: Header=BB29_14 Depth=1
	v_cmp_eq_u32_e32 vcc, 0, v1
	s_orn2_b64 s[50:51], vcc, exec
; %bb.290:                              ;   in Loop: Header=BB29_14 Depth=1
	s_or_b64 exec, exec, s[52:53]
	s_and_b64 exec, exec, s[50:51]
	s_cbranch_execz .LBB29_318
; %bb.291:                              ;   in Loop: Header=BB29_14 Depth=1
	v_accvgpr_read_b32 v1, a62
	v_add_u32_e32 v4, s94, v1
	v_cmp_gt_i32_e32 vcc, s76, v4
	v_mov_b32_e32 v1, 0x47
	s_and_saveexec_b64 s[50:51], vcc
	s_cbranch_execz .LBB29_293
; %bb.292:                              ;   in Loop: Header=BB29_14 Depth=1
	v_accvgpr_read_b32 v1, a111
	v_add_u32_e32 v1, 0, v1
	ds_read2_b32 v[2:3], v1 offset0:128 offset1:129
	ds_read_b32 v6, v1 offset:8960
	v_accvgpr_read_b32 v1, a110
	ds_read2st64_b32 v[8:9], v1 offset1:1
	ds_read_b32 v1, v1 offset:8448
	v_readlane_b32 s40, v255, 2
	v_mad_u64_u32 v[4:5], s[52:53], s40, v4, v[100:101]
	s_waitcnt lgkmcnt(1)
	v_cvt_f32_f16_sdwa v11, v8 dst_sel:DWORD dst_unused:UNUSED_PAD src0_sel:WORD_1
	v_cvt_f32_f16_e32 v10, v8
	s_waitcnt lgkmcnt(0)
	v_cvt_f32_f16_sdwa v13, v1 dst_sel:DWORD dst_unused:UNUSED_PAD src0_sel:WORD_1
	v_cvt_f32_f16_e32 v12, v1
	v_ashrrev_i32_e32 v5, 31, v4
	v_mov_b32_e32 v7, s74
	v_pk_fma_f32 v[10:11], v[2:3], v[10:11], 0 op_sel_hi:[0,1,0]
	v_lshlrev_b64 v[4:5], 3, v[4:5]
	v_pk_fma_f32 v[10:11], v[6:7], v[12:13], v[10:11] op_sel_hi:[0,1,1]
	v_add_co_u32_e32 v4, vcc, s75, v4
	v_div_scale_f32 v1, s[52:53], v3, v3, v11
	v_addc_co_u32_e32 v5, vcc, v7, v5, vcc
	v_rcp_f32_e32 v7, v1
	v_fma_f32 v8, -v1, v7, 1.0
	v_fmac_f32_e32 v7, v8, v7
	v_div_scale_f32 v8, vcc, v11, v3, v11
	v_mul_f32_e32 v12, v8, v7
	v_fma_f32 v13, -v1, v12, v8
	v_fmac_f32_e32 v12, v13, v7
	v_fma_f32 v1, -v1, v12, v8
	v_div_fmas_f32 v1, v1, v7, v12
	v_div_fixup_f32 v11, v1, v3, v11
	v_div_scale_f32 v1, s[52:53], v3, v3, v10
	v_rcp_f32_e32 v7, v1
	v_fma_f32 v8, -v1, v7, 1.0
	v_fmac_f32_e32 v7, v8, v7
	v_div_scale_f32 v8, vcc, v10, v3, v10
	v_mul_f32_e32 v12, v8, v7
	v_fma_f32 v13, -v1, v12, v8
	v_fmac_f32_e32 v12, v13, v7
	v_fma_f32 v1, -v1, v12, v8
	v_div_fmas_f32 v1, v1, v7, v12
	v_div_fixup_f32 v10, v1, v3, v10
	v_accvgpr_read_b32 v1, a112
	ds_read_b32 v1, v1 offset:8448
	global_store_dwordx2 v[4:5], v[10:11], off
	v_cvt_f32_f16_sdwa v11, v9 dst_sel:DWORD dst_unused:UNUSED_PAD src0_sel:WORD_1
	v_cvt_f32_f16_e32 v10, v9
	v_pk_fma_f32 v[8:9], v[2:3], v[10:11], 0 op_sel_hi:[0,1,0]
	s_waitcnt lgkmcnt(0)
	v_cvt_f32_f16_sdwa v11, v1 dst_sel:DWORD dst_unused:UNUSED_PAD src0_sel:WORD_1
	v_cvt_f32_f16_e32 v10, v1
	v_pk_fma_f32 v[6:7], v[6:7], v[10:11], v[8:9] op_sel_hi:[0,1,1]
	v_div_scale_f32 v1, s[52:53], v3, v3, v7
	v_rcp_f32_e32 v2, v1
	v_fma_f32 v8, -v1, v2, 1.0
	v_fmac_f32_e32 v2, v8, v2
	v_div_scale_f32 v8, vcc, v7, v3, v7
	v_mul_f32_e32 v9, v8, v2
	v_fma_f32 v10, -v1, v9, v8
	v_fmac_f32_e32 v9, v10, v2
	v_fma_f32 v1, -v1, v9, v8
	v_div_fmas_f32 v1, v1, v2, v9
	v_div_fixup_f32 v7, v1, v3, v7
	v_div_scale_f32 v1, s[52:53], v3, v3, v6
	v_rcp_f32_e32 v2, v1
	v_fma_f32 v8, -v1, v2, 1.0
	v_fmac_f32_e32 v2, v8, v2
	v_div_scale_f32 v8, vcc, v6, v3, v6
	v_mul_f32_e32 v9, v8, v2
	v_fma_f32 v10, -v1, v9, v8
	v_fmac_f32_e32 v9, v10, v2
	v_fma_f32 v1, -v1, v9, v8
	v_div_fmas_f32 v1, v1, v2, v9
	v_div_fixup_f32 v6, v1, v3, v6
	v_mov_b32_e32 v1, 0
	global_store_dwordx2 v[4:5], v[6:7], off offset:512
.LBB29_293:                             ;   in Loop: Header=BB29_14 Depth=1
	s_or_b64 exec, exec, s[50:51]
	s_movk_i32 s40, 0x47
	v_cmp_gt_i32_e32 vcc, s40, v1
	s_mov_b64 s[50:51], -1
	s_and_saveexec_b64 s[52:53], vcc
; %bb.294:                              ;   in Loop: Header=BB29_14 Depth=1
	v_cmp_eq_u32_e32 vcc, 0, v1
	s_orn2_b64 s[50:51], vcc, exec
; %bb.295:                              ;   in Loop: Header=BB29_14 Depth=1
	s_or_b64 exec, exec, s[52:53]
	s_and_b64 exec, exec, s[50:51]
	s_cbranch_execz .LBB29_318
; %bb.296:                              ;   in Loop: Header=BB29_14 Depth=1
	v_accvgpr_read_b32 v1, a63
	v_add_u32_e32 v4, s94, v1
	v_cmp_gt_i32_e32 vcc, s76, v4
	v_mov_b32_e32 v1, 0x47
	s_and_saveexec_b64 s[50:51], vcc
	s_cbranch_execz .LBB29_298
; %bb.297:                              ;   in Loop: Header=BB29_14 Depth=1
	v_accvgpr_read_b32 v1, a114
	v_add_u32_e32 v1, 0, v1
	ds_read2_b32 v[2:3], v1 offset0:128 offset1:129
	ds_read_b32 v6, v1 offset:8960
	v_accvgpr_read_b32 v1, a113
	ds_read2st64_b32 v[8:9], v1 offset1:1
	ds_read_b32 v1, v1 offset:8448
	v_readlane_b32 s40, v255, 2
	v_mad_u64_u32 v[4:5], s[52:53], s40, v4, v[100:101]
	s_waitcnt lgkmcnt(1)
	v_cvt_f32_f16_sdwa v11, v8 dst_sel:DWORD dst_unused:UNUSED_PAD src0_sel:WORD_1
	v_cvt_f32_f16_e32 v10, v8
	s_waitcnt lgkmcnt(0)
	v_cvt_f32_f16_sdwa v13, v1 dst_sel:DWORD dst_unused:UNUSED_PAD src0_sel:WORD_1
	v_cvt_f32_f16_e32 v12, v1
	v_ashrrev_i32_e32 v5, 31, v4
	v_mov_b32_e32 v7, s74
	v_pk_fma_f32 v[10:11], v[2:3], v[10:11], 0 op_sel_hi:[0,1,0]
	v_lshlrev_b64 v[4:5], 3, v[4:5]
	v_pk_fma_f32 v[10:11], v[6:7], v[12:13], v[10:11] op_sel_hi:[0,1,1]
	v_add_co_u32_e32 v4, vcc, s75, v4
	v_div_scale_f32 v1, s[52:53], v3, v3, v11
	v_addc_co_u32_e32 v5, vcc, v7, v5, vcc
	v_rcp_f32_e32 v7, v1
	v_fma_f32 v8, -v1, v7, 1.0
	v_fmac_f32_e32 v7, v8, v7
	v_div_scale_f32 v8, vcc, v11, v3, v11
	v_mul_f32_e32 v12, v8, v7
	v_fma_f32 v13, -v1, v12, v8
	v_fmac_f32_e32 v12, v13, v7
	v_fma_f32 v1, -v1, v12, v8
	v_div_fmas_f32 v1, v1, v7, v12
	v_div_fixup_f32 v11, v1, v3, v11
	v_div_scale_f32 v1, s[52:53], v3, v3, v10
	v_rcp_f32_e32 v7, v1
	v_fma_f32 v8, -v1, v7, 1.0
	v_fmac_f32_e32 v7, v8, v7
	v_div_scale_f32 v8, vcc, v10, v3, v10
	v_mul_f32_e32 v12, v8, v7
	v_fma_f32 v13, -v1, v12, v8
	v_fmac_f32_e32 v12, v13, v7
	v_fma_f32 v1, -v1, v12, v8
	v_div_fmas_f32 v1, v1, v7, v12
	v_div_fixup_f32 v10, v1, v3, v10
	v_accvgpr_read_b32 v1, a115
	ds_read_b32 v1, v1 offset:8448
	global_store_dwordx2 v[4:5], v[10:11], off
	v_cvt_f32_f16_sdwa v11, v9 dst_sel:DWORD dst_unused:UNUSED_PAD src0_sel:WORD_1
	v_cvt_f32_f16_e32 v10, v9
	v_pk_fma_f32 v[8:9], v[2:3], v[10:11], 0 op_sel_hi:[0,1,0]
	s_waitcnt lgkmcnt(0)
	v_cvt_f32_f16_sdwa v11, v1 dst_sel:DWORD dst_unused:UNUSED_PAD src0_sel:WORD_1
	v_cvt_f32_f16_e32 v10, v1
	v_pk_fma_f32 v[6:7], v[6:7], v[10:11], v[8:9] op_sel_hi:[0,1,1]
	v_div_scale_f32 v1, s[52:53], v3, v3, v7
	v_rcp_f32_e32 v2, v1
	v_fma_f32 v8, -v1, v2, 1.0
	v_fmac_f32_e32 v2, v8, v2
	v_div_scale_f32 v8, vcc, v7, v3, v7
	v_mul_f32_e32 v9, v8, v2
	v_fma_f32 v10, -v1, v9, v8
	v_fmac_f32_e32 v9, v10, v2
	v_fma_f32 v1, -v1, v9, v8
	v_div_fmas_f32 v1, v1, v2, v9
	v_div_fixup_f32 v7, v1, v3, v7
	v_div_scale_f32 v1, s[52:53], v3, v3, v6
	v_rcp_f32_e32 v2, v1
	v_fma_f32 v8, -v1, v2, 1.0
	v_fmac_f32_e32 v2, v8, v2
	v_div_scale_f32 v8, vcc, v6, v3, v6
	v_mul_f32_e32 v9, v8, v2
	v_fma_f32 v10, -v1, v9, v8
	v_fmac_f32_e32 v9, v10, v2
	v_fma_f32 v1, -v1, v9, v8
	v_div_fmas_f32 v1, v1, v2, v9
	v_div_fixup_f32 v6, v1, v3, v6
	v_mov_b32_e32 v1, 0
	global_store_dwordx2 v[4:5], v[6:7], off offset:512
.LBB29_298:                             ;   in Loop: Header=BB29_14 Depth=1
	s_or_b64 exec, exec, s[50:51]
	s_movk_i32 s40, 0x47
	v_cmp_gt_i32_e32 vcc, s40, v1
	s_mov_b64 s[50:51], -1
	s_and_saveexec_b64 s[52:53], vcc
; %bb.299:                              ;   in Loop: Header=BB29_14 Depth=1
	v_cmp_eq_u32_e32 vcc, 0, v1
	s_orn2_b64 s[50:51], vcc, exec
; %bb.300:                              ;   in Loop: Header=BB29_14 Depth=1
	s_or_b64 exec, exec, s[52:53]
	s_and_b64 exec, exec, s[50:51]
	s_cbranch_execz .LBB29_318
; %bb.301:                              ;   in Loop: Header=BB29_14 Depth=1
	v_accvgpr_read_b32 v1, a64
	v_add_u32_e32 v4, s94, v1
	v_cmp_gt_i32_e32 vcc, s76, v4
	v_mov_b32_e32 v1, 0x47
	s_and_saveexec_b64 s[50:51], vcc
	s_cbranch_execz .LBB29_303
; %bb.302:                              ;   in Loop: Header=BB29_14 Depth=1
	v_accvgpr_read_b32 v1, a117
	v_add_u32_e32 v1, 0, v1
	ds_read2_b32 v[2:3], v1 offset0:128 offset1:129
	ds_read_b32 v6, v1 offset:8960
	v_accvgpr_read_b32 v1, a116
	ds_read2st64_b32 v[8:9], v1 offset1:1
	ds_read_b32 v1, v1 offset:8448
	v_readlane_b32 s40, v255, 2
	v_mad_u64_u32 v[4:5], s[52:53], s40, v4, v[100:101]
	s_waitcnt lgkmcnt(1)
	v_cvt_f32_f16_sdwa v11, v8 dst_sel:DWORD dst_unused:UNUSED_PAD src0_sel:WORD_1
	v_cvt_f32_f16_e32 v10, v8
	s_waitcnt lgkmcnt(0)
	v_cvt_f32_f16_sdwa v13, v1 dst_sel:DWORD dst_unused:UNUSED_PAD src0_sel:WORD_1
	v_cvt_f32_f16_e32 v12, v1
	v_ashrrev_i32_e32 v5, 31, v4
	v_mov_b32_e32 v7, s74
	v_pk_fma_f32 v[10:11], v[2:3], v[10:11], 0 op_sel_hi:[0,1,0]
	v_lshlrev_b64 v[4:5], 3, v[4:5]
	v_pk_fma_f32 v[10:11], v[6:7], v[12:13], v[10:11] op_sel_hi:[0,1,1]
	v_add_co_u32_e32 v4, vcc, s75, v4
	v_div_scale_f32 v1, s[52:53], v3, v3, v11
	v_addc_co_u32_e32 v5, vcc, v7, v5, vcc
	v_rcp_f32_e32 v7, v1
	v_fma_f32 v8, -v1, v7, 1.0
	v_fmac_f32_e32 v7, v8, v7
	v_div_scale_f32 v8, vcc, v11, v3, v11
	v_mul_f32_e32 v12, v8, v7
	v_fma_f32 v13, -v1, v12, v8
	v_fmac_f32_e32 v12, v13, v7
	v_fma_f32 v1, -v1, v12, v8
	v_div_fmas_f32 v1, v1, v7, v12
	v_div_fixup_f32 v11, v1, v3, v11
	v_div_scale_f32 v1, s[52:53], v3, v3, v10
	v_rcp_f32_e32 v7, v1
	v_fma_f32 v8, -v1, v7, 1.0
	v_fmac_f32_e32 v7, v8, v7
	v_div_scale_f32 v8, vcc, v10, v3, v10
	v_mul_f32_e32 v12, v8, v7
	v_fma_f32 v13, -v1, v12, v8
	v_fmac_f32_e32 v12, v13, v7
	v_fma_f32 v1, -v1, v12, v8
	v_div_fmas_f32 v1, v1, v7, v12
	v_div_fixup_f32 v10, v1, v3, v10
	v_accvgpr_read_b32 v1, a118
	ds_read_b32 v1, v1 offset:8448
	global_store_dwordx2 v[4:5], v[10:11], off
	v_cvt_f32_f16_sdwa v11, v9 dst_sel:DWORD dst_unused:UNUSED_PAD src0_sel:WORD_1
	v_cvt_f32_f16_e32 v10, v9
	v_pk_fma_f32 v[8:9], v[2:3], v[10:11], 0 op_sel_hi:[0,1,0]
	s_waitcnt lgkmcnt(0)
	v_cvt_f32_f16_sdwa v11, v1 dst_sel:DWORD dst_unused:UNUSED_PAD src0_sel:WORD_1
	v_cvt_f32_f16_e32 v10, v1
	v_pk_fma_f32 v[6:7], v[6:7], v[10:11], v[8:9] op_sel_hi:[0,1,1]
	v_div_scale_f32 v1, s[52:53], v3, v3, v7
	v_rcp_f32_e32 v2, v1
	v_fma_f32 v8, -v1, v2, 1.0
	v_fmac_f32_e32 v2, v8, v2
	v_div_scale_f32 v8, vcc, v7, v3, v7
	v_mul_f32_e32 v9, v8, v2
	v_fma_f32 v10, -v1, v9, v8
	v_fmac_f32_e32 v9, v10, v2
	v_fma_f32 v1, -v1, v9, v8
	v_div_fmas_f32 v1, v1, v2, v9
	v_div_fixup_f32 v7, v1, v3, v7
	v_div_scale_f32 v1, s[52:53], v3, v3, v6
	v_rcp_f32_e32 v2, v1
	v_fma_f32 v8, -v1, v2, 1.0
	v_fmac_f32_e32 v2, v8, v2
	v_div_scale_f32 v8, vcc, v6, v3, v6
	v_mul_f32_e32 v9, v8, v2
	v_fma_f32 v10, -v1, v9, v8
	v_fmac_f32_e32 v9, v10, v2
	v_fma_f32 v1, -v1, v9, v8
	v_div_fmas_f32 v1, v1, v2, v9
	v_div_fixup_f32 v6, v1, v3, v6
	v_mov_b32_e32 v1, 0
	global_store_dwordx2 v[4:5], v[6:7], off offset:512
.LBB29_303:                             ;   in Loop: Header=BB29_14 Depth=1
	s_or_b64 exec, exec, s[50:51]
	s_movk_i32 s40, 0x47
	v_cmp_gt_i32_e32 vcc, s40, v1
	s_mov_b64 s[50:51], -1
	s_and_saveexec_b64 s[52:53], vcc
; %bb.304:                              ;   in Loop: Header=BB29_14 Depth=1
	v_cmp_eq_u32_e32 vcc, 0, v1
	s_orn2_b64 s[50:51], vcc, exec
; %bb.305:                              ;   in Loop: Header=BB29_14 Depth=1
	s_or_b64 exec, exec, s[52:53]
	s_and_b64 exec, exec, s[50:51]
	s_cbranch_execz .LBB29_318
; %bb.306:                              ;   in Loop: Header=BB29_14 Depth=1
	v_accvgpr_read_b32 v1, a65
	v_add_u32_e32 v4, s94, v1
	v_cmp_gt_i32_e32 vcc, s76, v4
	v_mov_b32_e32 v1, 0x47
	s_and_saveexec_b64 s[50:51], vcc
	s_cbranch_execz .LBB29_308
; %bb.307:                              ;   in Loop: Header=BB29_14 Depth=1
	v_accvgpr_read_b32 v1, a120
	v_add_u32_e32 v1, 0, v1
	ds_read2_b32 v[2:3], v1 offset0:128 offset1:129
	ds_read_b32 v6, v1 offset:8960
	v_accvgpr_read_b32 v1, a119
	ds_read2st64_b32 v[8:9], v1 offset1:1
	ds_read_b32 v1, v1 offset:8448
	v_readlane_b32 s40, v255, 2
	v_mad_u64_u32 v[4:5], s[52:53], s40, v4, v[100:101]
	s_waitcnt lgkmcnt(1)
	v_cvt_f32_f16_sdwa v11, v8 dst_sel:DWORD dst_unused:UNUSED_PAD src0_sel:WORD_1
	v_cvt_f32_f16_e32 v10, v8
	s_waitcnt lgkmcnt(0)
	v_cvt_f32_f16_sdwa v13, v1 dst_sel:DWORD dst_unused:UNUSED_PAD src0_sel:WORD_1
	v_cvt_f32_f16_e32 v12, v1
	v_ashrrev_i32_e32 v5, 31, v4
	v_mov_b32_e32 v7, s74
	v_pk_fma_f32 v[10:11], v[2:3], v[10:11], 0 op_sel_hi:[0,1,0]
	v_lshlrev_b64 v[4:5], 3, v[4:5]
	v_pk_fma_f32 v[10:11], v[6:7], v[12:13], v[10:11] op_sel_hi:[0,1,1]
	v_add_co_u32_e32 v4, vcc, s75, v4
	v_div_scale_f32 v1, s[52:53], v3, v3, v11
	v_addc_co_u32_e32 v5, vcc, v7, v5, vcc
	v_rcp_f32_e32 v7, v1
	v_fma_f32 v8, -v1, v7, 1.0
	v_fmac_f32_e32 v7, v8, v7
	v_div_scale_f32 v8, vcc, v11, v3, v11
	v_mul_f32_e32 v12, v8, v7
	v_fma_f32 v13, -v1, v12, v8
	v_fmac_f32_e32 v12, v13, v7
	v_fma_f32 v1, -v1, v12, v8
	v_div_fmas_f32 v1, v1, v7, v12
	v_div_fixup_f32 v11, v1, v3, v11
	v_div_scale_f32 v1, s[52:53], v3, v3, v10
	v_rcp_f32_e32 v7, v1
	v_fma_f32 v8, -v1, v7, 1.0
	v_fmac_f32_e32 v7, v8, v7
	v_div_scale_f32 v8, vcc, v10, v3, v10
	v_mul_f32_e32 v12, v8, v7
	v_fma_f32 v13, -v1, v12, v8
	v_fmac_f32_e32 v12, v13, v7
	v_fma_f32 v1, -v1, v12, v8
	v_div_fmas_f32 v1, v1, v7, v12
	v_div_fixup_f32 v10, v1, v3, v10
	v_accvgpr_read_b32 v1, a121
	ds_read_b32 v1, v1 offset:8448
	global_store_dwordx2 v[4:5], v[10:11], off
	v_cvt_f32_f16_sdwa v11, v9 dst_sel:DWORD dst_unused:UNUSED_PAD src0_sel:WORD_1
	v_cvt_f32_f16_e32 v10, v9
	v_pk_fma_f32 v[8:9], v[2:3], v[10:11], 0 op_sel_hi:[0,1,0]
	s_waitcnt lgkmcnt(0)
	v_cvt_f32_f16_sdwa v11, v1 dst_sel:DWORD dst_unused:UNUSED_PAD src0_sel:WORD_1
	v_cvt_f32_f16_e32 v10, v1
	v_pk_fma_f32 v[6:7], v[6:7], v[10:11], v[8:9] op_sel_hi:[0,1,1]
	v_div_scale_f32 v1, s[52:53], v3, v3, v7
	v_rcp_f32_e32 v2, v1
	v_fma_f32 v8, -v1, v2, 1.0
	v_fmac_f32_e32 v2, v8, v2
	v_div_scale_f32 v8, vcc, v7, v3, v7
	v_mul_f32_e32 v9, v8, v2
	v_fma_f32 v10, -v1, v9, v8
	v_fmac_f32_e32 v9, v10, v2
	v_fma_f32 v1, -v1, v9, v8
	v_div_fmas_f32 v1, v1, v2, v9
	v_div_fixup_f32 v7, v1, v3, v7
	v_div_scale_f32 v1, s[52:53], v3, v3, v6
	v_rcp_f32_e32 v2, v1
	v_fma_f32 v8, -v1, v2, 1.0
	v_fmac_f32_e32 v2, v8, v2
	v_div_scale_f32 v8, vcc, v6, v3, v6
	v_mul_f32_e32 v9, v8, v2
	v_fma_f32 v10, -v1, v9, v8
	v_fmac_f32_e32 v9, v10, v2
	v_fma_f32 v1, -v1, v9, v8
	v_div_fmas_f32 v1, v1, v2, v9
	v_div_fixup_f32 v6, v1, v3, v6
	v_mov_b32_e32 v1, 0
	global_store_dwordx2 v[4:5], v[6:7], off offset:512
.LBB29_308:                             ;   in Loop: Header=BB29_14 Depth=1
	s_or_b64 exec, exec, s[50:51]
	s_movk_i32 s40, 0x47
	v_cmp_gt_i32_e32 vcc, s40, v1
	s_mov_b64 s[50:51], -1
	s_and_saveexec_b64 s[52:53], vcc
; %bb.309:                              ;   in Loop: Header=BB29_14 Depth=1
	v_cmp_eq_u32_e32 vcc, 0, v1
	s_orn2_b64 s[50:51], vcc, exec
; %bb.310:                              ;   in Loop: Header=BB29_14 Depth=1
	s_or_b64 exec, exec, s[52:53]
	s_and_b64 exec, exec, s[50:51]
	s_cbranch_execz .LBB29_318
; %bb.311:                              ;   in Loop: Header=BB29_14 Depth=1
	v_accvgpr_read_b32 v1, a66
	v_add_u32_e32 v4, s94, v1
	v_cmp_gt_i32_e32 vcc, s76, v4
	v_mov_b32_e32 v1, 0x47
	s_and_saveexec_b64 s[50:51], vcc
	s_cbranch_execz .LBB29_313
; %bb.312:                              ;   in Loop: Header=BB29_14 Depth=1
	v_accvgpr_read_b32 v1, a123
	v_add_u32_e32 v1, 0, v1
	ds_read2_b32 v[2:3], v1 offset0:128 offset1:129
	ds_read_b32 v6, v1 offset:8960
	v_accvgpr_read_b32 v1, a122
	ds_read2st64_b32 v[8:9], v1 offset1:1
	ds_read_b32 v1, v1 offset:8448
	v_readlane_b32 s40, v255, 2
	v_mad_u64_u32 v[4:5], s[52:53], s40, v4, v[100:101]
	s_waitcnt lgkmcnt(1)
	v_cvt_f32_f16_sdwa v11, v8 dst_sel:DWORD dst_unused:UNUSED_PAD src0_sel:WORD_1
	v_cvt_f32_f16_e32 v10, v8
	s_waitcnt lgkmcnt(0)
	v_cvt_f32_f16_sdwa v13, v1 dst_sel:DWORD dst_unused:UNUSED_PAD src0_sel:WORD_1
	v_cvt_f32_f16_e32 v12, v1
	v_ashrrev_i32_e32 v5, 31, v4
	v_mov_b32_e32 v7, s74
	v_pk_fma_f32 v[10:11], v[2:3], v[10:11], 0 op_sel_hi:[0,1,0]
	v_lshlrev_b64 v[4:5], 3, v[4:5]
	v_pk_fma_f32 v[10:11], v[6:7], v[12:13], v[10:11] op_sel_hi:[0,1,1]
	v_add_co_u32_e32 v4, vcc, s75, v4
	v_div_scale_f32 v1, s[52:53], v3, v3, v11
	v_addc_co_u32_e32 v5, vcc, v7, v5, vcc
	v_rcp_f32_e32 v7, v1
	v_fma_f32 v8, -v1, v7, 1.0
	v_fmac_f32_e32 v7, v8, v7
	v_div_scale_f32 v8, vcc, v11, v3, v11
	v_mul_f32_e32 v12, v8, v7
	v_fma_f32 v13, -v1, v12, v8
	v_fmac_f32_e32 v12, v13, v7
	v_fma_f32 v1, -v1, v12, v8
	v_div_fmas_f32 v1, v1, v7, v12
	v_div_fixup_f32 v11, v1, v3, v11
	v_div_scale_f32 v1, s[52:53], v3, v3, v10
	v_rcp_f32_e32 v7, v1
	v_fma_f32 v8, -v1, v7, 1.0
	v_fmac_f32_e32 v7, v8, v7
	v_div_scale_f32 v8, vcc, v10, v3, v10
	v_mul_f32_e32 v12, v8, v7
	v_fma_f32 v13, -v1, v12, v8
	v_fmac_f32_e32 v12, v13, v7
	v_fma_f32 v1, -v1, v12, v8
	v_div_fmas_f32 v1, v1, v7, v12
	v_div_fixup_f32 v10, v1, v3, v10
	v_accvgpr_read_b32 v1, a124
	ds_read_b32 v1, v1 offset:8448
	global_store_dwordx2 v[4:5], v[10:11], off
	v_cvt_f32_f16_sdwa v11, v9 dst_sel:DWORD dst_unused:UNUSED_PAD src0_sel:WORD_1
	v_cvt_f32_f16_e32 v10, v9
	v_pk_fma_f32 v[8:9], v[2:3], v[10:11], 0 op_sel_hi:[0,1,0]
	s_waitcnt lgkmcnt(0)
	v_cvt_f32_f16_sdwa v11, v1 dst_sel:DWORD dst_unused:UNUSED_PAD src0_sel:WORD_1
	v_cvt_f32_f16_e32 v10, v1
	v_pk_fma_f32 v[6:7], v[6:7], v[10:11], v[8:9] op_sel_hi:[0,1,1]
	v_div_scale_f32 v1, s[52:53], v3, v3, v7
	v_rcp_f32_e32 v2, v1
	v_fma_f32 v8, -v1, v2, 1.0
	v_fmac_f32_e32 v2, v8, v2
	v_div_scale_f32 v8, vcc, v7, v3, v7
	v_mul_f32_e32 v9, v8, v2
	v_fma_f32 v10, -v1, v9, v8
	v_fmac_f32_e32 v9, v10, v2
	v_fma_f32 v1, -v1, v9, v8
	v_div_fmas_f32 v1, v1, v2, v9
	v_div_fixup_f32 v7, v1, v3, v7
	v_div_scale_f32 v1, s[52:53], v3, v3, v6
	v_rcp_f32_e32 v2, v1
	v_fma_f32 v8, -v1, v2, 1.0
	v_fmac_f32_e32 v2, v8, v2
	v_div_scale_f32 v8, vcc, v6, v3, v6
	v_mul_f32_e32 v9, v8, v2
	v_fma_f32 v10, -v1, v9, v8
	v_fmac_f32_e32 v9, v10, v2
	v_fma_f32 v1, -v1, v9, v8
	v_div_fmas_f32 v1, v1, v2, v9
	v_div_fixup_f32 v6, v1, v3, v6
	v_mov_b32_e32 v1, 0
	global_store_dwordx2 v[4:5], v[6:7], off offset:512
.LBB29_313:                             ;   in Loop: Header=BB29_14 Depth=1
	s_or_b64 exec, exec, s[50:51]
	s_movk_i32 s40, 0x47
	v_cmp_gt_i32_e32 vcc, s40, v1
	s_mov_b64 s[50:51], -1
	s_and_saveexec_b64 s[52:53], vcc
; %bb.314:                              ;   in Loop: Header=BB29_14 Depth=1
	v_cmp_eq_u32_e32 vcc, 0, v1
	s_orn2_b64 s[50:51], vcc, exec
; %bb.315:                              ;   in Loop: Header=BB29_14 Depth=1
	s_or_b64 exec, exec, s[52:53]
	s_and_b64 exec, exec, s[50:51]
	s_cbranch_execz .LBB29_318
; %bb.316:                              ;   in Loop: Header=BB29_14 Depth=1
	v_accvgpr_read_b32 v1, a67
	v_add_u32_e32 v1, s94, v1
	v_cmp_gt_i32_e32 vcc, s76, v1
	s_and_b64 exec, exec, vcc
	s_cbranch_execz .LBB29_318
; %bb.317:                              ;   in Loop: Header=BB29_14 Depth=1
	v_accvgpr_read_b32 v2, a125
	v_add_u32_e32 v4, 0, v2
	ds_read2_b32 v[2:3], v4 offset0:128 offset1:129
	ds_read_b32 v6, v4 offset:8960
	v_accvgpr_read_b32 v4, a126
	ds_read2st64_b32 v[8:9], v4 offset1:1
	ds_read_b32 v7, v4 offset:8448
	v_readlane_b32 s40, v255, 2
	v_mad_u64_u32 v[4:5], s[50:51], s40, v1, v[100:101]
	s_waitcnt lgkmcnt(1)
	v_cvt_f32_f16_sdwa v11, v8 dst_sel:DWORD dst_unused:UNUSED_PAD src0_sel:WORD_1
	v_cvt_f32_f16_e32 v10, v8
	s_waitcnt lgkmcnt(0)
	v_cvt_f32_f16_sdwa v13, v7 dst_sel:DWORD dst_unused:UNUSED_PAD src0_sel:WORD_1
	v_cvt_f32_f16_e32 v12, v7
	v_ashrrev_i32_e32 v5, 31, v4
	v_lshlrev_b64 v[4:5], 3, v[4:5]
	v_pk_fma_f32 v[10:11], v[2:3], v[10:11], 0 op_sel_hi:[0,1,0]
	v_add_co_u32_e32 v4, vcc, s75, v4
	v_mov_b32_e32 v1, s74
	v_pk_fma_f32 v[10:11], v[6:7], v[12:13], v[10:11] op_sel_hi:[0,1,1]
	v_addc_co_u32_e32 v5, vcc, v1, v5, vcc
	v_div_scale_f32 v1, s[50:51], v3, v3, v11
	v_rcp_f32_e32 v7, v1
	v_fma_f32 v8, -v1, v7, 1.0
	v_fmac_f32_e32 v7, v8, v7
	v_div_scale_f32 v8, vcc, v11, v3, v11
	v_mul_f32_e32 v12, v8, v7
	v_fma_f32 v13, -v1, v12, v8
	v_fmac_f32_e32 v12, v13, v7
	v_fma_f32 v1, -v1, v12, v8
	v_div_fmas_f32 v1, v1, v7, v12
	v_div_fixup_f32 v11, v1, v3, v11
	v_div_scale_f32 v1, s[50:51], v3, v3, v10
	v_rcp_f32_e32 v7, v1
	v_fma_f32 v8, -v1, v7, 1.0
	v_fmac_f32_e32 v7, v8, v7
	v_div_scale_f32 v8, vcc, v10, v3, v10
	v_mul_f32_e32 v12, v8, v7
	v_fma_f32 v13, -v1, v12, v8
	v_fmac_f32_e32 v12, v13, v7
	v_fma_f32 v1, -v1, v12, v8
	v_div_fmas_f32 v1, v1, v7, v12
	v_div_fixup_f32 v10, v1, v3, v10
	v_accvgpr_read_b32 v1, a127
	ds_read_b32 v1, v1 offset:8448
	global_store_dwordx2 v[4:5], v[10:11], off
	v_cvt_f32_f16_sdwa v11, v9 dst_sel:DWORD dst_unused:UNUSED_PAD src0_sel:WORD_1
	v_cvt_f32_f16_e32 v10, v9
	v_pk_fma_f32 v[8:9], v[2:3], v[10:11], 0 op_sel_hi:[0,1,0]
	s_waitcnt lgkmcnt(0)
	v_cvt_f32_f16_sdwa v11, v1 dst_sel:DWORD dst_unused:UNUSED_PAD src0_sel:WORD_1
	v_cvt_f32_f16_e32 v10, v1
	v_pk_fma_f32 v[6:7], v[6:7], v[10:11], v[8:9] op_sel_hi:[0,1,1]
	v_div_scale_f32 v1, s[50:51], v3, v3, v7
	v_rcp_f32_e32 v2, v1
	v_fma_f32 v8, -v1, v2, 1.0
	v_fmac_f32_e32 v2, v8, v2
	v_div_scale_f32 v8, vcc, v7, v3, v7
	v_mul_f32_e32 v9, v8, v2
	v_fma_f32 v10, -v1, v9, v8
	v_fmac_f32_e32 v9, v10, v2
	v_fma_f32 v1, -v1, v9, v8
	v_div_fmas_f32 v1, v1, v2, v9
	v_div_fixup_f32 v7, v1, v3, v7
	v_div_scale_f32 v1, s[50:51], v3, v3, v6
	v_rcp_f32_e32 v2, v1
	v_fma_f32 v8, -v1, v2, 1.0
	v_fmac_f32_e32 v2, v8, v2
	v_div_scale_f32 v8, vcc, v6, v3, v6
	v_mul_f32_e32 v9, v8, v2
	v_fma_f32 v10, -v1, v9, v8
	v_fmac_f32_e32 v9, v10, v2
	v_fma_f32 v1, -v1, v9, v8
	v_div_fmas_f32 v1, v1, v2, v9
	v_div_fixup_f32 v6, v1, v3, v6
	global_store_dwordx2 v[4:5], v[6:7], off offset:512
.LBB29_318:                             ;   in Loop: Header=BB29_14 Depth=1
	s_or_b64 exec, exec, s[48:49]
	s_barrier
.LBB29_319:                             ;   in Loop: Header=BB29_14 Depth=1
	v_readlane_b32 s50, v254, 1
	v_readlane_b32 s40, v255, 26
	s_add_i32 s40, s40, s50
	s_abs_i32 s42, s40
	v_readlane_b32 s44, v254, 31
	s_mul_hi_u32 s44, s42, s44
	s_mul_i32 s44, s44, s99
	v_readlane_b32 s41, v255, 27
	s_sub_i32 s42, s42, s44
	s_ashr_i32 s41, s40, 31
	s_sub_i32 s44, s42, s99
	s_cmp_ge_u32 s42, s99
	s_cselect_b32 s42, s44, s42
	s_sub_i32 s44, s42, s99
	s_cmp_ge_u32 s42, s99
	s_cselect_b32 s42, s44, s42
	s_xor_b32 s42, s42, s41
	s_sub_i32 s41, s41, s42
	s_add_i32 s44, s40, s41
	v_readlane_b32 s40, v254, 16
	v_readlane_b32 s41, v254, 17
	s_sub_i32 s41, s40, s44
	s_mov_b32 s48, s40
	s_min_i32 s40, s50, s41
	s_cmp_gt_i32 s48, s44
	s_cselect_b64 s[48:49], -1, 0
	s_cmp_le_i32 s50, s41
	s_cselect_b64 s[50:51], -1, 0
	s_and_b64 s[50:51], s[50:51], s[48:49]
	s_mov_b32 s42, s44
	s_mov_b32 s58, 0
	s_and_b64 vcc, exec, s[50:51]
	s_cbranch_vccz .LBB29_321
; %bb.320:                              ;   in Loop: Header=BB29_14 Depth=1
	s_mov_b32 s50, s42
	s_branch .LBB29_14
.LBB29_321:
	v_readlane_b32 s36, v254, 60
	v_readlane_b32 s68, v254, 55
	;; [unrolled: 1-line block ×4, first 2 shown]
	s_mov_b32 s50, s42
	v_readlane_b32 s37, v254, 61
	v_readlane_b32 s38, v254, 62
	;; [unrolled: 1-line block ×4, first 2 shown]
	v_accvgpr_read_b32 v90, a9
	v_accvgpr_read_b32 v91, a10
	;; [unrolled: 1-line block ×4, first 2 shown]
	v_readlane_b32 s93, v255, 21
	v_readlane_b32 s35, v254, 57
	s_andn2_b64 vcc, exec, s[48:49]
	s_cbranch_vccnz .LBB29_12
.LBB29_322:
	v_readlane_b32 s11, v254, 7
	s_abs_i32 s4, s11
	v_cvt_f32_u32_e32 v0, s4
	s_sub_i32 s7, 0, s4
	s_abs_i32 s6, s50
	s_xor_b32 s5, s50, s11
	v_rcp_iflag_f32_e32 v0, v0
	s_ashr_i32 s5, s5, 31
	v_readlane_b32 s15, v254, 6
	v_readlane_b32 s14, v254, 3
	v_mul_f32_e32 v0, 0x4f7ffffe, v0
	v_cvt_u32_f32_e32 v0, v0
	v_readlane_b32 s16, v254, 32
	v_readlane_b32 s22, v254, 38
	;; [unrolled: 1-line block ×3, first 2 shown]
	v_readfirstlane_b32 s9, v0
	s_mul_i32 s7, s7, s9
	s_mul_hi_u32 s7, s9, s7
	s_add_i32 s9, s9, s7
	s_mul_hi_u32 s7, s6, s9
	s_mul_i32 s9, s7, s4
	s_sub_i32 s6, s6, s9
	s_add_i32 s10, s7, 1
	s_sub_i32 s9, s6, s4
	s_cmp_ge_u32 s6, s4
	s_cselect_b32 s7, s10, s7
	s_cselect_b32 s6, s9, s6
	s_add_i32 s9, s7, 1
	s_cmp_ge_u32 s6, s4
	s_cselect_b32 s4, s9, s7
	s_abs_i32 s6, s15
	v_cvt_f32_u32_e32 v0, s6
	s_xor_b32 s4, s4, s5
	s_sub_i32 s7, 0, s6
	s_sub_i32 s12, s4, s5
	v_rcp_iflag_f32_e32 v0, v0
	s_mul_i32 s4, s12, s11
	s_sub_i32 s4, s50, s4
	s_abs_i32 s9, s4
	v_mul_f32_e32 v0, 0x4f7ffffe, v0
	v_cvt_u32_f32_e32 v0, v0
	s_xor_b32 s5, s4, s15
	s_ashr_i32 s5, s5, 31
	s_mov_b64 s[48:49], 0
	v_readfirstlane_b32 s10, v0
	s_mul_i32 s7, s7, s10
	s_mul_hi_u32 s7, s10, s7
	s_add_i32 s10, s10, s7
	s_mul_hi_u32 s7, s9, s10
	s_mul_i32 s10, s7, s6
	s_sub_i32 s9, s9, s10
	s_add_i32 s11, s7, 1
	s_sub_i32 s10, s9, s6
	s_cmp_ge_u32 s9, s6
	s_cselect_b32 s7, s11, s7
	s_cselect_b32 s9, s10, s9
	s_add_i32 s10, s7, 1
	s_cmp_ge_u32 s9, s6
	s_cselect_b32 s6, s10, s7
	s_abs_i32 s7, s14
	v_cvt_f32_u32_e32 v0, s7
	s_xor_b32 s6, s6, s5
	s_sub_i32 s9, 0, s7
	s_sub_i32 s13, s6, s5
	v_rcp_iflag_f32_e32 v0, v0
	s_mul_i32 s5, s13, s15
	s_sub_i32 s5, s4, s5
	s_abs_i32 s6, s5
	v_mul_f32_e32 v0, 0x4f7ffffe, v0
	v_cvt_u32_f32_e32 v0, v0
	s_xor_b32 s4, s5, s14
	s_ashr_i32 s4, s4, 31
	v_readlane_b32 s17, v254, 33
	v_readfirstlane_b32 s10, v0
	s_mul_i32 s9, s9, s10
	s_mul_hi_u32 s9, s10, s9
	s_add_i32 s10, s10, s9
	s_mul_hi_u32 s9, s6, s10
	s_mul_i32 s10, s9, s7
	s_sub_i32 s6, s6, s10
	s_add_i32 s11, s9, 1
	s_sub_i32 s10, s6, s7
	s_cmp_ge_u32 s6, s7
	s_cselect_b32 s9, s11, s9
	s_cselect_b32 s6, s10, s6
	s_add_i32 s10, s9, 1
	s_cmp_ge_u32 s6, s7
	s_cselect_b32 s6, s10, s9
	s_xor_b32 s6, s6, s4
	s_sub_i32 s4, s6, s4
	s_mul_i32 s6, s4, s14
	s_sub_i32 s5, s5, s6
	s_abs_i32 s15, s5
	v_readlane_b32 s6, v254, 31
	s_ashr_i32 s14, s12, 31
	s_mul_hi_u32 s9, s15, s6
	s_cmp_eq_u64 s[22:23], 0
	v_readlane_b32 s18, v254, 34
	v_readlane_b32 s19, v254, 35
	;; [unrolled: 1-line block ×12, first 2 shown]
	s_cbranch_scc1 .LBB29_324
; %bb.323:
	s_abs_i32 s6, s34
	v_cvt_f32_u32_e32 v0, s6
	s_sub_i32 s10, 0, s6
	s_abs_i32 s7, s12
	v_readlane_b32 s16, v254, 21
	v_rcp_iflag_f32_e32 v0, v0
	v_readlane_b32 s17, v254, 22
	v_mul_f32_e32 v0, 0x4f7ffffe, v0
	v_cvt_u32_f32_e32 v0, v0
	v_readfirstlane_b32 s11, v0
	s_mul_i32 s10, s10, s11
	s_mul_hi_u32 s10, s11, s10
	s_add_i32 s11, s11, s10
	s_mul_hi_u32 s10, s7, s11
	s_mul_i32 s10, s10, s6
	s_sub_i32 s7, s7, s10
	s_sub_i32 s10, s7, s6
	s_cmp_ge_u32 s7, s6
	s_cselect_b32 s7, s10, s7
	s_sub_i32 s10, s7, s6
	s_cmp_ge_u32 s7, s6
	s_cselect_b32 s6, s10, s7
	s_xor_b32 s6, s6, s14
	s_sub_i32 s6, s6, s14
	s_ashr_i32 s7, s6, 31
	s_mul_i32 s10, s6, s17
	s_mul_hi_u32 s11, s6, s16
	s_add_i32 s10, s11, s10
	s_mul_i32 s7, s7, s16
	s_add_i32 s10, s10, s7
	s_mul_i32 s6, s6, s16
	s_add_u32 s48, s22, s6
	s_addc_u32 s49, s23, s10
.LBB29_324:
	s_ashr_i32 s17, s5, 31
	v_readlane_b32 s5, v254, 2
	s_mul_i32 s16, s13, s5
	s_add_i32 s16, s16, s4
	v_cmp_le_f32_e64 s[4:5], s37, 0
	s_and_b64 vcc, exec, s[4:5]
	v_mov_b32_e32 v40, 1.0
	s_cbranch_vccnz .LBB29_326
; %bb.325:
	v_readlane_b32 s5, v254, 18
	s_sub_i32 s4, s16, s5
	s_lshl_b32 s4, s4, 1
	s_add_i32 s6, s16, 1
	s_or_b32 s7, s4, 1
	s_cmp_lt_u32 s16, s5
	s_cselect_b64 vcc, -1, 0
	s_and_b64 s[4:5], vcc, exec
	v_mov_b32_e32 v0, s39
	v_mov_b32_e32 v1, s38
	s_cselect_b32 s4, s6, s7
	v_cndmask_b32_e32 v16, v0, v1, vcc
	v_cvt_f32_i32_e32 v0, s4
	v_cmp_neq_f32_e32 vcc, 1.0, v16
	s_mov_b32 s4, 0x3f2aaaab
	s_movk_i32 s6, 0x204
	v_cndmask_b32_e32 v17, 1.0, v0, vcc
	v_cmp_eq_f32_e32 vcc, 0, v17
	v_cndmask_b32_e64 v18, |v16|, 1.0, vcc
	v_frexp_mant_f32_e32 v0, v18
	v_cmp_gt_f32_e64 s[4:5], s4, v0
	v_cndmask_b32_e64 v1, 1.0, 2.0, s[4:5]
	v_mul_f32_e32 v0, v0, v1
	v_add_f32_e32 v3, 1.0, v0
	v_rcp_f32_e32 v8, v3
	v_add_f32_e32 v1, -1.0, v3
	v_sub_f32_e32 v5, v0, v1
	v_add_f32_e32 v1, -1.0, v0
	v_mul_f32_e32 v9, v1, v8
	v_mul_f32_e32 v2, v3, v9
	v_fma_f32 v4, v9, v3, -v2
	v_fmac_f32_e32 v4, v9, v5
	v_add_f32_e32 v0, v2, v4
	v_sub_f32_e32 v3, v1, v0
	v_pk_add_f32 v[6:7], v[0:1], v[2:3] neg_lo:[0,1] neg_hi:[0,1]
	v_mov_b32_e32 v5, v0
	v_pk_add_f32 v[0:1], v[6:7], v[4:5] neg_lo:[0,1] neg_hi:[0,1]
	v_add_f32_e32 v0, v0, v1
	v_add_f32_e32 v0, v3, v0
	v_mul_f32_e32 v1, v8, v0
	v_add_f32_e32 v0, v9, v1
	v_sub_f32_e32 v2, v0, v9
	v_sub_f32_e32 v10, v1, v2
	v_mul_f32_e32 v1, v0, v0
	v_fma_f32 v3, v0, v0, -v1
	v_add_f32_e32 v2, v10, v10
	v_fmac_f32_e32 v3, v0, v2
	v_add_f32_e32 v2, v1, v3
	v_mov_b32_e32 v4, 0x3e91f4c4
	v_fmac_f32_e32 v4, 0x3e76c4e1, v2
	v_mov_b32_e32 v5, 0x3ecccdef
	v_fmac_f32_e32 v5, v2, v4
	v_sub_f32_e32 v1, v2, v1
	v_sub_f32_e32 v11, v3, v1
	v_mul_f32_e32 v1, v2, v5
	v_fma_f32 v3, v2, v5, -v1
	v_fmac_f32_e32 v3, v11, v5
	v_add_f32_e32 v4, v1, v3
	v_add_f32_e32 v5, 0x3f2aaaaa, v4
	v_sub_f32_e32 v1, v4, v1
	v_sub_f32_e32 v1, v3, v1
	v_add_f32_e32 v3, 0xbf2aaaaa, v5
	v_add_f32_e32 v1, 0x31739010, v1
	v_sub_f32_e32 v3, v4, v3
	v_pk_mul_f32 v[6:7], v[0:1], v[2:3]
	v_fma_f32 v4, v2, v0, -v6
	v_pk_add_f32 v[8:9], v[0:1], v[2:3]
	v_fmac_f32_e32 v4, v2, v10
	v_mov_b32_e32 v7, v9
	v_fmac_f32_e32 v4, v11, v0
	v_pk_add_f32 v[2:3], v[6:7], v[4:5]
	v_sub_f32_e32 v1, v2, v6
	v_sub_f32_e32 v1, v4, v1
	;; [unrolled: 1-line block ×3, first 2 shown]
	v_add_f32_e32 v7, v9, v4
	v_mov_b32_e32 v4, v3
	v_pk_mul_f32 v[4:5], v[2:3], v[4:5]
	v_cvt_f64_f32_e32 v[8:9], v18
	v_frexp_exp_i32_f64_e32 v5, v[8:9]
	v_subbrev_co_u32_e64 v5, s[4:5], 0, v5, s[4:5]
	v_cvt_f32_i32_e32 v5, v5
	v_fma_f32 v6, v2, v3, -v4
	v_fmac_f32_e32 v6, v2, v7
	s_mov_b32 s4, 0x3f317218
	v_mul_f32_e32 v2, 0x3f317218, v5
	v_fmac_f32_e32 v6, v1, v3
	v_fma_f32 v8, v5, s4, -v2
	v_fmac_f32_e32 v8, 0xb102e308, v5
	v_ldexp_f32 v9, v0, 1
	v_add_f32_e32 v3, v4, v6
	v_pk_add_f32 v[0:1], v[2:3], v[8:9]
	v_ldexp_f32 v12, v10, 1
	v_mov_b32_e32 v10, v3
	v_mov_b32_e32 v11, v1
	v_mov_b32_e32 v5, v9
	v_pk_add_f32 v[4:5], v[10:11], v[4:5] neg_lo:[0,1] neg_hi:[0,1]
	v_mov_b32_e32 v7, v3
	v_pk_add_f32 v[4:5], v[6:7], v[4:5] neg_lo:[0,1] neg_hi:[0,1]
	v_add_f32_e32 v3, v12, v4
	v_add_f32_e32 v3, v3, v5
	v_pk_add_f32 v[4:5], v[0:1], v[2:3] neg_lo:[0,1] neg_hi:[0,1]
	v_pk_add_f32 v[6:7], v[0:1], v[2:3]
	v_mov_b32_e32 v10, v4
	v_mov_b32_e32 v11, v7
	;; [unrolled: 1-line block ×3, first 2 shown]
	v_pk_add_f32 v[10:11], v[8:9], v[10:11]
	v_mov_b32_e32 v2, v11
	v_pk_add_f32 v[12:13], v[2:3], v[0:1] neg_lo:[0,1] neg_hi:[0,1]
	v_mov_b32_e32 v13, v12
	v_mov_b32_e32 v10, v7
	;; [unrolled: 1-line block ×4, first 2 shown]
	v_pk_add_f32 v[4:5], v[8:9], v[4:5] neg_lo:[0,1] neg_hi:[0,1]
	v_pk_add_f32 v[14:15], v[6:7], v[12:13] neg_lo:[0,1] neg_hi:[0,1]
	v_pk_add_f32 v[0:1], v[10:11], v[0:1] neg_lo:[0,1] neg_hi:[0,1]
	v_mov_b32_e32 v8, v3
	v_pk_add_f32 v[0:1], v[8:9], v[0:1] neg_lo:[0,1] neg_hi:[0,1]
	v_mov_b32_e32 v14, v4
	v_pk_add_f32 v[6:7], v[14:15], v[0:1]
	v_mov_b32_e32 v8, v7
	v_pk_add_f32 v[8:9], v[6:7], v[8:9]
	v_pk_add_f32 v[2:3], v[2:3], v[8:9]
	v_mov_b32_e32 v5, v11
	v_mov_b32_e32 v7, v2
	v_pk_add_f32 v[10:11], v[6:7], v[4:5] neg_lo:[0,1] neg_hi:[0,1]
	v_mov_b32_e32 v1, v8
	v_sub_f32_e32 v3, v6, v10
	v_pk_add_f32 v[0:1], v[0:1], v[10:11] neg_lo:[0,1] neg_hi:[0,1]
	v_sub_f32_e32 v3, v4, v3
	v_add_f32_e32 v0, v0, v3
	v_add_f32_e32 v0, v0, v1
	;; [unrolled: 1-line block ×3, first 2 shown]
	v_sub_f32_e32 v2, v1, v2
	v_sub_f32_e32 v0, v0, v2
	v_mul_f32_e32 v2, v17, v1
	v_fma_f32 v1, v17, v1, -v2
	v_fmac_f32_e32 v1, v17, v0
	v_add_f32_e32 v0, v2, v1
	v_cmp_class_f32_e64 s[4:5], v2, s6
	v_sub_f32_e32 v3, v0, v2
	v_cndmask_b32_e64 v0, v0, v2, s[4:5]
	s_mov_b32 s10, 0x42b17218
	v_mov_b32_e32 v2, 0x37000000
	v_cmp_eq_f32_e64 s[4:5], s10, v0
	v_cndmask_b32_e64 v2, 0, v2, s[4:5]
	v_sub_f32_e32 v1, v1, v3
	v_sub_f32_e32 v3, v0, v2
	s_mov_b32 s4, 0x3fb8aa3b
	v_mul_f32_e32 v4, 0x3fb8aa3b, v3
	v_fma_f32 v5, v3, s4, -v4
	v_rndne_f32_e32 v6, v4
	v_fmac_f32_e32 v5, 0x32a5705f, v3
	v_sub_f32_e32 v4, v4, v6
	v_add_f32_e32 v4, v4, v5
	v_exp_f32_e32 v4, v4
	v_cvt_i32_f32_e32 v5, v6
	s_mov_b32 s7, 0x7f800000
	v_cmp_neq_f32_e64 s[4:5], |v0|, s7
	v_cndmask_b32_e64 v0, 0, v1, s[4:5]
	s_mov_b32 s4, 0xc2ce8ed0
	v_ldexp_f32 v1, v4, v5
	v_cmp_ngt_f32_e64 s[4:5], s4, v3
	v_add_f32_e32 v0, v2, v0
	v_cndmask_b32_e64 v1, 0, v1, s[4:5]
	v_mov_b32_e32 v2, 0x7f800000
	v_cmp_nlt_f32_e64 s[4:5], s10, v3
	v_cndmask_b32_e64 v1, v2, v1, s[4:5]
	v_fma_f32 v0, v1, v0, v1
	v_cmp_class_f32_e64 s[4:5], v1, s6
	v_trunc_f32_e32 v3, v17
	v_cndmask_b32_e64 v0, v0, v1, s[4:5]
	v_cndmask_b32_e64 v1, v16, 1.0, vcc
	v_cmp_eq_f32_e32 vcc, v3, v17
	v_mul_f32_e32 v3, 0.5, v17
	v_trunc_f32_e32 v5, v3
	v_cmp_neq_f32_e64 s[4:5], v5, v3
	s_and_b64 s[4:5], vcc, s[4:5]
	v_cndmask_b32_e64 v3, 1.0, v1, s[4:5]
	s_brev_b32 s18, -2
	v_mov_b32_e32 v4, 0x7fc00000
	v_bfi_b32 v0, s18, v0, v3
	v_cndmask_b32_e32 v3, v4, v0, vcc
	v_cmp_gt_f32_e32 vcc, 0, v1
	v_cndmask_b32_e32 v0, v0, v3, vcc
	v_cmp_eq_f32_e32 vcc, s7, v18
	v_cmp_eq_f32_e64 s[6:7], 0, v1
	v_cmp_gt_f32_e64 s[10:11], 0, v17
	s_xor_b64 s[10:11], s[10:11], s[6:7]
	v_cndmask_b32_e64 v2, v2, 0, s[10:11]
	v_cndmask_b32_e64 v3, 0, v1, s[4:5]
	v_bfi_b32 v2, s18, v2, v3
	s_or_b64 vcc, vcc, s[6:7]
	v_cndmask_b32_e32 v0, v0, v2, vcc
	v_cmp_o_f32_e32 vcc, v1, v1
	v_cndmask_b32_e32 v40, v4, v0, vcc
.LBB29_326:
	s_mul_i32 s5, s9, s99
	v_readlane_b32 s4, v254, 30
	s_sub_i32 s5, s15, s5
	s_xor_b32 s4, s17, s4
	s_add_i32 s6, s9, 1
	s_sub_i32 s7, s5, s99
	s_cmp_ge_u32 s5, s99
	s_cselect_b32 s6, s6, s9
	s_cselect_b32 s5, s7, s5
	s_add_i32 s7, s6, 1
	s_cmp_ge_u32 s5, s99
	s_cselect_b32 s5, s7, s6
	v_readlane_b32 s72, v254, 32
	s_xor_b32 s5, s5, s4
	v_readlane_b32 s73, v254, 33
	s_sub_i32 s4, s5, s4
	v_readlane_b32 s74, v254, 34
	v_readlane_b32 s75, v254, 35
	;; [unrolled: 1-line block ×8, first 2 shown]
	s_mov_b64 s[60:61], s[72:73]
	s_mov_b64 s[62:63], s[74:75]
	;; [unrolled: 1-line block ×4, first 2 shown]
	s_cmp_eq_u64 s[82:83], 0
	v_mov_b32_e32 v32, s40
	v_readlane_b32 s78, v254, 38
	v_readlane_b32 s79, v254, 39
	;; [unrolled: 1-line block ×6, first 2 shown]
	s_cbranch_scc1 .LBB29_328
; %bb.327:
	v_readlane_b32 s5, v254, 0
	s_mul_i32 s5, s12, s5
	s_add_i32 s6, s4, s5
	s_ashr_i32 s7, s6, 31
	s_mov_b64 s[70:71], s[82:83]
	s_lshl_b64 s[6:7], s[6:7], 2
	s_add_u32 s6, s70, s6
	s_addc_u32 s7, s71, s7
	v_mov_b32_e32 v0, 0
	global_load_dword v0, v0, s[6:7]
	s_waitcnt vmcnt(0)
	v_ashrrev_i32_e32 v1, 31, v0
	v_lshrrev_b32_e32 v1, 26, v1
	v_add_u32_e32 v0, v0, v1
	v_ashrrev_i32_e32 v0, 6, v0
	v_min_i32_e32 v32, s40, v0
.LBB29_328:
	v_readlane_b32 s10, v254, 8
	v_readlane_b32 s11, v254, 9
	s_mul_i32 s5, s12, s11
	s_ashr_i32 s6, s5, 31
	s_add_u32 s5, s60, s5
	s_mul_i32 s16, s16, s10
	s_addc_u32 s7, s61, s6
	s_ashr_i32 s9, s16, 31
	s_add_u32 s6, s5, s16
	s_addc_u32 s7, s7, s9
	s_lshl_b32 s9, s4, 5
	v_readlane_b32 s16, v254, 10
	v_add_u32_e32 v37, s9, v165
	s_mov_b32 s72, s16
	v_and_b32_e32 v64, 0x3ff, v19
	v_cmp_le_i32_e32 vcc, s72, v37
	v_readlane_b32 s17, v254, 11
	v_readlane_b32 s18, v254, 12
	;; [unrolled: 1-line block ×3, first 2 shown]
	s_and_saveexec_b64 s[4:5], vcc
	s_xor_b64 s[4:5], exec, s[4:5]
	s_cbranch_execz .LBB29_330
; %bb.329:
	s_movk_i32 s10, 0x84
	v_mad_u32_u24 v0, v165, s10, v64
	v_lshl_add_u32 v0, v0, 2, 0
	v_mov_b32_e32 v1, 0
	ds_write2st64_b32 v0, v1, v1 offset1:1
.LBB29_330:
	s_andn2_saveexec_b64 s[4:5], s[4:5]
	s_cbranch_execz .LBB29_332
; %bb.331:
	v_readlane_b32 s10, v254, 23
	v_mad_u64_u32 v[0:1], s[10:11], v37, s10, v[64:65]
	v_ashrrev_i32_e32 v1, 31, v0
	v_lshlrev_b64 v[0:1], 3, v[0:1]
	v_mov_b32_e32 v2, s7
	v_add_co_u32_e32 v0, vcc, s6, v0
	v_addc_co_u32_e32 v1, vcc, v2, v1, vcc
	global_load_dwordx2 v[2:3], v[0:1], off
	global_load_dwordx2 v[4:5], v[0:1], off offset:512
	s_movk_i32 s10, 0x84
	s_waitcnt vmcnt(1)
	v_cvt_f16_f32_e32 v0, v2
	v_cvt_f16_f32_e32 v1, v3
	s_waitcnt vmcnt(0)
	v_cvt_f16_f32_e32 v2, v4
	v_cvt_f16_f32_e32 v3, v5
	v_mad_u32_u24 v4, v165, s10, v64
	v_pack_b32_f16 v0, v0, v1
	v_lshl_add_u32 v4, v4, 2, 0
	v_pack_b32_f16 v1, v2, v3
	v_pk_mul_f16 v0, v166, v0
	v_pk_mul_f16 v1, v166, v1
	ds_write2st64_b32 v4, v0, v1 offset1:1
.LBB29_332:
	s_or_b64 exec, exec, s[4:5]
	v_add_u32_e32 v38, s9, v191
	v_cmp_le_i32_e32 vcc, s72, v38
	s_and_saveexec_b64 s[4:5], vcc
	s_xor_b64 s[4:5], exec, s[4:5]
	s_cbranch_execz .LBB29_334
; %bb.333:
	s_movk_i32 s10, 0x84
	v_mad_u32_u24 v0, v191, s10, v64
	v_lshl_add_u32 v0, v0, 2, 0
	v_mov_b32_e32 v1, 0
	ds_write2st64_b32 v0, v1, v1 offset1:1
                                        ; implicit-def: $vgpr191
.LBB29_334:
	s_andn2_saveexec_b64 s[4:5], s[4:5]
	s_cbranch_execz .LBB29_336
; %bb.335:
	v_readlane_b32 s10, v254, 23
	v_mad_u64_u32 v[0:1], s[10:11], v38, s10, v[64:65]
	v_ashrrev_i32_e32 v1, 31, v0
	v_lshlrev_b64 v[0:1], 3, v[0:1]
	v_mov_b32_e32 v2, s7
	v_add_co_u32_e32 v0, vcc, s6, v0
	v_addc_co_u32_e32 v1, vcc, v2, v1, vcc
	global_load_dwordx2 v[2:3], v[0:1], off
	global_load_dwordx2 v[4:5], v[0:1], off offset:512
	s_movk_i32 s10, 0x84
	s_waitcnt vmcnt(1)
	v_cvt_f16_f32_e32 v0, v2
	v_cvt_f16_f32_e32 v1, v3
	s_waitcnt vmcnt(0)
	v_cvt_f16_f32_e32 v2, v4
	v_cvt_f16_f32_e32 v3, v5
	v_mad_u32_u24 v4, v191, s10, v64
	v_pack_b32_f16 v0, v0, v1
	v_lshl_add_u32 v4, v4, 2, 0
	v_pack_b32_f16 v1, v2, v3
	v_pk_mul_f16 v0, v166, v0
	v_pk_mul_f16 v1, v166, v1
	ds_write2st64_b32 v4, v0, v1 offset1:1
.LBB29_336:
	s_or_b64 exec, exec, s[4:5]
	v_add_u32_e32 v39, s9, v190
	v_cmp_le_i32_e32 vcc, s72, v39
	s_and_saveexec_b64 s[4:5], vcc
	s_xor_b64 s[4:5], exec, s[4:5]
	s_cbranch_execz .LBB29_338
; %bb.337:
	s_movk_i32 s10, 0x84
	v_mad_u32_u24 v0, v190, s10, v64
	v_lshl_add_u32 v0, v0, 2, 0
	v_mov_b32_e32 v1, 0
	ds_write2st64_b32 v0, v1, v1 offset1:1
                                        ; implicit-def: $vgpr190
.LBB29_338:
	s_andn2_saveexec_b64 s[4:5], s[4:5]
	s_cbranch_execz .LBB29_340
; %bb.339:
	v_readlane_b32 s10, v254, 23
	v_mad_u64_u32 v[0:1], s[10:11], v39, s10, v[64:65]
	v_ashrrev_i32_e32 v1, 31, v0
	v_lshlrev_b64 v[0:1], 3, v[0:1]
	v_mov_b32_e32 v2, s7
	v_add_co_u32_e32 v0, vcc, s6, v0
	v_addc_co_u32_e32 v1, vcc, v2, v1, vcc
	global_load_dwordx2 v[2:3], v[0:1], off
	global_load_dwordx2 v[4:5], v[0:1], off offset:512
	s_movk_i32 s10, 0x84
	s_waitcnt vmcnt(1)
	v_cvt_f16_f32_e32 v0, v2
	v_cvt_f16_f32_e32 v1, v3
	s_waitcnt vmcnt(0)
	v_cvt_f16_f32_e32 v2, v4
	v_cvt_f16_f32_e32 v3, v5
	v_mad_u32_u24 v4, v190, s10, v64
	v_pack_b32_f16 v0, v0, v1
	v_lshl_add_u32 v4, v4, 2, 0
	v_pack_b32_f16 v1, v2, v3
	v_pk_mul_f16 v0, v166, v0
	v_pk_mul_f16 v1, v166, v1
	ds_write2st64_b32 v4, v0, v1 offset1:1
.LBB29_340:
	s_or_b64 exec, exec, s[4:5]
	v_add_u32_e32 v42, s9, v187
	v_cmp_le_i32_e32 vcc, s72, v42
	s_and_saveexec_b64 s[4:5], vcc
	s_xor_b64 s[4:5], exec, s[4:5]
	s_cbranch_execz .LBB29_342
; %bb.341:
	s_movk_i32 s10, 0x84
	v_mad_u32_u24 v0, v187, s10, v64
	v_lshl_add_u32 v0, v0, 2, 0
	v_mov_b32_e32 v1, 0
	ds_write2st64_b32 v0, v1, v1 offset1:1
                                        ; implicit-def: $vgpr187
.LBB29_342:
	s_andn2_saveexec_b64 s[4:5], s[4:5]
	s_cbranch_execz .LBB29_344
; %bb.343:
	v_readlane_b32 s10, v254, 23
	v_mad_u64_u32 v[0:1], s[10:11], v42, s10, v[64:65]
	v_ashrrev_i32_e32 v1, 31, v0
	v_lshlrev_b64 v[0:1], 3, v[0:1]
	v_mov_b32_e32 v2, s7
	v_add_co_u32_e32 v0, vcc, s6, v0
	v_addc_co_u32_e32 v1, vcc, v2, v1, vcc
	global_load_dwordx2 v[2:3], v[0:1], off
	global_load_dwordx2 v[4:5], v[0:1], off offset:512
	s_movk_i32 s10, 0x84
	s_waitcnt vmcnt(1)
	v_cvt_f16_f32_e32 v0, v2
	v_cvt_f16_f32_e32 v1, v3
	s_waitcnt vmcnt(0)
	v_cvt_f16_f32_e32 v2, v4
	v_cvt_f16_f32_e32 v3, v5
	v_mad_u32_u24 v4, v187, s10, v64
	v_pack_b32_f16 v0, v0, v1
	v_lshl_add_u32 v4, v4, 2, 0
	v_pack_b32_f16 v1, v2, v3
	v_pk_mul_f16 v0, v166, v0
	v_pk_mul_f16 v1, v166, v1
	ds_write2st64_b32 v4, v0, v1 offset1:1
.LBB29_344:
	s_or_b64 exec, exec, s[4:5]
	v_add_u32_e32 v112, s9, v186
	v_cmp_le_i32_e32 vcc, s72, v112
	s_and_saveexec_b64 s[4:5], vcc
	s_xor_b64 s[4:5], exec, s[4:5]
	s_cbranch_execz .LBB29_346
; %bb.345:
	s_movk_i32 s10, 0x84
	v_mad_u32_u24 v0, v186, s10, v64
	v_lshl_add_u32 v0, v0, 2, 0
	v_mov_b32_e32 v1, 0
	ds_write2st64_b32 v0, v1, v1 offset1:1
                                        ; implicit-def: $vgpr186
.LBB29_346:
	s_andn2_saveexec_b64 s[4:5], s[4:5]
	s_cbranch_execz .LBB29_348
; %bb.347:
	v_readlane_b32 s10, v254, 23
	v_mad_u64_u32 v[0:1], s[10:11], v112, s10, v[64:65]
	v_ashrrev_i32_e32 v1, 31, v0
	v_lshlrev_b64 v[0:1], 3, v[0:1]
	v_mov_b32_e32 v2, s7
	v_add_co_u32_e32 v0, vcc, s6, v0
	v_addc_co_u32_e32 v1, vcc, v2, v1, vcc
	global_load_dwordx2 v[2:3], v[0:1], off
	global_load_dwordx2 v[4:5], v[0:1], off offset:512
	s_movk_i32 s10, 0x84
	s_waitcnt vmcnt(1)
	v_cvt_f16_f32_e32 v0, v2
	v_cvt_f16_f32_e32 v1, v3
	s_waitcnt vmcnt(0)
	v_cvt_f16_f32_e32 v2, v4
	v_cvt_f16_f32_e32 v3, v5
	v_mad_u32_u24 v4, v186, s10, v64
	v_pack_b32_f16 v0, v0, v1
	v_lshl_add_u32 v4, v4, 2, 0
	v_pack_b32_f16 v1, v2, v3
	v_pk_mul_f16 v0, v166, v0
	v_pk_mul_f16 v1, v166, v1
	ds_write2st64_b32 v4, v0, v1 offset1:1
.LBB29_348:
	s_or_b64 exec, exec, s[4:5]
	v_add_u32_e32 v104, s9, v181
	v_cmp_le_i32_e32 vcc, s72, v104
	s_and_saveexec_b64 s[4:5], vcc
	s_xor_b64 s[4:5], exec, s[4:5]
	s_cbranch_execz .LBB29_350
; %bb.349:
	s_movk_i32 s10, 0x84
	v_mad_u32_u24 v0, v181, s10, v64
	v_lshl_add_u32 v0, v0, 2, 0
	v_mov_b32_e32 v1, 0
	ds_write2st64_b32 v0, v1, v1 offset1:1
                                        ; implicit-def: $vgpr181
.LBB29_350:
	s_andn2_saveexec_b64 s[4:5], s[4:5]
	s_cbranch_execz .LBB29_352
; %bb.351:
	v_readlane_b32 s10, v254, 23
	v_mad_u64_u32 v[0:1], s[10:11], v104, s10, v[64:65]
	v_ashrrev_i32_e32 v1, 31, v0
	v_lshlrev_b64 v[0:1], 3, v[0:1]
	v_mov_b32_e32 v2, s7
	v_add_co_u32_e32 v0, vcc, s6, v0
	v_addc_co_u32_e32 v1, vcc, v2, v1, vcc
	global_load_dwordx2 v[2:3], v[0:1], off
	global_load_dwordx2 v[4:5], v[0:1], off offset:512
	s_movk_i32 s10, 0x84
	s_waitcnt vmcnt(1)
	v_cvt_f16_f32_e32 v0, v2
	v_cvt_f16_f32_e32 v1, v3
	s_waitcnt vmcnt(0)
	v_cvt_f16_f32_e32 v2, v4
	v_cvt_f16_f32_e32 v3, v5
	v_mad_u32_u24 v4, v181, s10, v64
	v_pack_b32_f16 v0, v0, v1
	v_lshl_add_u32 v4, v4, 2, 0
	v_pack_b32_f16 v1, v2, v3
	v_pk_mul_f16 v0, v166, v0
	v_pk_mul_f16 v1, v166, v1
	ds_write2st64_b32 v4, v0, v1 offset1:1
.LBB29_352:
	s_or_b64 exec, exec, s[4:5]
	v_add_u32_e32 v100, s9, v180
	v_cmp_le_i32_e32 vcc, s72, v100
	s_and_saveexec_b64 s[4:5], vcc
	s_xor_b64 s[4:5], exec, s[4:5]
	s_cbranch_execz .LBB29_354
; %bb.353:
	s_movk_i32 s10, 0x84
	v_mad_u32_u24 v0, v180, s10, v64
	v_lshl_add_u32 v0, v0, 2, 0
	v_mov_b32_e32 v1, 0
	ds_write2st64_b32 v0, v1, v1 offset1:1
                                        ; implicit-def: $vgpr180
.LBB29_354:
	s_andn2_saveexec_b64 s[4:5], s[4:5]
	s_cbranch_execz .LBB29_356
; %bb.355:
	v_readlane_b32 s10, v254, 23
	v_mad_u64_u32 v[0:1], s[10:11], v100, s10, v[64:65]
	v_ashrrev_i32_e32 v1, 31, v0
	v_lshlrev_b64 v[0:1], 3, v[0:1]
	v_mov_b32_e32 v2, s7
	v_add_co_u32_e32 v0, vcc, s6, v0
	v_addc_co_u32_e32 v1, vcc, v2, v1, vcc
	global_load_dwordx2 v[2:3], v[0:1], off
	global_load_dwordx2 v[4:5], v[0:1], off offset:512
	s_movk_i32 s10, 0x84
	s_waitcnt vmcnt(1)
	v_cvt_f16_f32_e32 v0, v2
	v_cvt_f16_f32_e32 v1, v3
	s_waitcnt vmcnt(0)
	v_cvt_f16_f32_e32 v2, v4
	v_cvt_f16_f32_e32 v3, v5
	v_mad_u32_u24 v4, v180, s10, v64
	v_pack_b32_f16 v0, v0, v1
	v_lshl_add_u32 v4, v4, 2, 0
	v_pack_b32_f16 v1, v2, v3
	v_pk_mul_f16 v0, v166, v0
	v_pk_mul_f16 v1, v166, v1
	ds_write2st64_b32 v4, v0, v1 offset1:1
.LBB29_356:
	s_or_b64 exec, exec, s[4:5]
	v_add_u32_e32 v118, s9, v171
	v_cmp_le_i32_e32 vcc, s72, v118
	s_and_saveexec_b64 s[4:5], vcc
	s_xor_b64 s[4:5], exec, s[4:5]
	s_cbranch_execz .LBB29_358
; %bb.357:
	s_movk_i32 s9, 0x84
	v_mad_u32_u24 v0, v171, s9, v64
	v_lshl_add_u32 v0, v0, 2, 0
	v_mov_b32_e32 v1, 0
	ds_write2st64_b32 v0, v1, v1 offset1:1
                                        ; implicit-def: $vgpr166
                                        ; implicit-def: $vgpr171
.LBB29_358:
	s_andn2_saveexec_b64 s[4:5], s[4:5]
	s_cbranch_execz .LBB29_360
; %bb.359:
	v_readlane_b32 s9, v254, 23
	v_mad_u64_u32 v[0:1], s[10:11], v118, s9, v[64:65]
	v_ashrrev_i32_e32 v1, 31, v0
	v_lshlrev_b64 v[0:1], 3, v[0:1]
	v_mov_b32_e32 v2, s7
	v_add_co_u32_e32 v0, vcc, s6, v0
	v_addc_co_u32_e32 v1, vcc, v2, v1, vcc
	global_load_dwordx2 v[2:3], v[0:1], off
	global_load_dwordx2 v[4:5], v[0:1], off offset:512
	s_movk_i32 s6, 0x84
	s_waitcnt vmcnt(1)
	v_cvt_f16_f32_e32 v0, v2
	v_cvt_f16_f32_e32 v1, v3
	s_waitcnt vmcnt(0)
	v_cvt_f16_f32_e32 v2, v4
	v_cvt_f16_f32_e32 v3, v5
	v_mad_u32_u24 v4, v171, s6, v64
	v_pack_b32_f16 v0, v0, v1
	v_lshl_add_u32 v4, v4, 2, 0
	v_pack_b32_f16 v1, v2, v3
	v_pk_mul_f16 v0, v166, v0
	v_pk_mul_f16 v1, v166, v1
	ds_write2st64_b32 v4, v0, v1 offset1:1
.LBB29_360:
	s_or_b64 exec, exec, s[4:5]
	v_readlane_b32 s6, v254, 19
	v_lshrrev_b32_e32 v1, 3, v64
	v_readlane_b32 s7, v254, 20
	v_and_b32_e32 v33, 0x1ff0, v91
	s_movk_i32 s40, 0x210
	v_and_b32_e32 v101, 15, v64
	v_and_b32_e32 v93, 0x7e, v1
	s_mul_i32 s4, s12, s7
	s_mul_hi_u32 s5, s12, s6
	v_mad_u32_u24 v0, v33, s40, 0
	v_mul_u32_u24_e32 v49, 0x210, v101
	v_lshlrev_b32_e32 v80, 2, v93
	s_add_i32 s4, s5, s4
	s_mul_i32 s5, s14, s6
	v_readlane_b32 s16, v254, 26
	v_add3_u32 v0, v0, v49, v80
	s_add_i32 s4, s4, s5
	s_mul_i32 s5, s12, s6
	v_readlane_b32 s19, v254, 29
	s_waitcnt lgkmcnt(0)
	s_barrier
	ds_read2_b64 v[28:31], v0 offset1:4
	ds_read2_b64 v[24:27], v0 offset0:8 offset1:12
	ds_read2_b64 v[20:23], v0 offset0:16 offset1:20
	;; [unrolled: 1-line block ×7, first 2 shown]
	s_add_u32 s5, s64, s5
	s_mul_i32 s6, s13, s19
	s_addc_u32 s4, s65, s4
	s_ashr_i32 s7, s6, 31
	v_readlane_b32 s17, v254, 27
	s_add_u32 s9, s5, s6
	s_addc_u32 s33, s4, s7
	s_mul_i32 s4, s12, s17
	s_mul_hi_u32 s5, s12, s16
	s_add_i32 s4, s5, s4
	s_mul_i32 s14, s14, s16
	v_readlane_b32 s6, v254, 24
	s_add_i32 s4, s4, s14
	s_mul_i32 s12, s12, s16
	v_readlane_b32 s7, v254, 25
	s_add_u32 s5, s62, s12
	s_mul_i32 s13, s13, s7
	s_addc_u32 s4, s63, s4
	s_ashr_i32 s6, s13, 31
	v_add_u32_e32 v120, -1, v32
	s_add_u32 s44, s5, s13
	v_cmp_ge_i32_e32 vcc, s58, v120
	s_addc_u32 s45, s4, s6
	s_mov_b32 s47, 0
	s_and_b64 vcc, exec, vcc
	v_mov_b32_e32 v94, 0
	v_or_b32_e32 v63, v33, v101
	v_lshlrev_b32_e32 v35, 1, v64
	v_mbcnt_lo_u32_b32 v51, -1, 0
	v_lshrrev_b32_e32 v44, 5, v64
	v_lshlrev_b32_e32 v65, 2, v64
	v_lshrrev_b32_e32 v50, 2, v64
	v_and_b32_e32 v103, 8, v91
	v_lshlrev_b32_e32 v102, 1, v101
	v_readlane_b32 s18, v254, 28
	s_waitcnt lgkmcnt(0)
	s_barrier
	s_cbranch_vccnz .LBB29_372
; %bb.361:
	v_readlane_b32 s10, v254, 14
	v_mul_hi_u32 v41, s10, v112
	v_readlane_b32 s11, v254, 15
	v_add_u32_e32 v41, v112, v41
	v_lshrrev_b32_e32 v41, s11, v41
	v_mul_lo_u32 v41, v41, s72
	v_sub_u32_e32 v41, v112, v41
	v_mad_i64_i32 v[52:53], s[6:7], v41, s92, 0
	v_mul_hi_u32 v41, s10, v104
	v_add_u32_e32 v41, v104, v41
	v_lshrrev_b32_e32 v41, s11, v41
	v_mul_lo_u32 v41, v41, s72
	v_sub_u32_e32 v41, v104, v41
	v_mad_i64_i32 v[54:55], s[6:7], v41, s92, 0
	v_mul_hi_u32 v41, s10, v100
	v_add_u32_e32 v41, v100, v41
	v_mul_u32_u24_e32 v34, 0x90, v165
	v_lshrrev_b32_e32 v41, s11, v41
	v_add3_u32 v124, 0, v34, v35
	v_mul_hi_u32 v34, s10, v38
	v_mul_lo_u32 v41, v41, s72
	v_add_u32_e32 v34, v38, v34
	v_sub_u32_e32 v41, v100, v41
	v_lshrrev_b32_e32 v34, s11, v34
	v_mad_i64_i32 v[56:57], s[6:7], v41, s92, 0
	v_mul_hi_u32 v41, s10, v118
	v_mul_lo_u32 v34, v34, s72
	v_add_u32_e32 v41, v118, v41
	v_accvgpr_write_b32 a18, v38
	v_sub_u32_e32 v34, v38, v34
	v_mul_hi_u32 v38, s10, v42
	v_lshrrev_b32_e32 v41, s11, v41
	v_add_u32_e32 v38, v42, v38
	v_mul_lo_u32 v41, v41, s72
	v_lshrrev_b32_e32 v38, s11, v38
	v_sub_u32_e32 v41, v118, v41
	v_mul_lo_u32 v38, v38, s72
	v_mad_i64_i32 v[58:59], s[6:7], v41, s92, 0
	v_mbcnt_hi_u32_b32 v41, -1, v51
	v_mov_b32_e32 v32, s49
	v_add_co_u32_e32 v122, vcc, s48, v35
	v_accvgpr_write_b32 a22, v42
	v_sub_u32_e32 v38, v42, v38
	v_and_b32_e32 v42, 64, v41
	v_addc_co_u32_e32 v123, vcc, 0, v32, vcc
	v_add_u32_e32 v42, 64, v42
	v_xor_b32_e32 v43, 32, v41
	v_cmp_lt_i32_e32 vcc, v43, v42
	v_cndmask_b32_e32 v43, v41, v43, vcc
	v_lshlrev_b32_e32 v132, 2, v43
	v_xor_b32_e32 v43, 16, v41
	v_cmp_lt_i32_e32 vcc, v43, v42
	v_cndmask_b32_e32 v41, v41, v43, vcc
	s_cmp_lg_u64 s[48:49], 0
	v_lshlrev_b32_e32 v133, 2, v41
	v_lshl_add_u32 v41, v165, 1, v44
	s_cselect_b64 s[50:51], -1, 0
	v_accvgpr_write_b32 a21, v80
	v_add3_u32 v96, 0, v49, v80
	v_mul_lo_u32 v80, s8, v41
	s_lshl_b32 s54, s8, 3
	v_mul_hi_u32 v32, s10, v37
	v_mul_hi_u32 v36, s10, v39
	v_mul_lo_u32 v60, s46, v41
	s_lshl_b32 s23, s46, 3
	v_add_u32_e32 v82, s54, v80
	v_add_u32_e32 v32, v37, v32
	;; [unrolled: 1-line block ×3, first 2 shown]
	v_and_b32_e32 v62, 0x7c, v65
	v_add_u32_e32 v66, s23, v60
	v_add_u32_e32 v84, s54, v82
	v_lshrrev_b32_e32 v32, s11, v32
	v_lshrrev_b32_e32 v36, s11, v36
	v_mul_u32_u24_e32 v42, 0x210, v41
	v_lshlrev_b32_e32 v43, 2, v62
	v_add_u32_e32 v68, s23, v66
	v_add_u32_e32 v86, s54, v84
	v_mul_lo_u32 v32, v32, s72
	v_mul_lo_u32 v36, v36, s72
	v_add3_u32 v134, 0, v42, v43
	v_add_u32_e32 v70, s23, v68
	v_and_b32_e32 v42, 16, v90
	v_and_b32_e32 v43, 0xfc, v50
	v_add_u32_e32 v88, s54, v86
	v_sub_u32_e32 v32, v37, v32
	s_movk_i32 s22, 0x90
	v_sub_u32_e32 v36, v39, v36
	v_accvgpr_write_b32 a23, v44
	v_add_u32_e32 v72, s23, v70
	v_accvgpr_write_b32 a9, v90
	v_mul_u32_u24_e32 v97, 0x210, v42
	v_add_u32_e32 v44, v42, v43
	v_add_u16_e32 v42, v42, v43
	v_add_u32_e32 v90, s54, v88
	v_accvgpr_write_b32 a11, v92
	v_accvgpr_write_b32 a16, v37
	v_mad_i64_i32 v[32:33], s[6:7], v32, s92, 0
	v_accvgpr_write_b32 a24, v35
	v_mad_i64_i32 v[34:35], s[6:7], v34, s92, 0
	;; [unrolled: 2-line block ×3, first 2 shown]
	v_mad_i64_i32 v[38:39], s[6:7], v38, s92, 0
	v_add_u32_e32 v74, s23, v72
	v_mad_u32_u24 v45, v63, s22, 0
	v_lshrrev_b16_e32 v42, 1, v42
	v_add_u32_e32 v92, s54, v90
	v_cmp_gt_u32_e64 s[6:7], 64, v41
	v_cmp_gt_u32_e64 s[42:43], 56, v41
	v_cmp_gt_u32_e64 s[10:11], 48, v41
	v_cmp_gt_u32_e64 s[12:13], 40, v41
	v_cmp_gt_u32_e64 s[14:15], 32, v41
	v_cmp_gt_u32_e64 s[16:17], 24, v41
	v_cmp_gt_u32_e64 s[18:19], 16, v41
	v_add_u32_e32 v76, s23, v74
	v_cmp_gt_u32_e64 s[20:21], 8, v41
	v_lshl_add_u32 v98, v42, 2, v45
	v_lshl_add_u32 v42, v44, 1, v45
	v_add_u32_e32 v94, s54, v92
	v_mul_u32_u24_e32 v41, 0x108, v43
	s_movk_i32 s54, 0x420
	v_add_u32_e32 v78, s23, v76
	v_add_u32_e32 v142, 64, v42
	;; [unrolled: 1-line block ×3, first 2 shown]
	v_cmp_gt_u32_e64 s[22:23], 64, v44
	v_cmp_gt_u32_e64 s[24:25], 63, v44
	;; [unrolled: 1-line block ×8, first 2 shown]
	v_or_b32_e32 v41, v41, v101
	v_mul_u32_u24_e32 v42, 0x210, v43
	v_or_b32_e32 v44, 3, v50
	v_mul_u32_u24_e32 v45, 0x420, v103
	v_mad_u32_u24 v46, v103, s54, 0
	v_mul_u32_u24_e32 v44, 0x210, v44
	v_lshlrev_b32_e32 v41, 1, v41
	v_add3_u32 v145, v46, v42, v102
	v_add3_u32 v42, 0, 32, v45
	v_add_u32_e32 v144, v46, v41
	v_add3_u32 v146, v46, v44, v102
	v_add_u32_e32 v149, v42, v41
	v_mad_u32_u24 v46, v43, s40, v42
	v_add3_u32 v152, v42, v44, v102
	v_add3_u32 v42, 0, 64, v45
	s_add_i32 s55, 0, 0x60
	v_add_u32_e32 v154, v42, v41
	v_mad_u32_u24 v45, v43, s40, v42
	v_add3_u32 v157, v42, v44, v102
	v_mov_b32_e32 v42, s55
	s_movk_i32 s41, 0x4200
	v_mad_u32_u24 v42, v103, s54, v42
	s_add_i32 s55, 0, 0x80
	v_add3_u32 v155, v45, v102, s41
	v_add_u32_e32 v159, v42, v41
	v_mad_u32_u24 v45, v43, s40, v42
	v_add3_u32 v162, v42, v44, v102
	v_mov_b32_e32 v42, s55
	v_mad_u32_u24 v42, v103, s54, v42
	s_add_i32 s55, 0, 0xa0
	v_add3_u32 v160, v45, v102, s41
	v_add_u32_e32 v164, v42, v41
	v_mad_u32_u24 v45, v43, s40, v42
	v_add3_u32 v167, v42, v44, v102
	v_mov_b32_e32 v42, s55
	;; [unrolled: 7-line block ×12, first 2 shown]
	v_mad_u32_u24 v42, v103, s54, v42
	v_accvgpr_write_b32 a13, v93
	v_accvgpr_write_b32 a10, v91
	s_mov_b64 s[52:53], src_private_base
	v_ashrrev_i32_e32 v61, 31, v60
	v_ashrrev_i32_e32 v67, 31, v66
	;; [unrolled: 1-line block ×16, first 2 shown]
	v_add_u32_e32 v219, v42, v41
	v_mad_u32_u24 v41, v43, s40, v42
	v_cmp_lt_u32_e64 s[4:5], 63, v64
	v_mov_b32_e32 v121, 0
	v_add_u32_e32 v125, 0x240, v124
	v_add_u32_e32 v107, 0x480, v124
	;; [unrolled: 1-line block ×7, first 2 shown]
	s_mov_b32 s52, 0
	v_accvgpr_write_b32 a15, v51
	v_add_u32_e32 v135, 0x1080, v134
	v_add_u32_e32 v136, 0x2100, v134
	;; [unrolled: 1-line block ×7, first 2 shown]
	v_accvgpr_write_b32 a20, v49
	v_accvgpr_write_b32 a17, v63
	;; [unrolled: 1-line block ×4, first 2 shown]
	v_add_u32_e32 v147, 0x4200, v145
	v_add_u32_e32 v148, 32, v145
	v_add3_u32 v150, v46, v102, s41
	v_add_u32_e32 v151, 0x4200, v149
	v_add_u32_e32 v153, 64, v145
	;; [unrolled: 1-line block ×26, first 2 shown]
	v_add3_u32 v215, v45, v102, s41
	v_add_u32_e32 v216, 0x4200, v214
	v_add_u32_e32 v218, 0x1e0, v145
	v_add3_u32 v220, v41, v102, s41
	v_add_u32_e32 v221, 0x4200, v219
	v_add3_u32 v222, v42, v44, v102
	v_mov_b32_e32 v42, v40
	v_mov_b32_e32 v43, v40
	s_lshl_b32 s54, s58, 6
	v_mov_b32_e32 v101, 0xfeffffff
	v_lshlrev_b64 v[44:45], 1, v[32:33]
	v_lshlrev_b64 v[46:47], 1, v[34:35]
	;; [unrolled: 1-line block ×9, first 2 shown]
	v_lshlrev_b32_e32 v223, 2, v62
	v_lshlrev_b64 v[62:63], 2, v[66:67]
	v_lshlrev_b64 v[66:67], 2, v[68:69]
	;; [unrolled: 1-line block ×7, first 2 shown]
	v_add_u32_e32 v224, v96, v97
	v_add_u32_e32 v225, 0x8400, v98
	s_mov_b32 s59, 0x3fb8aa3b
	s_mov_b32 s60, 0xc2ce8ed0
	;; [unrolled: 1-line block ×4, first 2 shown]
	v_lshlrev_b64 v[78:79], 2, v[80:81]
	v_lshlrev_b64 v[80:81], 2, v[82:83]
	;; [unrolled: 1-line block ×8, first 2 shown]
	s_mov_b32 s63, 0x5040100
	v_mov_b32_e32 v226, 0x7f800000
	v_mov_b32_e32 v105, 0
	;; [unrolled: 1-line block ×34, first 2 shown]
.LBB29_362:                             ; =>This Inner Loop Header: Depth=1
	v_cndmask_b32_e64 v32, 0, 1, s[50:51]
	v_cmp_ne_u32_e64 s[40:41], 1, v32
	s_andn2_b64 vcc, exec, s[50:51]
	s_ashr_i32 s55, s54, 31
	s_cbranch_vccnz .LBB29_368
; %bb.363:                              ;   in Loop: Header=BB29_362 Depth=1
                                        ; implicit-def: $sgpr64
	s_and_saveexec_b64 s[56:57], s[4:5]
	s_xor_b64 s[56:57], exec, s[56:57]
	s_cbranch_execz .LBB29_365
; %bb.364:                              ;   in Loop: Header=BB29_362 Depth=1
	ds_write_b16 v124, v121 offset:33792
	ds_write_b16 v125, v121 offset:33792
	;; [unrolled: 1-line block ×4, first 2 shown]
	s_mov_b32 s64, 0
.LBB29_365:                             ;   in Loop: Header=BB29_362 Depth=1
	s_or_saveexec_b64 s[56:57], s[56:57]
	v_mov_b32_e32 v32, s64
	v_mov_b32_e32 v33, s64
	v_mov_b32_e32 v34, s64
	v_mov_b32_e32 v35, s64
	s_xor_b64 exec, exec, s[56:57]
	s_cbranch_execz .LBB29_367
; %bb.366:                              ;   in Loop: Header=BB29_362 Depth=1
	s_lshl_b64 s[64:65], s[54:55], 1
	v_add_co_u32_e32 v36, vcc, s64, v122
	v_mov_b32_e32 v32, s65
	v_addc_co_u32_e32 v37, vcc, v123, v32, vcc
	v_add_co_u32_e32 v32, vcc, v36, v44
	v_addc_co_u32_e32 v33, vcc, v37, v45, vcc
	flat_load_ushort v34, v[32:33]
	v_add_co_u32_e32 v32, vcc, v36, v46
	v_addc_co_u32_e32 v33, vcc, v37, v47, vcc
	flat_load_ushort v35, v[32:33]
	;; [unrolled: 3-line block ×4, first 2 shown]
	s_waitcnt vmcnt(0) lgkmcnt(0)
	ds_write_b16 v124, v34 offset:33792
	ds_write_b16 v125, v35 offset:33792
	;; [unrolled: 1-line block ×4, first 2 shown]
	v_add_co_u32_e32 v32, vcc, v36, v52
	v_addc_co_u32_e32 v33, vcc, v37, v53, vcc
	v_add_co_u32_e32 v34, vcc, v36, v54
	v_addc_co_u32_e32 v35, vcc, v37, v55, vcc
	flat_load_ushort v32, v[32:33]
	s_nop 0
	flat_load_ushort v33, v[34:35]
	v_add_co_u32_e32 v34, vcc, v36, v56
	v_addc_co_u32_e32 v35, vcc, v37, v57, vcc
	v_add_co_u32_e32 v36, vcc, v36, v58
	v_addc_co_u32_e32 v37, vcc, v37, v59, vcc
	flat_load_ushort v34, v[34:35]
	s_nop 0
	flat_load_ushort v35, v[36:37]
.LBB29_367:                             ;   in Loop: Header=BB29_362 Depth=1
	s_or_b64 exec, exec, s[56:57]
	s_waitcnt vmcnt(0) lgkmcnt(0)
	ds_write_b16 v128, v32 offset:33792
	ds_write_b16 v129, v33 offset:33792
	ds_write_b16 v130, v34 offset:33792
	ds_write_b16 v131, v35 offset:33792
.LBB29_368:                             ;   in Loop: Header=BB29_362 Depth=1
	s_mul_hi_i32 s57, s54, s46
	s_mul_i32 s56, s54, s46
	s_lshl_b64 s[56:57], s[56:57], 2
	s_add_u32 s55, s44, s56
	s_addc_u32 s56, s45, s57
	v_mov_b32_e32 v32, s56
	v_add_co_u32_e32 v33, vcc, s55, v60
	v_addc_co_u32_e32 v32, vcc, v32, v61, vcc
	v_add_co_u32_e32 v34, vcc, v33, v223
	v_addc_co_u32_e32 v32, vcc, 0, v32, vcc
	v_mov_b32_e32 v38, s53
	v_mov_b32_e32 v39, s52
	buffer_store_dword v121, off, s[0:3], 0
	buffer_store_dword v121, off, s[0:3], 0 offset:4
	buffer_store_dword v121, off, s[0:3], 0 offset:8
	;; [unrolled: 1-line block ×3, first 2 shown]
	v_cndmask_b32_e64 v33, v38, v32, s[6:7]
	v_cndmask_b32_e64 v32, v39, v34, s[6:7]
	flat_load_dwordx4 v[32:35], v[32:33]
	v_mov_b32_e32 v36, s56
	v_add_co_u32_e32 v37, vcc, s55, v62
	v_addc_co_u32_e32 v36, vcc, v36, v63, vcc
	v_add_co_u32_e32 v37, vcc, v37, v223
	v_addc_co_u32_e32 v41, vcc, 0, v36, vcc
	v_cndmask_b32_e64 v36, v39, v37, s[42:43]
	v_cndmask_b32_e64 v37, v38, v41, s[42:43]
	s_waitcnt vmcnt(0) lgkmcnt(0)
	ds_write_b128 v134, v[32:35]
	flat_load_dwordx4 v[32:35], v[36:37]
	v_mov_b32_e32 v36, s56
	v_add_co_u32_e32 v37, vcc, s55, v66
	v_addc_co_u32_e32 v36, vcc, v36, v67, vcc
	v_add_co_u32_e32 v37, vcc, v37, v223
	v_addc_co_u32_e32 v41, vcc, 0, v36, vcc
	v_cndmask_b32_e64 v36, v39, v37, s[10:11]
	v_cndmask_b32_e64 v37, v38, v41, s[10:11]
	s_waitcnt vmcnt(0) lgkmcnt(0)
	ds_write_b128 v135, v[32:35]
	;; [unrolled: 10-line block ×6, first 2 shown]
	flat_load_dwordx4 v[32:35], v[36:37]
	v_mov_b32_e32 v36, s56
	v_add_co_u32_e32 v37, vcc, s55, v76
	v_addc_co_u32_e32 v36, vcc, v36, v77, vcc
	v_add_co_u32_e32 v37, vcc, v37, v223
	v_addc_co_u32_e32 v41, vcc, 0, v36, vcc
	v_cndmask_b32_e64 v36, v39, v37, s[20:21]
	v_cndmask_b32_e64 v37, v38, v41, s[20:21]
	v_add_u32_e32 v41, 0x4000, v224
	s_and_b64 vcc, exec, s[40:41]
	s_waitcnt vmcnt(0) lgkmcnt(0)
	ds_write_b128 v140, v[32:35]
	flat_load_dwordx4 v[32:35], v[36:37]
	s_waitcnt vmcnt(0) lgkmcnt(0)
	ds_write_b128 v141, v[32:35]
	s_waitcnt lgkmcnt(0)
	s_barrier
	ds_read2_b64 v[32:35], v224 offset1:4
	ds_read2_b64 v[36:39], v41 offset0:64 offset1:68
	s_waitcnt lgkmcnt(1)
	v_mfma_f32_16x16x16f16 a[0:3], v[32:33], v[28:29], 0
	s_waitcnt lgkmcnt(0)
	v_mfma_f32_16x16x16f16 a[4:7], v[36:37], v[28:29], 0
	v_mfma_f32_16x16x16f16 a[0:3], v[34:35], v[30:31], a[0:3]
	ds_read2_b64 v[32:35], v224 offset0:8 offset1:12
	v_mfma_f32_16x16x16f16 a[4:7], v[38:39], v[30:31], a[4:7]
	ds_read2_b64 v[36:39], v41 offset0:72 offset1:76
	s_waitcnt lgkmcnt(1)
	v_mfma_f32_16x16x16f16 a[0:3], v[32:33], v[24:25], a[0:3]
	s_waitcnt lgkmcnt(0)
	v_mfma_f32_16x16x16f16 a[4:7], v[36:37], v[24:25], a[4:7]
	v_mfma_f32_16x16x16f16 a[0:3], v[34:35], v[26:27], a[0:3]
	ds_read2_b64 v[32:35], v224 offset0:16 offset1:20
	v_mfma_f32_16x16x16f16 a[4:7], v[38:39], v[26:27], a[4:7]
	;; [unrolled: 8-line block ×7, first 2 shown]
	ds_read2_b64 v[36:39], v41 offset0:120 offset1:124
	s_waitcnt lgkmcnt(0)
	s_barrier
	v_mfma_f32_16x16x16f16 a[0:3], v[32:33], v[0:1], a[0:3]
	v_mfma_f32_16x16x16f16 a[4:7], v[36:37], v[0:1], a[4:7]
	;; [unrolled: 1-line block ×4, first 2 shown]
	s_cbranch_vccnz .LBB29_370
; %bb.369:                              ;   in Loop: Header=BB29_362 Depth=1
	ds_read2_b32 v[114:115], v225 offset1:1
	s_nop 7
	v_accvgpr_read_b32 v39, a3
	v_accvgpr_read_b32 v38, a2
	;; [unrolled: 1-line block ×4, first 2 shown]
	s_waitcnt lgkmcnt(0)
	v_cvt_f32_f16_e32 v116, v114
	v_cvt_f32_f16_sdwa v117, v114 dst_sel:DWORD dst_unused:UNUSED_PAD src0_sel:WORD_1
	v_cvt_f32_f16_e32 v114, v115
	v_cvt_f32_f16_sdwa v115, v115 dst_sel:DWORD dst_unused:UNUSED_PAD src0_sel:WORD_1
	v_mov_b32_e32 v41, v40
	v_pk_fma_f32 v[36:37], v[42:43], v[116:117], v[36:37]
	v_accvgpr_write_b32 a0, v36
	v_pk_fma_f32 v[38:39], v[40:41], v[114:115], v[38:39]
	v_accvgpr_write_b32 a2, v38
	ds_read_b32 v36, v142 offset:33792
	ds_read_b32 v38, v143 offset:33792
	v_accvgpr_write_b32 a1, v37
	v_accvgpr_write_b32 a3, v39
	v_accvgpr_read_b32 v35, a7
	s_waitcnt lgkmcnt(1)
	v_cvt_f32_f16_sdwa v37, v36 dst_sel:DWORD dst_unused:UNUSED_PAD src0_sel:WORD_1
	v_cvt_f32_f16_e32 v36, v36
	s_waitcnt lgkmcnt(0)
	v_cvt_f32_f16_sdwa v39, v38 dst_sel:DWORD dst_unused:UNUSED_PAD src0_sel:WORD_1
	v_cvt_f32_f16_e32 v38, v38
	v_accvgpr_read_b32 v34, a6
	v_accvgpr_read_b32 v33, a5
	;; [unrolled: 1-line block ×3, first 2 shown]
	v_pk_fma_f32 v[34:35], v[40:41], v[38:39], v[34:35]
	v_pk_fma_f32 v[32:33], v[42:43], v[36:37], v[32:33]
	v_accvgpr_write_b32 a4, v32
	v_accvgpr_write_b32 a5, v33
	;; [unrolled: 1-line block ×4, first 2 shown]
.LBB29_370:                             ;   in Loop: Header=BB29_362 Depth=1
	s_nop 7
	s_nop 0
	v_accvgpr_read_b32 v35, a3
	v_accvgpr_read_b32 v32, a0
	v_add_f32_e32 v41, 0x40051340, v32
	v_max_f32_e32 v106, v101, v101
	v_max_f32_e32 v41, v106, v41
	v_accvgpr_read_b32 v33, a1
	v_cndmask_b32_e64 v41, v101, v41, s[22:23]
	v_add_f32_e32 v106, 0x40051340, v33
	v_max_f32_e32 v108, v41, v41
	v_max_f32_e32 v106, v108, v106
	v_accvgpr_read_b32 v34, a2
	v_cndmask_b32_e64 v41, v41, v106, s[24:25]
	v_add_f32_e32 v106, 0x40051340, v34
	v_max_f32_e32 v108, v41, v41
	v_max_f32_e32 v106, v108, v106
	v_cndmask_b32_e64 v41, v41, v106, s[26:27]
	v_add_f32_e32 v106, 0x40051340, v35
	v_max_f32_e32 v108, v41, v41
	v_accvgpr_read_b32 v39, a7
	v_max_f32_e32 v106, v108, v106
	v_accvgpr_read_b32 v36, a4
	v_cndmask_b32_e64 v41, v41, v106, s[28:29]
	v_add_f32_e32 v106, 0x40051340, v36
	v_max_f32_e32 v108, v41, v41
	v_max_f32_e32 v106, v108, v106
	v_accvgpr_read_b32 v37, a5
	v_cndmask_b32_e64 v41, v41, v106, s[30:31]
	v_add_f32_e32 v106, 0x40051340, v37
	v_max_f32_e32 v108, v41, v41
	;; [unrolled: 5-line block ×3, first 2 shown]
	v_max_f32_e32 v106, v108, v106
	v_cndmask_b32_e64 v41, v41, v106, s[36:37]
	v_add_f32_e32 v106, 0x40051340, v39
	v_max_f32_e32 v108, v41, v41
	v_max_f32_e32 v106, v108, v106
	v_cndmask_b32_e64 v41, v41, v106, s[38:39]
	ds_bpermute_b32 v106, v132, v41
	v_max_f32_e32 v41, v41, v41
	v_cndmask_b32_e64 v34, v34, v34, s[24:25]
	v_cndmask_b32_e64 v35, v35, v35, s[24:25]
	;; [unrolled: 1-line block ×3, first 2 shown]
	s_waitcnt lgkmcnt(0)
	v_max_f32_e32 v106, v106, v106
	v_max_f32_e32 v41, v41, v106
	ds_bpermute_b32 v106, v133, v41
	v_cndmask_b32_e64 v38, v38, v38, s[30:31]
	v_cndmask_b32_e64 v39, v39, v39, s[30:31]
	s_mul_hi_i32 s41, s54, s8
	s_mul_i32 s40, s54, s8
	s_waitcnt lgkmcnt(0)
	v_max_f32_e32 v106, v106, v106
	v_max_f32_e32 v106, v41, v106
	v_sub_f32_e32 v32, v32, v106
	v_mul_f32_e32 v41, 0x3fb8aa3b, v32
	v_fma_f32 v108, v32, s59, -v41
	v_rndne_f32_e32 v110, v41
	v_fmac_f32_e32 v108, 0x32a5705f, v32
	v_sub_f32_e32 v41, v41, v110
	v_add_f32_e32 v41, v41, v108
	v_exp_f32_e32 v41, v41
	v_cvt_i32_f32_e32 v108, v110
	v_cmp_ngt_f32_e32 vcc, s60, v32
	v_sub_f32_e32 v33, v33, v106
	v_sub_f32_e32 v34, v34, v106
	v_ldexp_f32 v41, v41, v108
	v_cndmask_b32_e32 v41, 0, v41, vcc
	v_cmp_nlt_f32_e32 vcc, s61, v32
	v_cndmask_b32_e32 v32, v226, v41, vcc
	v_mul_f32_e32 v41, 0x3fb8aa3b, v33
	v_fma_f32 v108, v33, s59, -v41
	v_rndne_f32_e32 v110, v41
	v_fmac_f32_e32 v108, 0x32a5705f, v33
	v_sub_f32_e32 v41, v41, v110
	v_add_f32_e32 v41, v41, v108
	v_exp_f32_e32 v41, v41
	v_cvt_i32_f32_e32 v108, v110
	v_cmp_ngt_f32_e32 vcc, s60, v33
	v_cndmask_b32_e64 v32, 0, v32, s[22:23]
	s_lshl_b64 s[40:41], s[40:41], 2
	v_ldexp_f32 v41, v41, v108
	v_cndmask_b32_e32 v41, 0, v41, vcc
	v_cmp_nlt_f32_e32 vcc, s61, v33
	v_cndmask_b32_e32 v41, v226, v41, vcc
	v_mov_b32_e32 v33, s47
	v_add_f32_e32 v108, v41, v32
	v_cndmask_b32_e64 v110, v33, v41, s[24:25]
	v_mul_f32_e32 v41, 0x3fb8aa3b, v34
	v_cndmask_b32_e64 v33, v32, v108, s[24:25]
	v_fma_f32 v108, v34, s59, -v41
	v_rndne_f32_e32 v111, v41
	v_fmac_f32_e32 v108, 0x32a5705f, v34
	v_sub_f32_e32 v41, v41, v111
	v_add_f32_e32 v41, v41, v108
	v_exp_f32_e32 v41, v41
	v_cvt_i32_f32_e32 v108, v111
	v_cmp_ngt_f32_e32 vcc, s60, v34
	v_cvt_f16_f32_e32 v32, v32
	s_add_u32 s40, s9, s40
	v_ldexp_f32 v41, v41, v108
	v_cndmask_b32_e32 v41, 0, v41, vcc
	v_cmp_nlt_f32_e32 vcc, s61, v34
	v_cndmask_b32_e32 v41, v226, v41, vcc
	v_add_f32_e32 v108, v33, v41
	v_mov_b32_e32 v34, s47
	v_cndmask_b32_e64 v111, v34, v41, s[26:27]
	v_cndmask_b32_e64 v34, v33, v108, s[26:27]
	v_sub_f32_e32 v33, v35, v106
	v_mul_f32_e32 v35, 0x3fb8aa3b, v33
	v_fma_f32 v41, v33, s59, -v35
	v_rndne_f32_e32 v108, v35
	v_fmac_f32_e32 v41, 0x32a5705f, v33
	v_sub_f32_e32 v35, v35, v108
	v_add_f32_e32 v35, v35, v41
	v_exp_f32_e32 v35, v35
	v_cvt_i32_f32_e32 v41, v108
	v_cmp_ngt_f32_e32 vcc, s60, v33
	s_addc_u32 s41, s33, s41
	v_mov_b32_e32 v116, s53
	v_ldexp_f32 v35, v35, v41
	v_cndmask_b32_e32 v35, 0, v35, vcc
	v_cmp_nlt_f32_e32 vcc, s61, v33
	v_cndmask_b32_e32 v35, v226, v35, vcc
	v_add_f32_e32 v41, v34, v35
	v_mov_b32_e32 v33, s47
	v_cndmask_b32_e64 v35, v33, v35, s[28:29]
	v_cndmask_b32_e64 v33, v34, v41, s[28:29]
	v_sub_f32_e32 v34, v36, v106
	v_mul_f32_e32 v36, 0x3fb8aa3b, v34
	v_fma_f32 v41, v34, s59, -v36
	v_rndne_f32_e32 v108, v36
	v_fmac_f32_e32 v41, 0x32a5705f, v34
	v_sub_f32_e32 v36, v36, v108
	v_add_f32_e32 v36, v36, v41
	v_exp_f32_e32 v36, v36
	v_cvt_i32_f32_e32 v41, v108
	v_cmp_ngt_f32_e32 vcc, s60, v34
	v_cvt_f16_f32_e32 v35, v35
	v_mov_b32_e32 v117, s52
	v_ldexp_f32 v36, v36, v41
	v_cndmask_b32_e32 v36, 0, v36, vcc
	v_cmp_nlt_f32_e32 vcc, s61, v34
	v_cndmask_b32_e32 v36, v226, v36, vcc
	v_add_f32_e32 v41, v36, v33
	v_mov_b32_e32 v34, s47
	v_cndmask_b32_e64 v36, v34, v36, s[30:31]
	v_cndmask_b32_e64 v34, v33, v41, s[30:31]
	v_sub_f32_e32 v33, v37, v106
	v_mul_f32_e32 v37, 0x3fb8aa3b, v33
	v_fma_f32 v41, v33, s59, -v37
	v_rndne_f32_e32 v108, v37
	v_fmac_f32_e32 v41, 0x32a5705f, v33
	v_sub_f32_e32 v37, v37, v108
	v_add_f32_e32 v37, v37, v41
	v_exp_f32_e32 v37, v37
	v_cvt_i32_f32_e32 v41, v108
	v_cmp_ngt_f32_e32 vcc, s60, v33
	buffer_store_dword v121, off, s[0:3], 0
	buffer_store_dword v121, off, s[0:3], 0 offset:4
	buffer_store_dword v121, off, s[0:3], 0 offset:8
	;; [unrolled: 1-line block ×3, first 2 shown]
	s_add_i32 s58, s58, 1
	v_ldexp_f32 v37, v37, v41
	v_cndmask_b32_e32 v37, 0, v37, vcc
	v_cmp_nlt_f32_e32 vcc, s61, v33
	v_cndmask_b32_e32 v37, v226, v37, vcc
	v_add_f32_e32 v41, v37, v34
	v_mov_b32_e32 v33, s47
	v_cndmask_b32_e64 v37, v33, v37, s[34:35]
	v_cndmask_b32_e64 v33, v34, v41, s[34:35]
	v_sub_f32_e32 v34, v38, v106
	v_mul_f32_e32 v38, 0x3fb8aa3b, v34
	v_fma_f32 v41, v34, s59, -v38
	v_rndne_f32_e32 v108, v38
	v_fmac_f32_e32 v41, 0x32a5705f, v34
	v_sub_f32_e32 v38, v38, v108
	v_add_f32_e32 v38, v38, v41
	v_exp_f32_e32 v38, v38
	v_cvt_i32_f32_e32 v41, v108
	v_cmp_ngt_f32_e32 vcc, s60, v34
	s_add_i32 s54, s54, 64
	v_ldexp_f32 v38, v38, v41
	v_cndmask_b32_e32 v38, 0, v38, vcc
	v_cmp_nlt_f32_e32 vcc, s61, v34
	v_cndmask_b32_e32 v38, v226, v38, vcc
	v_add_f32_e32 v41, v38, v33
	v_mov_b32_e32 v34, s47
	v_cndmask_b32_e64 v38, v34, v38, s[36:37]
	v_cndmask_b32_e64 v34, v33, v41, s[36:37]
	v_sub_f32_e32 v33, v39, v106
	v_mul_f32_e32 v39, 0x3fb8aa3b, v33
	v_fma_f32 v41, v33, s59, -v39
	v_rndne_f32_e32 v108, v39
	v_fmac_f32_e32 v41, 0x32a5705f, v33
	v_sub_f32_e32 v39, v39, v108
	v_add_f32_e32 v39, v39, v41
	v_exp_f32_e32 v39, v39
	v_cvt_i32_f32_e32 v41, v108
	v_cmp_ngt_f32_e32 vcc, s60, v33
	v_ldexp_f32 v39, v39, v41
	v_cndmask_b32_e32 v39, 0, v39, vcc
	v_cmp_nlt_f32_e32 vcc, s61, v33
	v_cndmask_b32_e32 v39, v226, v39, vcc
	v_add_f32_e32 v41, v39, v34
	v_mov_b32_e32 v33, s47
	v_cndmask_b32_e64 v41, v34, v41, s[38:39]
	v_sub_f32_e32 v34, v101, v106
	v_cndmask_b32_e64 v33, v33, v39, s[38:39]
	v_mul_f32_e32 v39, 0x3fb8aa3b, v34
	v_fma_f32 v101, v34, s59, -v39
	v_rndne_f32_e32 v108, v39
	v_fmac_f32_e32 v101, 0x32a5705f, v34
	v_sub_f32_e32 v39, v39, v108
	v_add_f32_e32 v39, v39, v101
	v_exp_f32_e32 v39, v39
	v_cvt_i32_f32_e32 v101, v108
	v_cmp_ngt_f32_e32 vcc, s60, v34
	v_cvt_f16_f32_e32 v33, v33
	v_ldexp_f32 v39, v39, v101
	v_cndmask_b32_e32 v39, 0, v39, vcc
	v_cmp_nlt_f32_e32 vcc, s61, v34
	v_cndmask_b32_e32 v39, v226, v39, vcc
	v_cmp_le_f32_e32 vcc, s62, v34
	v_cndmask_b32_e32 v34, 0, v39, vcc
	v_fmac_f32_e32 v41, v105, v34
	v_cvt_f16_f32_e32 v34, v34
	v_pk_mul_f16 v113, v34, v95 op_sel_hi:[0,1]
	v_pk_mul_f16 v119, v34, v94 op_sel_hi:[0,1]
	;; [unrolled: 1-line block ×32, first 2 shown]
	v_cvt_f16_f32_e32 v34, v110
	v_pack_b32_f16 v34, v32, v34
	v_cvt_f16_f32_e32 v32, v111
	v_pack_b32_f16 v35, v32, v35
	v_cvt_f16_f32_e32 v32, v36
	v_cvt_f16_f32_e32 v36, v37
	v_mov_b32_e32 v37, s41
	v_pack_b32_f16 v32, v32, v36
	v_cvt_f16_f32_e32 v36, v38
	v_pack_b32_f16 v33, v36, v33
	v_add_co_u32_e32 v36, vcc, s40, v78
	v_addc_co_u32_e32 v37, vcc, v37, v79, vcc
	v_add_co_u32_e32 v36, vcc, v36, v223
	v_addc_co_u32_e32 v37, vcc, 0, v37, vcc
	v_cndmask_b32_e64 v115, v116, v37, s[6:7]
	v_cndmask_b32_e64 v114, v117, v36, s[6:7]
	v_add_co_u32_e32 v36, vcc, s40, v80
	v_mov_b32_e32 v37, s41
	v_addc_co_u32_e32 v37, vcc, v37, v81, vcc
	v_add_co_u32_e32 v36, vcc, v36, v223
	v_addc_co_u32_e32 v37, vcc, 0, v37, vcc
	v_cndmask_b32_e64 v111, v116, v37, s[42:43]
	v_cndmask_b32_e64 v110, v117, v36, s[42:43]
	v_add_co_u32_e32 v36, vcc, s40, v82
	v_mov_b32_e32 v37, s41
	;; [unrolled: 7-line block ×7, first 2 shown]
	v_addc_co_u32_e32 v37, vcc, v37, v93, vcc
	v_add_co_u32_e32 v36, vcc, v36, v223
	v_addc_co_u32_e32 v37, vcc, 0, v37, vcc
	v_cndmask_b32_e64 v37, v116, v37, s[20:21]
	v_cndmask_b32_e64 v36, v117, v36, s[20:21]
	flat_load_dwordx4 v[114:117], v[114:115]
	v_cmp_lt_i32_e32 vcc, s58, v120
	s_and_b64 vcc, exec, vcc
	s_waitcnt vmcnt(0) lgkmcnt(0)
	ds_write_b128 v134, v[114:117]
	flat_load_dwordx4 v[114:117], v[110:111]
	s_waitcnt vmcnt(0) lgkmcnt(0)
	ds_write_b128 v135, v[114:117]
	flat_load_dwordx4 v[114:117], v[126:127]
	;; [unrolled: 3-line block ×7, first 2 shown]
	s_waitcnt vmcnt(0) lgkmcnt(0)
	ds_write_b128 v141, v[36:39]
	s_waitcnt lgkmcnt(0)
	s_barrier
	ds_read_u16 v94, v145 offset:528
	ds_read_u16 v95, v145 offset:1056
	ds_read_u16 v96, v146
	ds_read_u16 v97, v146 offset:32
	v_cvt_f32_f16_e32 v36, v113
	v_cvt_f32_f16_sdwa v37, v113 dst_sel:DWORD dst_unused:UNUSED_PAD src0_sel:WORD_1
	v_cvt_f32_f16_e32 v38, v119
	s_waitcnt lgkmcnt(1)
	v_perm_b32 v95, v96, v95, s63
	ds_read_u16 v96, v144
	ds_read_u16 v98, v144 offset:32
	v_cvt_f32_f16_sdwa v39, v119 dst_sel:DWORD dst_unused:UNUSED_PAD src0_sel:WORD_1
	v_accvgpr_write_b32 a0, v36
	v_accvgpr_write_b32 a1, v37
	s_waitcnt lgkmcnt(1)
	v_perm_b32 v94, v94, v96, s63
	v_accvgpr_write_b32 a2, v38
	v_accvgpr_write_b32 a3, v39
	s_nop 1
	v_mfma_f32_16x16x16f16 a[0:3], v[94:95], v[34:35], a[0:3]
	ds_read_u16 v94, v144 offset:16896
	ds_read_u16 v96, v147 offset:528
	;; [unrolled: 1-line block ×4, first 2 shown]
	s_waitcnt lgkmcnt(2)
	v_perm_b32 v94, v96, v94, s63
	s_waitcnt lgkmcnt(0)
	v_perm_b32 v95, v99, v95, s63
	ds_read_u16 v96, v148 offset:528
	ds_read_u16 v99, v148 offset:1056
	s_nop 0
	v_accvgpr_read_b32 v36, a0
	v_cvt_f16_f32_e32 v36, v36
	v_accvgpr_read_b32 v37, a1
	v_accvgpr_read_b32 v38, a2
	;; [unrolled: 1-line block ×3, first 2 shown]
	v_cvt_f16_f32_e32 v37, v37
	v_cvt_f16_f32_e32 v38, v38
	;; [unrolled: 1-line block ×3, first 2 shown]
	v_cvt_f32_f16_e32 v36, v36
	v_cvt_f32_f16_e32 v37, v37
	;; [unrolled: 1-line block ×4, first 2 shown]
	v_accvgpr_write_b32 a0, v36
	v_accvgpr_write_b32 a1, v37
	;; [unrolled: 1-line block ×4, first 2 shown]
	s_waitcnt lgkmcnt(0)
	v_perm_b32 v97, v97, v99, s63
	v_perm_b32 v96, v96, v98, s63
	v_mfma_f32_16x16x16f16 a[0:3], v[94:95], v[32:33], a[0:3]
	s_nop 7
	s_nop 2
	v_accvgpr_read_b32 v36, a0
	v_accvgpr_read_b32 v37, a1
	v_cvt_f16_f32_e32 v36, v36
	v_cvt_f16_f32_e32 v37, v37
	v_accvgpr_read_b32 v38, a2
	v_accvgpr_read_b32 v39, a3
	v_cvt_f16_f32_e32 v38, v38
	v_cvt_f16_f32_e32 v39, v39
	v_pack_b32_f16 v95, v36, v37
	v_cvt_f32_f16_e32 v36, v105
	v_cvt_f32_f16_sdwa v37, v105 dst_sel:DWORD dst_unused:UNUSED_PAD src0_sel:WORD_1
	v_pack_b32_f16 v94, v38, v39
	v_cvt_f32_f16_e32 v38, v101
	v_cvt_f32_f16_sdwa v39, v101 dst_sel:DWORD dst_unused:UNUSED_PAD src0_sel:WORD_1
	v_accvgpr_write_b32 a0, v36
	v_accvgpr_write_b32 a1, v37
	;; [unrolled: 1-line block ×4, first 2 shown]
	s_nop 1
	v_mfma_f32_16x16x16f16 a[0:3], v[96:97], v[34:35], a[0:3]
	ds_read_u16 v96, v149 offset:16896
	ds_read_u16 v98, v150 offset:528
	;; [unrolled: 1-line block ×4, first 2 shown]
	s_waitcnt lgkmcnt(2)
	v_perm_b32 v96, v98, v96, s63
	s_waitcnt lgkmcnt(0)
	v_perm_b32 v97, v99, v97, s63
	ds_read_u16 v98, v144 offset:64
	ds_read_u16 v101, v153 offset:528
	;; [unrolled: 1-line block ×4, first 2 shown]
	v_accvgpr_read_b32 v36, a0
	v_cvt_f16_f32_e32 v36, v36
	v_accvgpr_read_b32 v37, a1
	v_accvgpr_read_b32 v38, a2
	;; [unrolled: 1-line block ×3, first 2 shown]
	v_cvt_f16_f32_e32 v37, v37
	v_cvt_f16_f32_e32 v38, v38
	;; [unrolled: 1-line block ×3, first 2 shown]
	v_cvt_f32_f16_e32 v36, v36
	v_cvt_f32_f16_e32 v37, v37
	;; [unrolled: 1-line block ×4, first 2 shown]
	v_accvgpr_write_b32 a0, v36
	v_accvgpr_write_b32 a1, v37
	;; [unrolled: 1-line block ×4, first 2 shown]
	s_waitcnt lgkmcnt(0)
	v_perm_b32 v99, v105, v99, s63
	v_perm_b32 v98, v101, v98, s63
	v_mfma_f32_16x16x16f16 a[0:3], v[96:97], v[32:33], a[0:3]
	s_nop 7
	s_nop 2
	v_accvgpr_read_b32 v36, a0
	v_accvgpr_read_b32 v37, a1
	v_cvt_f16_f32_e32 v36, v36
	v_cvt_f16_f32_e32 v37, v37
	v_accvgpr_read_b32 v38, a2
	v_accvgpr_read_b32 v39, a3
	v_cvt_f16_f32_e32 v38, v38
	v_cvt_f16_f32_e32 v39, v39
	v_pack_b32_f16 v97, v36, v37
	v_cvt_f32_f16_e32 v36, v108
	v_cvt_f32_f16_sdwa v37, v108 dst_sel:DWORD dst_unused:UNUSED_PAD src0_sel:WORD_1
	v_pack_b32_f16 v96, v38, v39
	v_cvt_f32_f16_e32 v38, v253
	v_cvt_f32_f16_sdwa v39, v253 dst_sel:DWORD dst_unused:UNUSED_PAD src0_sel:WORD_1
	v_accvgpr_write_b32 a0, v36
	v_accvgpr_write_b32 a1, v37
	;; [unrolled: 1-line block ×4, first 2 shown]
	s_nop 1
	v_mfma_f32_16x16x16f16 a[0:3], v[98:99], v[34:35], a[0:3]
	ds_read_u16 v98, v154 offset:16896
	ds_read_u16 v101, v155 offset:528
	;; [unrolled: 1-line block ×4, first 2 shown]
	s_waitcnt lgkmcnt(2)
	v_perm_b32 v98, v101, v98, s63
	s_waitcnt lgkmcnt(0)
	v_perm_b32 v99, v105, v99, s63
	ds_read_u16 v101, v144 offset:96
	ds_read_u16 v105, v158 offset:528
	;; [unrolled: 1-line block ×4, first 2 shown]
	v_accvgpr_read_b32 v36, a0
	v_cvt_f16_f32_e32 v36, v36
	v_accvgpr_read_b32 v37, a1
	v_accvgpr_read_b32 v38, a2
	;; [unrolled: 1-line block ×3, first 2 shown]
	v_cvt_f16_f32_e32 v37, v37
	v_cvt_f16_f32_e32 v38, v38
	;; [unrolled: 1-line block ×3, first 2 shown]
	v_cvt_f32_f16_e32 v36, v36
	v_cvt_f32_f16_e32 v37, v37
	;; [unrolled: 1-line block ×4, first 2 shown]
	v_accvgpr_write_b32 a0, v36
	v_accvgpr_write_b32 a1, v37
	;; [unrolled: 1-line block ×4, first 2 shown]
	s_waitcnt lgkmcnt(0)
	v_perm_b32 v111, v110, v108, s63
	v_perm_b32 v110, v105, v101, s63
	v_mfma_f32_16x16x16f16 a[0:3], v[98:99], v[32:33], a[0:3]
	s_nop 7
	s_nop 2
	v_accvgpr_read_b32 v36, a0
	v_accvgpr_read_b32 v37, a1
	v_cvt_f16_f32_e32 v36, v36
	v_cvt_f16_f32_e32 v37, v37
	v_accvgpr_read_b32 v38, a2
	v_accvgpr_read_b32 v39, a3
	v_cvt_f16_f32_e32 v38, v38
	v_cvt_f16_f32_e32 v39, v39
	v_pack_b32_f16 v99, v36, v37
	v_cvt_f32_f16_e32 v36, v228
	v_cvt_f32_f16_sdwa v37, v228 dst_sel:DWORD dst_unused:UNUSED_PAD src0_sel:WORD_1
	v_pack_b32_f16 v98, v38, v39
	v_cvt_f32_f16_e32 v38, v227
	v_cvt_f32_f16_sdwa v39, v227 dst_sel:DWORD dst_unused:UNUSED_PAD src0_sel:WORD_1
	v_accvgpr_write_b32 a0, v36
	v_accvgpr_write_b32 a1, v37
	v_accvgpr_write_b32 a2, v38
	v_accvgpr_write_b32 a3, v39
	s_nop 1
	v_mfma_f32_16x16x16f16 a[0:3], v[110:111], v[34:35], a[0:3]
	ds_read_u16 v101, v159 offset:16896
	ds_read_u16 v105, v160 offset:528
	ds_read_u16 v108, v161 offset:1056
	ds_read_u16 v110, v162 offset:16896
	s_waitcnt lgkmcnt(0)
	v_perm_b32 v111, v110, v108, s63
	v_perm_b32 v110, v105, v101, s63
	s_nop 3
	v_accvgpr_read_b32 v36, a0
	v_cvt_f16_f32_e32 v36, v36
	v_accvgpr_read_b32 v37, a1
	v_accvgpr_read_b32 v38, a2
	v_accvgpr_read_b32 v39, a3
	v_cvt_f16_f32_e32 v37, v37
	v_cvt_f16_f32_e32 v38, v38
	v_cvt_f16_f32_e32 v39, v39
	v_cvt_f32_f16_e32 v36, v36
	v_cvt_f32_f16_e32 v37, v37
	v_cvt_f32_f16_e32 v38, v38
	v_cvt_f32_f16_e32 v39, v39
	v_accvgpr_write_b32 a0, v36
	v_accvgpr_write_b32 a1, v37
	v_accvgpr_write_b32 a2, v38
	v_accvgpr_write_b32 a3, v39
	s_nop 1
	v_mfma_f32_16x16x16f16 a[0:3], v[110:111], v[32:33], a[0:3]
	ds_read_u16 v101, v144 offset:128
	ds_read_u16 v105, v163 offset:528
	ds_read_u16 v108, v163 offset:1056
	ds_read_u16 v110, v146 offset:128
	s_waitcnt lgkmcnt(0)
	v_perm_b32 v111, v110, v108, s63
	v_perm_b32 v110, v105, v101, s63
	s_nop 3
	v_accvgpr_read_b32 v36, a0
	v_accvgpr_read_b32 v37, a1
	v_cvt_f16_f32_e32 v36, v36
	v_cvt_f16_f32_e32 v37, v37
	v_accvgpr_read_b32 v38, a2
	v_accvgpr_read_b32 v39, a3
	v_cvt_f16_f32_e32 v38, v38
	v_cvt_f16_f32_e32 v39, v39
	v_pack_b32_f16 v228, v36, v37
	v_cvt_f32_f16_e32 v36, v230
	v_cvt_f32_f16_sdwa v37, v230 dst_sel:DWORD dst_unused:UNUSED_PAD src0_sel:WORD_1
	v_pack_b32_f16 v227, v38, v39
	v_cvt_f32_f16_e32 v38, v229
	v_cvt_f32_f16_sdwa v39, v229 dst_sel:DWORD dst_unused:UNUSED_PAD src0_sel:WORD_1
	v_accvgpr_write_b32 a0, v36
	v_accvgpr_write_b32 a1, v37
	v_accvgpr_write_b32 a2, v38
	v_accvgpr_write_b32 a3, v39
	s_nop 1
	v_mfma_f32_16x16x16f16 a[0:3], v[110:111], v[34:35], a[0:3]
	ds_read_u16 v101, v164 offset:16896
	ds_read_u16 v105, v165 offset:528
	ds_read_u16 v108, v166 offset:1056
	ds_read_u16 v110, v167 offset:16896
	s_waitcnt lgkmcnt(0)
	v_perm_b32 v111, v110, v108, s63
	v_perm_b32 v110, v105, v101, s63
	s_nop 3
	v_accvgpr_read_b32 v36, a0
	v_cvt_f16_f32_e32 v36, v36
	v_accvgpr_read_b32 v37, a1
	v_accvgpr_read_b32 v38, a2
	v_accvgpr_read_b32 v39, a3
	v_cvt_f16_f32_e32 v37, v37
	v_cvt_f16_f32_e32 v38, v38
	v_cvt_f16_f32_e32 v39, v39
	v_cvt_f32_f16_e32 v36, v36
	v_cvt_f32_f16_e32 v37, v37
	v_cvt_f32_f16_e32 v38, v38
	v_cvt_f32_f16_e32 v39, v39
	v_accvgpr_write_b32 a0, v36
	v_accvgpr_write_b32 a1, v37
	v_accvgpr_write_b32 a2, v38
	v_accvgpr_write_b32 a3, v39
	s_nop 1
	v_mfma_f32_16x16x16f16 a[0:3], v[110:111], v[32:33], a[0:3]
	ds_read_u16 v101, v144 offset:160
	ds_read_u16 v105, v168 offset:528
	ds_read_u16 v108, v168 offset:1056
	ds_read_u16 v110, v146 offset:160
	s_waitcnt lgkmcnt(0)
	v_perm_b32 v111, v110, v108, s63
	v_perm_b32 v110, v105, v101, s63
	;; [unrolled: 54-line block ×12, first 2 shown]
	s_nop 3
	v_accvgpr_read_b32 v36, a0
	v_accvgpr_read_b32 v37, a1
	v_cvt_f16_f32_e32 v36, v36
	v_cvt_f16_f32_e32 v37, v37
	v_accvgpr_read_b32 v38, a2
	v_accvgpr_read_b32 v39, a3
	v_cvt_f16_f32_e32 v38, v38
	v_cvt_f16_f32_e32 v39, v39
	v_pack_b32_f16 v250, v36, v37
	v_cvt_f32_f16_e32 v36, v252
	v_cvt_f32_f16_sdwa v37, v252 dst_sel:DWORD dst_unused:UNUSED_PAD src0_sel:WORD_1
	v_pack_b32_f16 v249, v38, v39
	v_cvt_f32_f16_e32 v38, v251
	v_cvt_f32_f16_sdwa v39, v251 dst_sel:DWORD dst_unused:UNUSED_PAD src0_sel:WORD_1
	v_accvgpr_write_b32 a0, v36
	v_accvgpr_write_b32 a1, v37
	;; [unrolled: 1-line block ×4, first 2 shown]
	ds_read_u16 v38, v219 offset:16896
	ds_read_u16 v101, v220 offset:528
	;; [unrolled: 1-line block ×4, first 2 shown]
	v_mfma_f32_16x16x16f16 a[0:3], v[110:111], v[34:35], a[0:3]
	s_waitcnt lgkmcnt(0)
	v_perm_b32 v38, v101, v38, s63
	s_barrier
	v_perm_b32 v39, v105, v39, s63
	s_nop 6
	v_accvgpr_read_b32 v34, a0
	v_cvt_f16_f32_e32 v34, v34
	v_accvgpr_read_b32 v35, a1
	v_accvgpr_read_b32 v36, a2
	;; [unrolled: 1-line block ×3, first 2 shown]
	v_cvt_f16_f32_e32 v35, v35
	v_cvt_f16_f32_e32 v36, v36
	;; [unrolled: 1-line block ×3, first 2 shown]
	v_cvt_f32_f16_e32 v34, v34
	v_cvt_f32_f16_e32 v35, v35
	;; [unrolled: 1-line block ×4, first 2 shown]
	v_accvgpr_write_b32 a0, v34
	v_accvgpr_write_b32 a1, v35
	v_accvgpr_write_b32 a2, v36
	v_accvgpr_write_b32 a3, v37
	s_nop 1
	v_mfma_f32_16x16x16f16 a[0:3], v[38:39], v[32:33], a[0:3]
	s_nop 7
	s_nop 2
	v_accvgpr_read_b32 v32, a0
	v_accvgpr_read_b32 v33, a1
	;; [unrolled: 1-line block ×4, first 2 shown]
	v_cvt_f16_f32_e32 v32, v32
	v_cvt_f16_f32_e32 v33, v33
	;; [unrolled: 1-line block ×4, first 2 shown]
	v_pack_b32_f16 v252, v32, v33
	v_pack_b32_f16 v251, v34, v35
	s_cbranch_vccz .LBB29_373
; %bb.371:                              ;   in Loop: Header=BB29_362 Depth=1
	v_mov_b32_e32 v105, v41
	v_mov_b32_e32 v101, v106
	s_branch .LBB29_362
.LBB29_372:
	v_mov_b32_e32 v41, 0
	v_mov_b32_e32 v106, 0xfeffffff
	;; [unrolled: 1-line block ×33, first 2 shown]
	s_branch .LBB29_374
.LBB29_373:
	v_accvgpr_read_b32 v165, a8
	v_accvgpr_read_b32 v90, a9
	;; [unrolled: 1-line block ×17, first 2 shown]
.LBB29_374:
	s_lshl_b32 s22, s58, 6
	v_readlane_b32 s4, v254, 4
	s_sub_i32 s26, s4, s22
	s_cmp_lg_u64 s[48:49], 0
	s_cselect_b64 s[24:25], -1, 0
	s_ashr_i32 s23, s22, 31
	s_cmp_eq_u64 s[48:49], 0
	v_readlane_b32 s5, v254, 5
	s_cbranch_scc1 .LBB29_392
; %bb.375:
	s_lshl_b64 s[4:5], s[22:23], 1
	s_add_u32 s4, s48, s4
	s_addc_u32 s5, s49, s5
	v_mov_b32_e32 v33, s5
	v_add_co_u32_e64 v32, s[4:5], s4, v35
	v_cmp_gt_i32_e32 vcc, s26, v64
	v_mov_b32_e32 v34, 0
	v_addc_co_u32_e64 v33, s[4:5], 0, v33, s[4:5]
	v_mov_b32_e32 v36, 0
	s_and_saveexec_b64 s[6:7], vcc
	s_cbranch_execz .LBB29_377
; %bb.376:
	v_readlane_b32 s4, v254, 14
	v_mul_hi_u32 v35, s4, v37
	v_readlane_b32 s5, v254, 15
	v_add_u32_e32 v35, v37, v35
	v_lshrrev_b32_e32 v35, s5, v35
	v_mul_lo_u32 v35, v35, s72
	v_sub_u32_e32 v35, v37, v35
	v_mad_i64_i32 v[36:37], s[4:5], v35, s92, 0
	v_lshlrev_b64 v[36:37], 1, v[36:37]
	v_add_co_u32_e64 v36, s[4:5], v32, v36
	v_addc_co_u32_e64 v37, s[4:5], v33, v37, s[4:5]
	flat_load_ushort v36, v[36:37]
.LBB29_377:
	s_or_b64 exec, exec, s[6:7]
	s_movk_i32 s4, 0x90
	v_mad_u32_u24 v35, v165, s4, 0
	v_lshl_add_u32 v37, v64, 1, v35
	s_waitcnt vmcnt(0) lgkmcnt(0)
	ds_write_b16 v37, v36 offset:33792
	s_and_saveexec_b64 s[6:7], vcc
	s_cbranch_execz .LBB29_379
; %bb.378:
	v_readlane_b32 s4, v254, 14
	v_mul_hi_u32 v34, s4, v38
	v_readlane_b32 s5, v254, 15
	v_add_u32_e32 v34, v38, v34
	v_lshrrev_b32_e32 v34, s5, v34
	v_mul_lo_u32 v34, v34, s72
	v_sub_u32_e32 v34, v38, v34
	v_mad_i64_i32 v[36:37], s[4:5], v34, s92, 0
	v_lshlrev_b64 v[36:37], 1, v[36:37]
	v_add_co_u32_e64 v36, s[4:5], v32, v36
	v_addc_co_u32_e64 v37, s[4:5], v33, v37, s[4:5]
	flat_load_ushort v34, v[36:37]
.LBB29_379:
	s_or_b64 exec, exec, s[6:7]
	v_add_u32_e32 v35, 0x240, v35
	v_lshl_add_u32 v36, v64, 1, v35
	s_waitcnt vmcnt(0) lgkmcnt(0)
	ds_write_b16 v36, v34 offset:33792
	v_mov_b32_e32 v34, 0
	v_mov_b32_e32 v36, 0
	s_and_saveexec_b64 s[6:7], vcc
	s_cbranch_execz .LBB29_381
; %bb.380:
	v_readlane_b32 s4, v254, 14
	v_mul_hi_u32 v36, s4, v39
	v_readlane_b32 s5, v254, 15
	v_add_u32_e32 v36, v39, v36
	v_lshrrev_b32_e32 v36, s5, v36
	v_mul_lo_u32 v36, v36, s72
	v_sub_u32_e32 v36, v39, v36
	v_mad_i64_i32 v[36:37], s[4:5], v36, s92, 0
	v_lshlrev_b64 v[36:37], 1, v[36:37]
	v_add_co_u32_e64 v36, s[4:5], v32, v36
	v_addc_co_u32_e64 v37, s[4:5], v33, v37, s[4:5]
	flat_load_ushort v36, v[36:37]
.LBB29_381:
	s_or_b64 exec, exec, s[6:7]
	v_add_u32_e32 v35, 0x240, v35
	v_lshl_add_u32 v37, v64, 1, v35
	s_waitcnt vmcnt(0) lgkmcnt(0)
	ds_write_b16 v37, v36 offset:33792
	s_and_saveexec_b64 s[6:7], vcc
	s_cbranch_execz .LBB29_383
; %bb.382:
	v_readlane_b32 s4, v254, 14
	v_mul_hi_u32 v34, s4, v42
	v_readlane_b32 s5, v254, 15
	v_add_u32_e32 v34, v42, v34
	v_lshrrev_b32_e32 v34, s5, v34
	v_mul_lo_u32 v34, v34, s72
	v_sub_u32_e32 v34, v42, v34
	v_mad_i64_i32 v[36:37], s[4:5], v34, s92, 0
	v_lshlrev_b64 v[36:37], 1, v[36:37]
	v_add_co_u32_e64 v36, s[4:5], v32, v36
	v_addc_co_u32_e64 v37, s[4:5], v33, v37, s[4:5]
	flat_load_ushort v34, v[36:37]
.LBB29_383:
	s_or_b64 exec, exec, s[6:7]
	v_add_u32_e32 v35, 0x240, v35
	v_lshl_add_u32 v36, v64, 1, v35
	s_waitcnt vmcnt(0) lgkmcnt(0)
	ds_write_b16 v36, v34 offset:33792
	v_mov_b32_e32 v34, 0
	v_mov_b32_e32 v36, 0
	s_and_saveexec_b64 s[6:7], vcc
	s_cbranch_execz .LBB29_385
; %bb.384:
	v_readlane_b32 s4, v254, 14
	v_mul_hi_u32 v36, s4, v112
	v_readlane_b32 s5, v254, 15
	v_add_u32_e32 v36, v112, v36
	v_lshrrev_b32_e32 v36, s5, v36
	v_mul_lo_u32 v36, v36, s72
	v_sub_u32_e32 v36, v112, v36
	v_mad_i64_i32 v[36:37], s[4:5], v36, s92, 0
	v_lshlrev_b64 v[36:37], 1, v[36:37]
	v_add_co_u32_e64 v36, s[4:5], v32, v36
	v_addc_co_u32_e64 v37, s[4:5], v33, v37, s[4:5]
	flat_load_ushort v36, v[36:37]
.LBB29_385:
	s_or_b64 exec, exec, s[6:7]
	v_add_u32_e32 v35, 0x240, v35
	;; [unrolled: 44-line block ×3, first 2 shown]
	v_lshl_add_u32 v35, v64, 1, v35
	s_waitcnt vmcnt(0) lgkmcnt(0)
	ds_write_b16 v35, v36 offset:33792
	s_and_saveexec_b64 s[4:5], vcc
	s_cbranch_execz .LBB29_391
; %bb.390:
	v_readlane_b32 s6, v254, 14
	v_mul_hi_u32 v34, s6, v118
	v_readlane_b32 s7, v254, 15
	v_add_u32_e32 v34, v118, v34
	v_lshrrev_b32_e32 v34, s7, v34
	v_mul_lo_u32 v34, v34, s72
	v_sub_u32_e32 v34, v118, v34
	v_mad_i64_i32 v[36:37], s[6:7], v34, s92, 0
	v_lshlrev_b64 v[36:37], 1, v[36:37]
	v_add_co_u32_e32 v32, vcc, v32, v36
	v_addc_co_u32_e32 v33, vcc, v33, v37, vcc
	flat_load_ushort v34, v[32:33]
.LBB29_391:
	s_or_b64 exec, exec, s[4:5]
	s_waitcnt vmcnt(0) lgkmcnt(0)
	ds_write_b16 v35, v34 offset:34368
.LBB29_392:
	s_mul_hi_i32 s5, s22, s46
	s_mul_i32 s4, s22, s46
	v_lshl_add_u32 v36, v165, 1, v44
	s_lshl_b64 s[4:5], s[4:5], 2
	v_mul_lo_u32 v34, s46, v36
	s_add_u32 s6, s44, s4
	v_ashrrev_i32_e32 v35, 31, v34
	s_addc_u32 s7, s45, s5
	v_mov_b32_e32 v32, 0
	v_lshlrev_b64 v[38:39], 2, v[34:35]
	buffer_store_dword v32, off, s[0:3], 0
	buffer_store_dword v32, off, s[0:3], 0 offset:4
	buffer_store_dword v32, off, s[0:3], 0 offset:8
	;; [unrolled: 1-line block ×3, first 2 shown]
	v_and_b32_e32 v32, 0x7c, v65
	v_mov_b32_e32 v33, s7
	v_add_co_u32_e32 v35, vcc, s6, v38
	v_lshlrev_b32_e32 v32, 2, v32
	v_addc_co_u32_e32 v33, vcc, v33, v39, vcc
	s_mov_b64 s[4:5], src_private_base
	v_add_co_u32_e32 v35, vcc, v35, v32
	v_addc_co_u32_e32 v33, vcc, 0, v33, vcc
	v_mov_b32_e32 v37, s5
	v_cmp_gt_i32_e64 s[18:19], s26, v36
	v_cndmask_b32_e64 v39, v37, v33, s[18:19]
	v_mov_b32_e32 v33, 0
	v_cndmask_b32_e64 v38, v33, v35, s[18:19]
	flat_load_dwordx4 v[42:45], v[38:39]
	s_lshl_b32 s23, s46, 3
	v_add_u32_e32 v38, s23, v34
	v_ashrrev_i32_e32 v39, 31, v38
	v_lshlrev_b64 v[46:47], 2, v[38:39]
	v_mov_b32_e32 v34, s7
	v_add_co_u32_e32 v39, vcc, s6, v46
	v_addc_co_u32_e32 v34, vcc, v34, v47, vcc
	v_mul_u32_u24_e32 v35, 0x210, v36
	v_add_u32_e32 v48, 8, v36
	v_add_co_u32_e32 v39, vcc, v39, v32
	v_add3_u32 v35, 0, v35, v32
	v_addc_co_u32_e32 v34, vcc, 0, v34, vcc
	v_cmp_gt_i32_e64 s[12:13], s26, v48
	v_cndmask_b32_e64 v47, v37, v34, s[12:13]
	v_cndmask_b32_e64 v46, v33, v39, s[12:13]
	v_add_u32_e32 v38, s23, v38
	v_ashrrev_i32_e32 v39, 31, v38
	v_mov_b32_e32 v48, s7
	v_add_u32_e32 v34, 16, v36
	v_cmp_gt_i32_e64 s[14:15], s26, v34
	v_add_u32_e32 v34, 24, v36
	v_cmp_gt_i32_e64 s[16:17], s26, v34
	;; [unrolled: 2-line block ×5, first 2 shown]
	v_add_u32_e32 v34, 56, v36
	s_waitcnt vmcnt(0) lgkmcnt(0)
	ds_write_b128 v35, v[42:45]
	flat_load_dwordx4 v[42:45], v[46:47]
	v_lshlrev_b64 v[46:47], 2, v[38:39]
	v_add_co_u32_e32 v39, vcc, s6, v46
	v_addc_co_u32_e32 v46, vcc, v48, v47, vcc
	v_add_co_u32_e32 v39, vcc, v39, v32
	v_addc_co_u32_e32 v46, vcc, 0, v46, vcc
	v_cndmask_b32_e64 v47, v37, v46, s[14:15]
	v_cndmask_b32_e64 v46, v33, v39, s[14:15]
	v_add_u32_e32 v38, s23, v38
	v_ashrrev_i32_e32 v39, 31, v38
	s_waitcnt vmcnt(0) lgkmcnt(0)
	ds_write_b128 v35, v[42:45] offset:4224
	flat_load_dwordx4 v[42:45], v[46:47]
	v_lshlrev_b64 v[46:47], 2, v[38:39]
	v_add_co_u32_e32 v39, vcc, s6, v46
	v_addc_co_u32_e32 v46, vcc, v48, v47, vcc
	v_add_co_u32_e32 v39, vcc, v39, v32
	v_addc_co_u32_e32 v46, vcc, 0, v46, vcc
	v_cndmask_b32_e64 v47, v37, v46, s[16:17]
	v_cndmask_b32_e64 v46, v33, v39, s[16:17]
	v_add_u32_e32 v38, s23, v38
	v_ashrrev_i32_e32 v39, 31, v38
	s_waitcnt vmcnt(0) lgkmcnt(0)
	ds_write_b128 v35, v[42:45] offset:8448
	;; [unrolled: 12-line block ×4, first 2 shown]
	flat_load_dwordx4 v[42:45], v[46:47]
	v_lshlrev_b64 v[46:47], 2, v[38:39]
	v_add_co_u32_e32 v39, vcc, s6, v46
	v_addc_co_u32_e32 v46, vcc, v48, v47, vcc
	v_add_co_u32_e32 v39, vcc, v39, v32
	v_addc_co_u32_e32 v46, vcc, 0, v46, vcc
	v_cndmask_b32_e64 v47, v37, v46, s[20:21]
	v_cndmask_b32_e64 v46, v33, v39, s[20:21]
	v_add_u32_e32 v38, s23, v38
	v_ashrrev_i32_e32 v39, 31, v38
	v_lshlrev_b64 v[38:39], 2, v[38:39]
	v_add_co_u32_e32 v38, vcc, s6, v38
	s_waitcnt vmcnt(0) lgkmcnt(0)
	ds_write_b128 v35, v[42:45] offset:21120
	flat_load_dwordx4 v[42:45], v[46:47]
	v_mov_b32_e32 v46, s7
	v_addc_co_u32_e32 v39, vcc, v46, v39, vcc
	v_add_co_u32_e32 v38, vcc, v38, v32
	v_addc_co_u32_e32 v39, vcc, 0, v39, vcc
	v_cmp_gt_i32_e64 s[6:7], s26, v34
	v_cndmask_b32_e64 v39, v37, v39, s[6:7]
	v_cndmask_b32_e64 v38, v33, v38, s[6:7]
	v_and_b32_e32 v33, 16, v90
	v_add_u32_e32 v34, 0, v49
	v_mul_u32_u24_e32 v37, 0x210, v33
	v_add3_u32 v34, v34, v80, v37
	v_add_u32_e32 v37, 0x4000, v34
	s_and_b64 vcc, exec, s[24:25]
	s_waitcnt vmcnt(0) lgkmcnt(0)
	ds_write_b128 v35, v[42:45] offset:25344
	flat_load_dwordx4 v[42:45], v[38:39]
	s_waitcnt vmcnt(0) lgkmcnt(0)
	ds_write_b128 v35, v[42:45] offset:29568
	s_waitcnt lgkmcnt(0)
	s_barrier
	ds_read2_b64 v[42:45], v34 offset1:4
	ds_read2_b64 v[46:49], v37 offset0:64 offset1:68
	s_waitcnt lgkmcnt(1)
	v_mfma_f32_16x16x16f16 a[0:3], v[42:43], v[28:29], 0
	s_waitcnt lgkmcnt(0)
	v_mfma_f32_16x16x16f16 a[4:7], v[46:47], v[28:29], 0
	v_mfma_f32_16x16x16f16 a[0:3], v[44:45], v[30:31], a[0:3]
	ds_read2_b64 v[42:45], v37 offset0:72 offset1:76
	v_mfma_f32_16x16x16f16 a[4:7], v[48:49], v[30:31], a[4:7]
	ds_read2_b64 v[28:31], v34 offset0:8 offset1:12
	s_waitcnt lgkmcnt(0)
	v_mfma_f32_16x16x16f16 a[0:3], v[28:29], v[24:25], a[0:3]
	v_mfma_f32_16x16x16f16 a[4:7], v[42:43], v[24:25], a[4:7]
	v_mfma_f32_16x16x16f16 a[0:3], v[30:31], v[26:27], a[0:3]
	ds_read2_b64 v[28:31], v37 offset0:80 offset1:84
	v_mfma_f32_16x16x16f16 a[4:7], v[44:45], v[26:27], a[4:7]
	ds_read2_b64 v[24:27], v34 offset0:16 offset1:20
	s_waitcnt lgkmcnt(0)
	v_mfma_f32_16x16x16f16 a[0:3], v[24:25], v[20:21], a[0:3]
	;; [unrolled: 7-line block ×5, first 2 shown]
	v_mfma_f32_16x16x16f16 a[4:7], v[16:17], v[8:9], a[4:7]
	v_mfma_f32_16x16x16f16 a[0:3], v[14:15], v[10:11], a[0:3]
	ds_read2_b64 v[12:15], v37 offset0:112 offset1:116
	v_mfma_f32_16x16x16f16 a[4:7], v[18:19], v[10:11], a[4:7]
	ds_read2_b64 v[8:11], v34 offset0:48 offset1:52
	v_and_b32_e32 v18, 0xfc, v50
	v_add_u32_e32 v16, v33, v18
	v_add_u32_e32 v19, 32, v16
	v_add_u32_e32 v20, 34, v16
	s_waitcnt lgkmcnt(0)
	v_mfma_f32_16x16x16f16 a[0:3], v[8:9], v[4:5], a[0:3]
	v_mfma_f32_16x16x16f16 a[4:7], v[12:13], v[4:5], a[4:7]
	;; [unrolled: 1-line block ×3, first 2 shown]
	ds_read2_b64 v[8:11], v37 offset0:120 offset1:124
	v_mfma_f32_16x16x16f16 a[4:7], v[14:15], v[6:7], a[4:7]
	ds_read2_b64 v[4:7], v34 offset0:56 offset1:60
	s_waitcnt lgkmcnt(0)
	s_barrier
	v_mfma_f32_16x16x16f16 a[0:3], v[4:5], v[0:1], a[0:3]
	v_mfma_f32_16x16x16f16 a[4:7], v[8:9], v[0:1], a[4:7]
	;; [unrolled: 1-line block ×4, first 2 shown]
	s_cbranch_vccz .LBB29_394
; %bb.393:
	s_movk_i32 s23, 0x90
	v_mad_u32_u24 v10, v63, s23, 0
	v_lshlrev_b32_e32 v8, 1, v16
	s_mov_b32 s23, 0x8400
	v_add_u32_e32 v33, 32, v16
	v_add3_u32 v8, v10, v8, s23
	v_lshl_add_u32 v11, v33, 1, v10
	v_add_u32_e32 v31, 34, v16
	ds_read2_b32 v[8:9], v8 offset1:1
	v_lshl_add_u32 v10, v31, 1, v10
	ds_read_b32 v12, v11 offset:33792
	ds_read_b32 v13, v10 offset:33792
	v_accvgpr_read_b32 v7, a3
	v_accvgpr_read_b32 v0, a4
	s_waitcnt lgkmcnt(2)
	v_cvt_f32_f16_e32 v10, v8
	v_cvt_f32_f16_sdwa v11, v8 dst_sel:DWORD dst_unused:UNUSED_PAD src0_sel:WORD_1
	v_cvt_f32_f16_e32 v8, v9
	v_cvt_f32_f16_sdwa v9, v9 dst_sel:DWORD dst_unused:UNUSED_PAD src0_sel:WORD_1
	s_waitcnt lgkmcnt(1)
	v_cvt_f32_f16_e32 v22, v12
	s_waitcnt lgkmcnt(0)
	v_cvt_f32_f16_e32 v24, v13
	v_cvt_f32_f16_sdwa v25, v13 dst_sel:DWORD dst_unused:UNUSED_PAD src0_sel:WORD_1
	v_cvt_f32_f16_sdwa v23, v12 dst_sel:DWORD dst_unused:UNUSED_PAD src0_sel:WORD_1
	v_accvgpr_read_b32 v6, a2
	v_accvgpr_read_b32 v5, a1
	;; [unrolled: 1-line block ×6, first 2 shown]
	v_pk_fma_f32 v[14:15], v[40:41], v[8:9], v[6:7] op_sel_hi:[0,1,1]
	v_pk_fma_f32 v[12:13], v[40:41], v[10:11], v[4:5] op_sel_hi:[0,1,1]
	;; [unrolled: 1-line block ×4, first 2 shown]
	s_mov_b64 s[24:25], 0
	s_branch .LBB29_395
.LBB29_394:
	s_mov_b64 s[24:25], -1
                                        ; implicit-def: $vgpr12_vgpr13_vgpr14_vgpr15
                                        ; implicit-def: $vgpr8_vgpr9_vgpr10_vgpr11
                                        ; implicit-def: $vgpr33
                                        ; implicit-def: $vgpr31
.LBB29_395:
	v_add_u32_e32 v2, 0x1080, v35
	v_add_u32_e32 v1, 0x2100, v35
	;; [unrolled: 1-line block ×6, first 2 shown]
	s_andn2_b64 vcc, exec, s[24:25]
	v_add_u32_e32 v27, 0x7380, v35
	s_cbranch_vccnz .LBB29_397
; %bb.396:
	v_accvgpr_read_b32 v11, a7
	v_accvgpr_read_b32 v15, a3
	v_mov_b32_e32 v31, v20
	v_mov_b32_e32 v33, v19
	v_accvgpr_read_b32 v10, a6
	v_accvgpr_read_b32 v9, a5
	;; [unrolled: 1-line block ×6, first 2 shown]
.LBB29_397:
	s_mul_hi_i32 s23, s22, s8
	s_mul_i32 s22, s22, s8
	s_lshl_b64 s[22:23], s[22:23], 2
	v_mul_lo_u32 v20, s8, v36
	s_add_u32 s22, s9, s22
	v_ashrrev_i32_e32 v21, 31, v20
	s_addc_u32 s23, s33, s23
	v_lshlrev_b64 v[4:5], 2, v[20:21]
	v_mov_b32_e32 v3, s23
	v_add_co_u32_e32 v4, vcc, s22, v4
	v_addc_co_u32_e32 v3, vcc, v3, v5, vcc
	s_mov_b64 s[24:25], src_private_base
	v_add_co_u32_e32 v4, vcc, v4, v32
	v_addc_co_u32_e32 v3, vcc, 0, v3, vcc
	v_mov_b32_e32 v38, s25
	v_cndmask_b32_e64 v5, v38, v3, s[18:19]
	v_mov_b32_e32 v39, 0
	v_mov_b32_e32 v3, 0
	v_cndmask_b32_e64 v4, v39, v4, s[18:19]
	buffer_store_dword v3, off, s[0:3], 0
	buffer_store_dword v3, off, s[0:3], 0 offset:4
	buffer_store_dword v3, off, s[0:3], 0 offset:8
	;; [unrolled: 1-line block ×3, first 2 shown]
	flat_load_dwordx4 v[4:7], v[4:5]
	s_lshl_b32 s29, s8, 3
	v_add_u32_e32 v20, s29, v20
	v_ashrrev_i32_e32 v21, 31, v20
	v_lshlrev_b64 v[22:23], 2, v[20:21]
	v_mov_b32_e32 v3, s23
	v_add_co_u32_e32 v19, vcc, s22, v22
	v_addc_co_u32_e32 v3, vcc, v3, v23, vcc
	v_add_co_u32_e32 v19, vcc, v19, v32
	v_addc_co_u32_e32 v3, vcc, 0, v3, vcc
	v_cndmask_b32_e64 v23, v38, v3, s[12:13]
	v_cndmask_b32_e64 v22, v39, v19, s[12:13]
	v_add_u32_e32 v20, s29, v20
	v_ashrrev_i32_e32 v21, 31, v20
	v_mov_b32_e32 v3, s23
	v_mul_u32_u24_e32 v24, 0x420, v103
	v_add_f32_e32 v25, 0x40051340, v12
	v_add3_u32 v49, 0, 32, v24
	v_cmp_gt_u32_e64 s[18:19], s26, v16
	v_mbcnt_hi_u32_b32 v26, -1, v51
	v_or_b32_e32 v40, 1, v16
	v_or_b32_e32 v62, 2, v16
	;; [unrolled: 1-line block ×3, first 2 shown]
	v_add_u32_e32 v61, 33, v16
	v_add_u32_e32 v60, 35, v16
	v_mov_b32_e32 v16, s23
	v_add_f32_e32 v46, 0x40051340, v13
	v_and_b32_e32 v28, 64, v26
	v_xor_b32_e32 v37, 32, v26
	v_add_u32_e32 v28, 64, v28
	s_mov_b32 s12, 0
	v_xor_b32_e32 v47, 16, v26
	v_add_f32_e32 v63, 0x40051340, v14
	s_add_i32 s13, 0, 0xc0
	v_add_f32_e32 v67, 0x40051340, v15
	s_movk_i32 s9, 0x420
	v_mov_b32_e32 v73, s23
	v_mad_u32_u24 v48, v103, s9, 0
	v_mov_b32_e32 v74, s23
	v_add_f32_e32 v69, 0x40051340, v8
	v_mov_b32_e32 v75, s23
	v_add_f32_e32 v70, 0x40051340, v9
	v_add_f32_e32 v71, 0x40051340, v10
	;; [unrolled: 1-line block ×3, first 2 shown]
	s_mov_b32 s28, 0x3fb8aa3b
	s_mov_b32 s27, 0xc2ce8ed0
	s_mov_b32 s25, 0x42b17218
	v_mov_b32_e32 v56, 0x7f800000
	s_mov_b32 s24, 0xc1a00000
	s_mov_b32 s8, 0x5040100
	s_waitcnt vmcnt(0) lgkmcnt(0)
	ds_write_b128 v35, v[4:7]
	flat_load_dwordx4 v[4:7], v[22:23]
	v_lshlrev_b64 v[22:23], 2, v[20:21]
	v_add_co_u32_e32 v19, vcc, s22, v22
	v_addc_co_u32_e32 v3, vcc, v3, v23, vcc
	v_add_co_u32_e32 v19, vcc, v19, v32
	v_addc_co_u32_e32 v3, vcc, 0, v3, vcc
	v_cndmask_b32_e64 v23, v38, v3, s[14:15]
	v_cndmask_b32_e64 v22, v39, v19, s[14:15]
	v_add_u32_e32 v20, s29, v20
	v_ashrrev_i32_e32 v21, 31, v20
	v_mov_b32_e32 v19, s23
	s_add_i32 s14, 0, 0xe0
	s_waitcnt vmcnt(0) lgkmcnt(0)
	ds_write_b128 v2, v[4:7]
	flat_load_dwordx4 v[2:5], v[22:23]
	v_lshlrev_b64 v[6:7], 2, v[20:21]
	v_add_co_u32_e32 v6, vcc, s22, v6
	v_addc_co_u32_e32 v7, vcc, v19, v7, vcc
	v_add_co_u32_e32 v6, vcc, v6, v32
	v_addc_co_u32_e32 v7, vcc, 0, v7, vcc
	v_cndmask_b32_e64 v7, v38, v7, s[16:17]
	v_cndmask_b32_e64 v6, v39, v6, s[16:17]
	v_mul_u32_u24_e32 v21, 0x108, v18
	v_max_f32_e32 v19, v106, v106
	v_mul_u32_u24_e32 v22, 0x210, v18
	v_or_b32_e32 v18, 3, v50
	v_or_b32_e32 v21, v21, v101
	v_add_u32_e32 v20, s29, v20
	v_mul_u32_u24_e32 v23, 0x210, v18
	v_add3_u32 v50, 0, 64, v24
	v_max_f32_e32 v18, v19, v25
	v_lshlrev_b32_e32 v24, 1, v21
	v_ashrrev_i32_e32 v21, 31, v20
	v_cndmask_b32_e64 v51, v106, v18, s[18:19]
	v_lshlrev_b64 v[18:19], 2, v[20:21]
	v_add_co_u32_e32 v18, vcc, s22, v18
	v_addc_co_u32_e32 v16, vcc, v16, v19, vcc
	v_add_co_u32_e32 v18, vcc, v18, v32
	v_addc_co_u32_e32 v16, vcc, 0, v16, vcc
	v_cndmask_b32_e64 v19, v38, v16, s[10:11]
	v_cndmask_b32_e64 v18, v39, v18, s[10:11]
	v_cmp_gt_u32_e64 s[16:17], s26, v40
	v_cmp_lt_i32_e32 vcc, v37, v28
	v_cndmask_b32_e32 v21, v26, v37, vcc
	v_cmp_lt_i32_e32 vcc, v47, v28
	v_cndmask_b32_e64 v78, v14, v14, s[16:17]
	v_cndmask_b32_e64 v77, v15, v15, s[16:17]
	v_add3_u32 v29, v48, v22, v102
	v_add3_u32 v25, v48, v23, v102
	v_add_u32_e32 v28, v48, v24
	v_mov_b32_e32 v48, s14
	v_cmp_gt_u32_e64 s[14:15], s26, v68
	s_add_i32 s10, 0, 0x60
	s_add_i32 s11, 0, 0x80
	v_mad_u32_u24 v66, v103, s9, v48
	v_add3_u32 v57, v49, v22, v102
	v_add3_u32 v58, v49, v23, v102
	;; [unrolled: 1-line block ×4, first 2 shown]
	v_add_u32_e32 v59, v49, v24
	v_add_u32_e32 v37, v50, v24
	s_waitcnt vmcnt(0) lgkmcnt(0)
	ds_write_b128 v1, v[2:5]
	flat_load_dwordx4 v[42:45], v[6:7]
	v_mov_b32_e32 v7, s12
	v_mov_b32_e32 v2, s12
	;; [unrolled: 1-line block ×7, first 2 shown]
	s_add_i32 s12, 0, 0xa0
	s_waitcnt vmcnt(0) lgkmcnt(0)
	ds_write_b128 v17, v[42:45]
	flat_load_dwordx4 v[16:19], v[18:19]
	v_max_f32_e32 v43, v51, v51
	v_max_f32_e32 v43, v43, v46
	v_cndmask_b32_e64 v76, v51, v43, s[16:17]
	v_max_f32_e32 v14, v76, v76
	v_cndmask_b32_e32 v42, v26, v47, vcc
	v_mov_b32_e32 v45, s12
	v_mov_b32_e32 v47, s13
	v_max_f32_e32 v15, v14, v63
	v_add_u32_e32 v14, s29, v20
	v_cmp_gt_u32_e64 s[12:13], s26, v62
	v_cndmask_b32_e64 v20, v76, v15, s[12:13]
	v_ashrrev_i32_e32 v15, 31, v14
	v_add_u32_e32 v62, s29, v14
	v_lshlrev_b64 v[14:15], 2, v[14:15]
	v_add_co_u32_e32 v79, vcc, s22, v14
	v_addc_co_u32_e32 v73, vcc, v73, v15, vcc
	v_max_f32_e32 v76, v20, v20
	v_ashrrev_i32_e32 v63, 31, v62
	v_add_co_u32_e32 v68, vcc, v79, v32
	v_max_f32_e32 v76, v76, v67
	v_lshlrev_b64 v[14:15], 2, v[62:63]
	v_addc_co_u32_e32 v73, vcc, 0, v73, vcc
	v_cndmask_b32_e64 v20, v20, v76, s[14:15]
	v_add_co_u32_e32 v76, vcc, s22, v14
	v_addc_co_u32_e32 v74, vcc, v74, v15, vcc
	v_cndmask_b32_e64 v15, v38, v73, s[4:5]
	v_cndmask_b32_e64 v14, v39, v68, s[4:5]
	v_lshlrev_b32_e32 v26, 2, v21
	v_lshlrev_b32_e32 v21, 2, v42
	v_mov_b32_e32 v42, s10
	v_mov_b32_e32 v44, s11
	v_mad_u32_u24 v42, v103, s9, v42
	v_mad_u32_u24 v44, v103, s9, v44
	;; [unrolled: 1-line block ×4, first 2 shown]
	v_add_u32_e32 v55, v42, v24
	v_add3_u32 v53, v42, v22, v102
	v_add3_u32 v54, v42, v23, v102
	v_add_u32_e32 v52, v44, v24
	v_add3_u32 v49, v44, v22, v102
	v_add3_u32 v50, v44, v23, v102
	;; [unrolled: 3-line block ×5, first 2 shown]
	v_add_u32_e32 v66, s29, v62
	v_ashrrev_i32_e32 v67, 31, v66
	v_lshlrev_b64 v[62:63], 2, v[66:67]
	v_max_f32_e32 v66, v20, v20
	v_cmp_gt_u32_e64 s[10:11], s26, v61
	v_cmp_gt_u32_e64 s[4:5], s26, v60
	s_waitcnt vmcnt(0) lgkmcnt(0)
	ds_write_b128 v34, v[16:19]
	flat_load_dwordx4 v[14:17], v[14:15]
	v_add_co_u32_e32 v18, vcc, v76, v32
	v_addc_co_u32_e32 v19, vcc, 0, v74, vcc
	v_cndmask_b32_e64 v19, v38, v19, s[20:21]
	v_cndmask_b32_e64 v18, v39, v18, s[20:21]
	v_add_co_u32_e32 v34, vcc, s22, v62
	v_addc_co_u32_e32 v62, vcc, v75, v63, vcc
	v_max_f32_e32 v63, v66, v69
	v_cmp_gt_u32_e64 s[20:21], s26, v33
	v_cndmask_b32_e64 v20, v20, v63, s[20:21]
	v_max_f32_e32 v33, v20, v20
	v_max_f32_e32 v33, v33, v70
	v_cndmask_b32_e64 v20, v20, v33, s[10:11]
	v_max_f32_e32 v33, v20, v20
	v_max_f32_e32 v33, v33, v71
	v_cmp_gt_u32_e32 vcc, s26, v31
	v_add_co_u32_e64 v32, s[22:23], v34, v32
	v_cndmask_b32_e32 v20, v20, v33, vcc
	v_addc_co_u32_e64 v33, s[22:23], 0, v62, s[22:23]
	v_cndmask_b32_e64 v33, v38, v33, s[6:7]
	v_cndmask_b32_e64 v32, v39, v32, s[6:7]
	v_max_f32_e32 v31, v20, v20
	v_max_f32_e32 v31, v31, v72
	v_cndmask_b32_e64 v20, v20, v31, s[4:5]
	ds_bpermute_b32 v31, v26, v20
	v_max_f32_e32 v20, v20, v20
	v_cndmask_b32_e64 v34, v9, v9, s[20:21]
	v_cndmask_b32_e64 v11, v11, v11, s[20:21]
	;; [unrolled: 1-line block ×3, first 2 shown]
	s_waitcnt lgkmcnt(0)
	v_max_f32_e32 v31, v31, v31
	v_max_f32_e32 v20, v20, v31
	ds_bpermute_b32 v31, v21, v20
	s_waitcnt lgkmcnt(0)
	v_max_f32_e32 v9, v31, v31
	v_max_f32_e32 v9, v20, v9
	v_sub_f32_e32 v12, v12, v9
	v_sub_f32_e32 v13, v13, v9
	;; [unrolled: 1-line block ×3, first 2 shown]
	v_mul_f32_e32 v11, 0x3fb8aa3b, v12
	v_sub_f32_e32 v20, v78, v9
	v_mul_f32_e32 v60, 0x3fb8aa3b, v13
	v_fma_f32 v70, v12, s28, -v11
	v_rndne_f32_e32 v71, v11
	v_sub_f32_e32 v31, v77, v9
	v_mul_f32_e32 v61, 0x3fb8aa3b, v20
	v_fma_f32 v72, v13, s28, -v60
	v_rndne_f32_e32 v73, v60
	v_fmac_f32_e32 v70, 0x32a5705f, v12
	v_sub_f32_e32 v11, v11, v71
	v_sub_f32_e32 v8, v8, v9
	v_mul_f32_e32 v62, 0x3fb8aa3b, v31
	v_fma_f32 v74, v20, s28, -v61
	v_rndne_f32_e32 v75, v61
	v_fmac_f32_e32 v72, 0x32a5705f, v13
	v_sub_f32_e32 v60, v60, v73
	v_add_f32_e32 v11, v11, v70
	v_sub_f32_e32 v34, v34, v9
	v_mul_f32_e32 v63, 0x3fb8aa3b, v8
	v_fma_f32 v76, v31, s28, -v62
	v_rndne_f32_e32 v77, v62
	v_cvt_i32_f32_e32 v71, v71
	v_fmac_f32_e32 v74, 0x32a5705f, v20
	v_add_f32_e32 v60, v60, v72
	v_exp_f32_e32 v11, v11
	v_sub_f32_e32 v10, v10, v9
	v_mul_f32_e32 v66, 0x3fb8aa3b, v34
	v_fma_f32 v78, v8, s28, -v63
	v_rndne_f32_e32 v79, v63
	v_fmac_f32_e32 v76, 0x32a5705f, v31
	v_exp_f32_e32 v60, v60
	v_mul_f32_e32 v67, 0x3fb8aa3b, v10
	s_waitcnt vmcnt(0)
	ds_write_b128 v30, v[14:17]
	flat_load_dwordx4 v[16:19], v[18:19]
	v_sub_f32_e32 v15, v61, v75
	v_cvt_i32_f32_e32 v14, v73
	v_sub_f32_e32 v61, v62, v77
	v_add_f32_e32 v15, v15, v74
	v_fma_f32 v80, v34, s28, -v66
	v_rndne_f32_e32 v81, v66
	v_cvt_i32_f32_e32 v30, v75
	v_fmac_f32_e32 v78, 0x32a5705f, v8
	v_sub_f32_e32 v63, v63, v79
	v_add_f32_e32 v61, v61, v76
	v_exp_f32_e32 v15, v15
	v_sub_f32_e32 v39, v106, v9
	v_mul_f32_e32 v68, 0x3fb8aa3b, v38
	v_fma_f32 v82, v10, s28, -v67
	v_rndne_f32_e32 v83, v67
	v_cvt_i32_f32_e32 v62, v77
	v_fmac_f32_e32 v80, 0x32a5705f, v34
	v_sub_f32_e32 v66, v66, v81
	v_add_f32_e32 v63, v63, v78
	v_exp_f32_e32 v61, v61
	v_mul_f32_e32 v69, 0x3fb8aa3b, v39
	v_fma_f32 v84, v38, s28, -v68
	v_rndne_f32_e32 v85, v68
	v_cvt_i32_f32_e32 v73, v79
	v_fmac_f32_e32 v82, 0x32a5705f, v10
	v_sub_f32_e32 v67, v67, v83
	v_add_f32_e32 v66, v66, v80
	v_exp_f32_e32 v63, v63
	v_ldexp_f32 v11, v11, v71
	v_cmp_ngt_f32_e64 s[6:7], s27, v12
	v_fma_f32 v86, v39, s28, -v69
	v_rndne_f32_e32 v87, v69
	v_cvt_i32_f32_e32 v75, v81
	v_fmac_f32_e32 v84, 0x32a5705f, v38
	v_sub_f32_e32 v68, v68, v85
	v_add_f32_e32 v67, v67, v82
	v_exp_f32_e32 v66, v66
	v_ldexp_f32 v14, v60, v14
	v_cndmask_b32_e64 v11, 0, v11, s[6:7]
	v_cmp_ngt_f32_e64 s[6:7], s27, v13
	v_cvt_i32_f32_e32 v77, v83
	v_fmac_f32_e32 v86, 0x32a5705f, v39
	v_sub_f32_e32 v69, v69, v87
	v_add_f32_e32 v68, v68, v84
	v_exp_f32_e32 v67, v67
	v_ldexp_f32 v15, v15, v30
	v_cndmask_b32_e64 v14, 0, v14, s[6:7]
	v_cmp_ngt_f32_e64 s[6:7], s27, v20
	v_cvt_i32_f32_e32 v79, v85
	v_add_f32_e32 v69, v69, v86
	v_exp_f32_e32 v68, v68
	v_ldexp_f32 v30, v61, v62
	v_cndmask_b32_e64 v15, 0, v15, s[6:7]
	v_cmp_ngt_f32_e64 s[6:7], s27, v31
	v_cvt_i32_f32_e32 v81, v87
	v_exp_f32_e32 v69, v69
	v_ldexp_f32 v60, v63, v73
	v_cndmask_b32_e64 v30, 0, v30, s[6:7]
	v_cmp_ngt_f32_e64 s[6:7], s27, v8
	v_ldexp_f32 v61, v66, v75
	v_cndmask_b32_e64 v60, 0, v60, s[6:7]
	v_cmp_ngt_f32_e64 s[6:7], s27, v34
	;; [unrolled: 3-line block ×5, first 2 shown]
	v_cndmask_b32_e64 v66, 0, v66, s[6:7]
	v_cmp_nlt_f32_e64 s[6:7], s25, v12
	v_cndmask_b32_e64 v67, v56, v11, s[6:7]
	v_cmp_nlt_f32_e64 s[6:7], s25, v13
	;; [unrolled: 2-line block ×4, first 2 shown]
	s_waitcnt vmcnt(0) lgkmcnt(0)
	ds_write_b128 v0, v[16:19]
	flat_load_dwordx4 v[16:19], v[32:33]
	v_cndmask_b32_e64 v13, v56, v30, s[6:7]
	v_cmp_nlt_f32_e64 s[6:7], s25, v8
	v_cndmask_b32_e64 v12, v56, v60, s[6:7]
	v_cmp_nlt_f32_e64 s[6:7], s25, v34
	;; [unrolled: 2-line block ×5, first 2 shown]
	v_cndmask_b32_e64 v20, v56, v66, s[6:7]
	v_cmp_le_f32_e64 s[6:7], s24, v39
	v_cndmask_b32_e64 v31, v1, v11, s[10:11]
	v_cndmask_b32_e64 v1, 0, v20, s[6:7]
	;; [unrolled: 1-line block ×5, first 2 shown]
	v_cvt_f16_f32_e32 v6, v1
	v_cndmask_b32_e64 v0, 0, v67, s[18:19]
	v_cndmask_b32_e64 v7, v7, v14, s[16:17]
	v_cndmask_b32_e32 v4, v4, v10, vcc
	v_cndmask_b32_e64 v5, v5, v8, s[4:5]
	v_cvt_f16_f32_e32 v2, v2
	v_cvt_f16_f32_e32 v3, v3
	;; [unrolled: 1-line block ×8, first 2 shown]
	v_pk_mul_f16 v38, v6, v95 op_sel_hi:[0,1]
	v_pk_mul_f16 v56, v6, v97 op_sel_hi:[0,1]
	v_pk_mul_f16 v67, v6, v99 op_sel_hi:[0,1]
	v_pk_mul_f16 v71, v6, v228 op_sel_hi:[0,1]
	v_pk_mul_f16 v75, v6, v230 op_sel_hi:[0,1]
	v_pk_mul_f16 v79, v6, v232 op_sel_hi:[0,1]
	v_pk_mul_f16 v39, v6, v94 op_sel_hi:[0,1]
	v_pk_mul_f16 v63, v6, v96 op_sel_hi:[0,1]
	v_pk_mul_f16 v69, v6, v98 op_sel_hi:[0,1]
	v_pk_mul_f16 v73, v6, v227 op_sel_hi:[0,1]
	v_pk_mul_f16 v77, v6, v229 op_sel_hi:[0,1]
	v_pk_mul_f16 v81, v6, v231 op_sel_hi:[0,1]
	v_pack_b32_f16 v5, v2, v3
	v_pack_b32_f16 v2, v30, v31
	v_cvt_f32_f16_e32 v30, v38
	v_cvt_f32_f16_e32 v60, v56
	;; [unrolled: 1-line block ×6, first 2 shown]
	v_pack_b32_f16 v4, v20, v32
	v_pack_b32_f16 v3, v33, v34
	v_cvt_f32_f16_sdwa v31, v38 dst_sel:DWORD dst_unused:UNUSED_PAD src0_sel:WORD_1
	v_cvt_f32_f16_e32 v32, v39
	v_cvt_f32_f16_sdwa v33, v39 dst_sel:DWORD dst_unused:UNUSED_PAD src0_sel:WORD_1
	v_cvt_f32_f16_sdwa v61, v56 dst_sel:DWORD dst_unused:UNUSED_PAD src0_sel:WORD_1
	v_cvt_f32_f16_e32 v62, v63
	v_cvt_f32_f16_sdwa v63, v63 dst_sel:DWORD dst_unused:UNUSED_PAD src0_sel:WORD_1
	;; [unrolled: 3-line block ×6, first 2 shown]
	v_accvgpr_write_b32 a24, v30
	v_accvgpr_write_b32 a20, v60
	;; [unrolled: 1-line block ×24, first 2 shown]
	s_waitcnt vmcnt(0) lgkmcnt(0)
	ds_write_b128 v27, v[16:19]
	s_waitcnt lgkmcnt(0)
	s_barrier
	ds_read_u16 v20, v29 offset:560
	ds_read_u16 v27, v29 offset:592
	;; [unrolled: 1-line block ×12, first 2 shown]
	ds_read_u16 v19, v25
	ds_read_u16 v62, v29 offset:17952
	ds_read_u16 v59, v59 offset:16896
	;; [unrolled: 1-line block ×12, first 2 shown]
	ds_read_u16 v72, v28
	ds_read_u16 v73, v28 offset:32
	ds_read_u16 v74, v28 offset:64
	;; [unrolled: 1-line block ×8, first 2 shown]
	s_waitcnt lgkmcnt(14)
	v_perm_b32 v19, v19, v31, s8
	v_perm_b32 v31, v30, v66, s8
	s_waitcnt lgkmcnt(7)
	v_perm_b32 v30, v20, v73, s8
	v_pk_mul_f16 v83, v6, v235 op_sel_hi:[0,1]
	v_pk_mul_f16 v85, v6, v234 op_sel_hi:[0,1]
	v_cvt_f32_f16_e32 v82, v83
	v_perm_b32 v18, v18, v72, s8
	v_mfma_f32_16x16x16f16 a[20:23], v[30:31], v[4:5], a[20:23]
	v_perm_b32 v31, v60, v68, s8
	s_waitcnt lgkmcnt(5)
	v_perm_b32 v30, v32, v75, s8
	v_cvt_f32_f16_sdwa v83, v83 dst_sel:DWORD dst_unused:UNUSED_PAD src0_sel:WORD_1
	v_cvt_f32_f16_e32 v84, v85
	v_cvt_f32_f16_sdwa v85, v85 dst_sel:DWORD dst_unused:UNUSED_PAD src0_sel:WORD_1
	v_accvgpr_write_b32 a0, v82
	v_accvgpr_write_b32 a1, v83
	;; [unrolled: 1-line block ×4, first 2 shown]
	ds_read_u16 v72, v37 offset:16896
	ds_read_u16 v79, v35 offset:17424
	;; [unrolled: 1-line block ×8, first 2 shown]
	v_mfma_f32_16x16x16f16 a[24:27], v[18:19], v[4:5], a[24:27]
	ds_read_u16 v20, v52 offset:16896
	ds_read_u16 v52, v49 offset:17424
	;; [unrolled: 1-line block ×8, first 2 shown]
	v_perm_b32 v19, v39, v67, s8
	v_perm_b32 v18, v27, v74, s8
	ds_read_u16 v27, v45 offset:16896
	ds_read_u16 v67, v40 offset:17424
	;; [unrolled: 1-line block ×19, first 2 shown]
	s_waitcnt lgkmcnt(14)
	v_perm_b32 v44, v52, v20, s8
	v_perm_b32 v47, v48, v47, s8
	v_mfma_f32_16x16x16f16 a[12:15], v[30:31], v[4:5], a[12:15]
	s_waitcnt lgkmcnt(10)
	v_perm_b32 v31, v32, v70, s8
	v_perm_b32 v30, v34, v77, s8
	v_accvgpr_read_b32 v20, a24
	v_perm_b32 v48, v67, v27, s8
	v_accvgpr_read_b32 v27, a25
	v_cvt_f16_f32_e32 v20, v20
	v_perm_b32 v45, v50, v49, s8
	v_mfma_f32_16x16x16f16 a[4:7], v[30:31], v[4:5], a[4:7]
	s_waitcnt lgkmcnt(9)
	v_perm_b32 v31, v46, v71, s8
	v_perm_b32 v30, v56, v78, s8
	;; [unrolled: 1-line block ×3, first 2 shown]
	v_cvt_f16_f32_e32 v27, v27
	v_accvgpr_read_b32 v32, a20
	s_waitcnt lgkmcnt(0)
	v_perm_b32 v37, v37, v62, s8
	v_perm_b32 v36, v36, v38, s8
	v_mfma_f32_16x16x16f16 a[16:19], v[18:19], v[4:5], a[16:19]
	v_perm_b32 v19, v61, v69, s8
	v_perm_b32 v18, v33, v76, s8
	v_accvgpr_read_b32 v33, a21
	v_perm_b32 v46, v66, v51, s8
	v_accvgpr_read_b32 v34, a22
	v_cvt_f16_f32_e32 v77, v32
	v_cvt_f16_f32_e32 v78, v33
	v_mfma_f32_16x16x16f16 a[0:3], v[30:31], v[4:5], a[0:3]
	v_accvgpr_read_b32 v30, a26
	v_accvgpr_read_b32 v31, a27
	v_cvt_f16_f32_e32 v73, v30
	v_cvt_f16_f32_e32 v76, v31
	v_accvgpr_read_b32 v40, a16
	v_cvt_f32_f16_e32 v30, v20
	v_accvgpr_read_b32 v50, a17
	v_mfma_f32_16x16x16f16 a[8:11], v[18:19], v[4:5], a[8:11]
	v_perm_b32 v19, v80, v35, s8
	v_accvgpr_read_b32 v35, a23
	v_accvgpr_read_b32 v51, a18
	;; [unrolled: 1-line block ×3, first 2 shown]
	v_cvt_f16_f32_e32 v40, v40
	v_cvt_f32_f16_e32 v31, v27
	v_cvt_f32_f16_e32 v32, v73
	;; [unrolled: 1-line block ×3, first 2 shown]
	v_perm_b32 v18, v79, v72, s8
	v_cvt_f16_f32_e32 v79, v34
	v_cvt_f16_f32_e32 v80, v35
	;; [unrolled: 1-line block ×5, first 2 shown]
	v_accvgpr_read_b32 v69, a0
	v_accvgpr_read_b32 v70, a1
	;; [unrolled: 1-line block ×4, first 2 shown]
	v_accvgpr_write_b32 a0, v30
	v_perm_b32 v43, v54, v53, s8
	v_accvgpr_read_b32 v53, a12
	v_cvt_f32_f16_e32 v34, v77
	v_accvgpr_write_b32 a1, v31
	v_accvgpr_write_b32 a2, v32
	;; [unrolled: 1-line block ×3, first 2 shown]
	v_cvt_f32_f16_e32 v30, v40
	v_perm_b32 v42, v81, v55, s8
	v_accvgpr_read_b32 v54, a13
	v_accvgpr_read_b32 v55, a14
	;; [unrolled: 1-line block ×3, first 2 shown]
	v_cvt_f16_f32_e32 v53, v53
	v_mfma_f32_16x16x16f16 a[0:3], v[36:37], v[2:3], a[0:3]
	v_cvt_f32_f16_e32 v35, v78
	v_cvt_f32_f16_e32 v36, v79
	;; [unrolled: 1-line block ×6, first 2 shown]
	v_cvt_f16_f32_e32 v54, v54
	v_cvt_f16_f32_e32 v55, v55
	v_cvt_f16_f32_e32 v56, v56
	v_perm_b32 v39, v58, v57, s8
	v_accvgpr_read_b32 v57, a8
	v_perm_b32 v38, v63, v59, s8
	v_accvgpr_read_b32 v58, a9
	v_accvgpr_read_b32 v59, a10
	;; [unrolled: 1-line block ×7, first 2 shown]
	v_cvt_f16_f32_e32 v20, v57
	v_accvgpr_write_b32 a4, v34
	v_accvgpr_write_b32 a8, v30
	v_cvt_f16_f32_e32 v27, v58
	v_cvt_f16_f32_e32 v57, v59
	;; [unrolled: 1-line block ×3, first 2 shown]
	v_accvgpr_write_b32 a5, v35
	v_accvgpr_write_b32 a6, v36
	;; [unrolled: 1-line block ×3, first 2 shown]
	v_cvt_f32_f16_e32 v34, v53
	v_accvgpr_write_b32 a9, v31
	v_accvgpr_write_b32 a10, v32
	;; [unrolled: 1-line block ×3, first 2 shown]
	v_cvt_f32_f16_e32 v35, v54
	v_cvt_f32_f16_e32 v36, v55
	v_mfma_f32_16x16x16f16 a[8:11], v[18:19], v[2:3], a[8:11]
	v_cvt_f32_f16_e32 v37, v56
	v_cvt_f16_f32_e32 v18, v66
	v_cvt_f16_f32_e32 v19, v67
	v_cvt_f32_f16_e32 v30, v20
	v_accvgpr_write_b32 a12, v34
	v_cvt_f32_f16_e32 v31, v27
	v_cvt_f32_f16_e32 v32, v57
	v_mfma_f32_16x16x16f16 a[4:7], v[38:39], v[2:3], a[4:7]
	v_cvt_f16_f32_e32 v38, v62
	v_cvt_f32_f16_e32 v33, v58
	v_cvt_f16_f32_e32 v20, v69
	v_cvt_f16_f32_e32 v39, v63
	v_accvgpr_write_b32 a13, v35
	v_accvgpr_write_b32 a14, v36
	;; [unrolled: 1-line block ×3, first 2 shown]
	v_cvt_f16_f32_e32 v27, v70
	v_cvt_f32_f16_e32 v36, v18
	v_cvt_f32_f16_e32 v37, v19
	v_cvt_f16_f32_e32 v18, v71
	v_cvt_f16_f32_e32 v19, v72
	v_accvgpr_write_b32 a16, v30
	v_cvt_f32_f16_e32 v34, v38
	v_accvgpr_write_b32 a17, v31
	v_accvgpr_write_b32 a18, v32
	;; [unrolled: 1-line block ×3, first 2 shown]
	v_cvt_f32_f16_e32 v30, v20
	v_cvt_f32_f16_e32 v35, v39
	;; [unrolled: 1-line block ×5, first 2 shown]
	v_pk_mul_f16 v7, v6, v244 op_sel_hi:[0,1]
	v_accvgpr_write_b32 a20, v34
	v_accvgpr_write_b32 a24, v30
	ds_read_u16 v89, v25 offset:480
	v_mfma_f32_16x16x16f16 a[12:15], v[42:43], v[2:3], a[12:15]
	v_accvgpr_write_b32 a21, v35
	v_accvgpr_write_b32 a22, v36
	;; [unrolled: 1-line block ×3, first 2 shown]
	v_pk_mul_f16 v18, v6, v233 op_sel_hi:[0,1]
	v_cvt_f32_f16_e32 v34, v7
	v_cvt_f32_f16_sdwa v35, v7 dst_sel:DWORD dst_unused:UNUSED_PAD src0_sel:WORD_1
	v_accvgpr_write_b32 a25, v31
	v_accvgpr_write_b32 a26, v32
	;; [unrolled: 1-line block ×3, first 2 shown]
	ds_read_u16 v7, v29 offset:1280
	ds_read_u16 v20, v29 offset:1312
	;; [unrolled: 1-line block ×8, first 2 shown]
	v_mfma_f32_16x16x16f16 a[16:19], v[44:45], v[2:3], a[16:19]
	v_cvt_f32_f16_e32 v36, v18
	v_cvt_f32_f16_sdwa v37, v18 dst_sel:DWORD dst_unused:UNUSED_PAD src0_sel:WORD_1
	s_waitcnt lgkmcnt(7)
	v_perm_b32 v19, v60, v7, s8
	v_accvgpr_write_b32 a28, v34
	v_accvgpr_write_b32 a29, v35
	;; [unrolled: 1-line block ×4, first 2 shown]
	v_mfma_f32_16x16x16f16 a[20:23], v[46:47], v[2:3], a[20:23]
	s_add_i32 s6, 0, 0x100
	v_mfma_f32_16x16x16f16 a[24:27], v[48:49], v[2:3], a[24:27]
	ds_read_u16 v7, v29 offset:752
	ds_read_u16 v44, v29 offset:784
	;; [unrolled: 1-line block ×8, first 2 shown]
	s_waitcnt lgkmcnt(7)
	v_perm_b32 v18, v7, v16, s8
	s_nop 1
	v_mfma_f32_16x16x16f16 a[28:31], v[18:19], v[4:5], a[28:31]
	s_nop 7
	s_nop 2
	v_accvgpr_read_b32 v7, a28
	v_cvt_f16_f32_e32 v7, v7
	v_accvgpr_read_b32 v16, a29
	v_accvgpr_read_b32 v18, a30
	;; [unrolled: 1-line block ×3, first 2 shown]
	v_cvt_f16_f32_e32 v16, v16
	v_cvt_f16_f32_e32 v18, v18
	;; [unrolled: 1-line block ×3, first 2 shown]
	v_cvt_f32_f16_e32 v30, v7
	v_cvt_f32_f16_e32 v31, v16
	;; [unrolled: 1-line block ×4, first 2 shown]
	v_perm_b32 v19, v84, v83, s8
	v_perm_b32 v18, v82, v74, s8
	v_pk_mul_f16 v16, v6, v236 op_sel_hi:[0,1]
	v_accvgpr_write_b32 a28, v30
	v_pk_mul_f16 v7, v6, v237 op_sel_hi:[0,1]
	v_accvgpr_write_b32 a29, v31
	v_accvgpr_write_b32 a30, v32
	;; [unrolled: 1-line block ×3, first 2 shown]
	v_cvt_f32_f16_sdwa v33, v16 dst_sel:DWORD dst_unused:UNUSED_PAD src0_sel:WORD_1
	v_cvt_f32_f16_e32 v30, v7
	v_mfma_f32_16x16x16f16 a[28:31], v[18:19], v[2:3], a[28:31]
	v_cvt_f32_f16_sdwa v31, v7 dst_sel:DWORD dst_unused:UNUSED_PAD src0_sel:WORD_1
	v_cvt_f32_f16_e32 v32, v16
	v_perm_b32 v19, v68, v20, s8
	ds_read_u16 v7, v28 offset:256
	ds_read_u16 v16, v28 offset:288
	;; [unrolled: 1-line block ×8, first 2 shown]
	s_waitcnt lgkmcnt(7)
	v_perm_b32 v18, v44, v7, s8
	v_accvgpr_write_b32 a35, v33
	v_accvgpr_write_b32 a34, v32
	v_accvgpr_write_b32 a33, v31
	v_accvgpr_write_b32 a32, v30
	s_nop 1
	v_mfma_f32_16x16x16f16 a[32:35], v[18:19], v[4:5], a[32:35]
	s_nop 7
	s_nop 2
	v_accvgpr_read_b32 v7, a32
	v_cvt_f16_f32_e32 v7, v7
	v_accvgpr_read_b32 v18, a33
	v_accvgpr_read_b32 v19, a34
	;; [unrolled: 1-line block ×3, first 2 shown]
	v_cvt_f16_f32_e32 v18, v18
	v_cvt_f16_f32_e32 v19, v19
	;; [unrolled: 1-line block ×3, first 2 shown]
	v_mov_b32_e32 v28, s6
	v_mad_u32_u24 v28, v103, s9, v28
	s_add_i32 s6, 0, 0x120
	v_add_u32_e32 v32, v28, v24
	v_add3_u32 v33, v28, v22, v102
	v_add3_u32 v44, v28, v23, v102
	v_cvt_f32_f16_e32 v28, v7
	v_mov_b32_e32 v7, s6
	v_mad_u32_u24 v7, v103, s9, v7
	v_cvt_f32_f16_e32 v29, v18
	v_cvt_f32_f16_e32 v30, v19
	v_add_u32_e32 v18, v7, v24
	v_add3_u32 v19, v7, v22, v102
	v_add3_u32 v7, v7, v23, v102
	v_cvt_f32_f16_e32 v31, v31
	ds_read_u16 v32, v32 offset:16896
	ds_read_u16 v52, v33 offset:17424
	;; [unrolled: 1-line block ×8, first 2 shown]
	s_waitcnt lgkmcnt(4)
	v_perm_b32 v19, v44, v33, s8
	v_perm_b32 v18, v52, v32, s8
	v_pk_mul_f16 v33, v6, v238 op_sel_hi:[0,1]
	v_accvgpr_write_b32 a35, v31
	v_pk_mul_f16 v32, v6, v239 op_sel_hi:[0,1]
	v_accvgpr_write_b32 a34, v30
	v_accvgpr_write_b32 a33, v29
	v_accvgpr_write_b32 a32, v28
	v_cvt_f32_f16_sdwa v31, v33 dst_sel:DWORD dst_unused:UNUSED_PAD src0_sel:WORD_1
	v_cvt_f32_f16_e32 v28, v32
	v_mfma_f32_16x16x16f16 a[32:35], v[18:19], v[2:3], a[32:35]
	v_cvt_f32_f16_sdwa v29, v32 dst_sel:DWORD dst_unused:UNUSED_PAD src0_sel:WORD_1
	v_cvt_f32_f16_e32 v30, v33
	v_perm_b32 v19, v75, v27, s8
	v_perm_b32 v18, v45, v16, s8
	v_accvgpr_write_b32 a39, v31
	v_accvgpr_write_b32 a38, v30
	;; [unrolled: 1-line block ×4, first 2 shown]
	s_add_i32 s6, 0, 0x140
	s_nop 0
	v_mfma_f32_16x16x16f16 a[36:39], v[18:19], v[4:5], a[36:39]
	s_nop 7
	s_nop 2
	v_accvgpr_read_b32 v27, a39
	v_accvgpr_read_b32 v16, a36
	;; [unrolled: 1-line block ×4, first 2 shown]
	v_cvt_f16_f32_e32 v27, v27
	v_cvt_f16_f32_e32 v16, v16
	;; [unrolled: 1-line block ×4, first 2 shown]
	v_cvt_f32_f16_e32 v31, v27
	v_cvt_f32_f16_e32 v28, v16
	;; [unrolled: 1-line block ×4, first 2 shown]
	s_waitcnt lgkmcnt(0)
	v_perm_b32 v19, v7, v55, s8
	v_perm_b32 v18, v54, v53, s8
	v_pk_mul_f16 v16, v6, v240 op_sel_hi:[0,1]
	v_accvgpr_write_b32 a39, v31
	v_pk_mul_f16 v7, v6, v241 op_sel_hi:[0,1]
	v_accvgpr_write_b32 a38, v30
	v_accvgpr_write_b32 a37, v29
	;; [unrolled: 1-line block ×3, first 2 shown]
	v_cvt_f32_f16_sdwa v31, v16 dst_sel:DWORD dst_unused:UNUSED_PAD src0_sel:WORD_1
	v_cvt_f32_f16_e32 v28, v7
	v_mfma_f32_16x16x16f16 a[36:39], v[18:19], v[2:3], a[36:39]
	v_cvt_f32_f16_sdwa v29, v7 dst_sel:DWORD dst_unused:UNUSED_PAD src0_sel:WORD_1
	v_cvt_f32_f16_e32 v30, v16
	v_perm_b32 v19, v85, v38, s8
	v_perm_b32 v18, v46, v20, s8
	v_accvgpr_write_b32 a43, v31
	v_accvgpr_write_b32 a42, v30
	;; [unrolled: 1-line block ×4, first 2 shown]
	v_mov_b32_e32 v20, s6
	s_add_i32 s6, 0, 0x160
	v_mfma_f32_16x16x16f16 a[40:43], v[18:19], v[4:5], a[40:43]
	v_mad_u32_u24 v20, v103, s9, v20
	v_add_u32_e32 v27, v20, v24
	v_add3_u32 v32, v20, v22, v102
	v_add3_u32 v20, v20, v23, v102
	s_nop 6
	v_accvgpr_read_b32 v7, a40
	v_cvt_f16_f32_e32 v7, v7
	v_accvgpr_read_b32 v16, a41
	v_accvgpr_read_b32 v18, a42
	v_cvt_f16_f32_e32 v16, v16
	v_cvt_f16_f32_e32 v18, v18
	v_accvgpr_read_b32 v19, a43
	v_cvt_f16_f32_e32 v19, v19
	v_cvt_f32_f16_e32 v28, v7
	v_mov_b32_e32 v7, s6
	v_mad_u32_u24 v7, v103, s9, v7
	v_cvt_f32_f16_e32 v29, v16
	v_cvt_f32_f16_e32 v30, v18
	v_add_u32_e32 v16, v7, v24
	v_add3_u32 v18, v7, v22, v102
	v_add3_u32 v7, v7, v23, v102
	v_cvt_f32_f16_e32 v31, v19
	ds_read_u16 v27, v27 offset:16896
	ds_read_u16 v33, v32 offset:17424
	;; [unrolled: 1-line block ×8, first 2 shown]
	s_waitcnt lgkmcnt(4)
	v_perm_b32 v19, v20, v19, s8
	v_perm_b32 v18, v33, v27, s8
	v_pk_mul_f16 v27, v6, v242 op_sel_hi:[0,1]
	v_accvgpr_write_b32 a43, v31
	v_pk_mul_f16 v20, v6, v243 op_sel_hi:[0,1]
	v_accvgpr_write_b32 a42, v30
	v_accvgpr_write_b32 a41, v29
	;; [unrolled: 1-line block ×3, first 2 shown]
	v_cvt_f32_f16_sdwa v31, v27 dst_sel:DWORD dst_unused:UNUSED_PAD src0_sel:WORD_1
	v_cvt_f32_f16_e32 v28, v20
	v_mfma_f32_16x16x16f16 a[40:43], v[18:19], v[2:3], a[40:43]
	v_cvt_f32_f16_sdwa v29, v20 dst_sel:DWORD dst_unused:UNUSED_PAD src0_sel:WORD_1
	v_cvt_f32_f16_e32 v30, v27
	v_perm_b32 v19, v86, v39, s8
	v_perm_b32 v18, v47, v34, s8
	v_accvgpr_write_b32 a47, v31
	v_accvgpr_write_b32 a46, v30
	;; [unrolled: 1-line block ×4, first 2 shown]
	s_add_i32 s6, 0, 0x180
	ds_read_u16 v20, v25 offset:416
	ds_read_u16 v25, v25 offset:448
	v_mfma_f32_16x16x16f16 a[44:47], v[18:19], v[4:5], a[44:47]
	s_nop 7
	s_nop 2
	v_accvgpr_read_b32 v28, a47
	v_accvgpr_read_b32 v18, a44
	;; [unrolled: 1-line block ×4, first 2 shown]
	v_cvt_f16_f32_e32 v31, v28
	v_cvt_f16_f32_e32 v18, v18
	;; [unrolled: 1-line block ×4, first 2 shown]
	v_cvt_f32_f16_e32 v31, v31
	v_cvt_f32_f16_e32 v28, v18
	v_cvt_f32_f16_e32 v29, v19
	v_cvt_f32_f16_e32 v30, v27
	s_waitcnt lgkmcnt(2)
	v_perm_b32 v19, v7, v38, s8
	v_perm_b32 v18, v32, v16, s8
	v_pk_mul_f16 v16, v6, v245 op_sel_hi:[0,1]
	v_accvgpr_write_b32 a47, v31
	v_pk_mul_f16 v7, v6, v246 op_sel_hi:[0,1]
	v_accvgpr_write_b32 a46, v30
	v_accvgpr_write_b32 a45, v29
	;; [unrolled: 1-line block ×3, first 2 shown]
	v_cvt_f32_f16_sdwa v31, v16 dst_sel:DWORD dst_unused:UNUSED_PAD src0_sel:WORD_1
	v_cvt_f32_f16_e32 v28, v7
	v_mfma_f32_16x16x16f16 a[44:47], v[18:19], v[2:3], a[44:47]
	v_cvt_f32_f16_sdwa v29, v7 dst_sel:DWORD dst_unused:UNUSED_PAD src0_sel:WORD_1
	v_cvt_f32_f16_e32 v30, v16
	v_perm_b32 v19, v87, v40, s8
	v_perm_b32 v18, v48, v35, s8
	v_accvgpr_write_b32 a51, v31
	v_accvgpr_write_b32 a50, v30
	v_accvgpr_write_b32 a49, v29
	v_accvgpr_write_b32 a48, v28
	v_add_f32_e32 v7, v14, v0
	v_cndmask_b32_e64 v0, v0, v7, s[16:17]
	v_mfma_f32_16x16x16f16 a[48:51], v[18:19], v[4:5], a[48:51]
	v_add_f32_e32 v7, v0, v15
	v_mov_b32_e32 v19, s6
	s_add_i32 s6, 0, 0x1a0
	v_mad_u32_u24 v19, v103, s9, v19
	v_add_u32_e32 v27, v19, v24
	v_add3_u32 v32, v19, v22, v102
	v_add3_u32 v19, v19, v23, v102
	v_cndmask_b32_e64 v0, v0, v7, s[12:13]
	v_pk_mul_f16 v7, v6, v248 op_sel_hi:[0,1]
	s_nop 1
	v_accvgpr_read_b32 v14, a48
	v_cvt_f16_f32_e32 v14, v14
	v_accvgpr_read_b32 v16, a50
	v_accvgpr_read_b32 v15, a49
	v_cvt_f16_f32_e32 v16, v16
	v_accvgpr_read_b32 v18, a51
	v_cvt_f16_f32_e32 v15, v15
	v_cvt_f16_f32_e32 v18, v18
	v_cvt_f32_f16_e32 v28, v14
	v_mov_b32_e32 v14, s6
	v_mad_u32_u24 v14, v103, s9, v14
	v_cvt_f32_f16_e32 v30, v16
	v_add3_u32 v16, v14, v22, v102
	v_cvt_f32_f16_e32 v29, v15
	v_cvt_f32_f16_e32 v31, v18
	v_add_u32_e32 v15, v14, v24
	v_add3_u32 v14, v14, v23, v102
	ds_read_u16 v18, v27 offset:16896
	ds_read_u16 v27, v32 offset:17424
	;; [unrolled: 1-line block ×8, first 2 shown]
	s_waitcnt lgkmcnt(4)
	v_perm_b32 v15, v19, v32, s8
	v_perm_b32 v14, v27, v18, s8
	v_pk_mul_f16 v18, v6, v247 op_sel_hi:[0,1]
	v_accvgpr_write_b32 a51, v31
	v_accvgpr_write_b32 a50, v30
	;; [unrolled: 1-line block ×4, first 2 shown]
	v_cvt_f32_f16_sdwa v31, v18 dst_sel:DWORD dst_unused:UNUSED_PAD src0_sel:WORD_1
	v_cvt_f32_f16_e32 v28, v7
	v_mfma_f32_16x16x16f16 a[48:51], v[14:15], v[2:3], a[48:51]
	v_cvt_f32_f16_sdwa v29, v7 dst_sel:DWORD dst_unused:UNUSED_PAD src0_sel:WORD_1
	v_cvt_f32_f16_e32 v30, v18
	v_perm_b32 v15, v20, v42, s8
	v_perm_b32 v14, v49, v36, s8
	v_accvgpr_write_b32 a55, v31
	v_accvgpr_write_b32 a54, v30
	;; [unrolled: 1-line block ×4, first 2 shown]
	v_add_f32_e32 v7, v0, v13
	v_cndmask_b32_e64 v7, v0, v7, s[14:15]
	v_mfma_f32_16x16x16f16 a[52:55], v[14:15], v[4:5], a[52:55]
	v_perm_b32 v19, v25, v43, s8
	v_perm_b32 v18, v50, v37, s8
	s_add_i32 s6, 0, 0x1c0
	s_nop 7
	v_accvgpr_read_b32 v15, a55
	v_accvgpr_read_b32 v0, a52
	;; [unrolled: 1-line block ×4, first 2 shown]
	v_cvt_f16_f32_e32 v15, v15
	v_cvt_f16_f32_e32 v0, v0
	;; [unrolled: 1-line block ×4, first 2 shown]
	v_cvt_f32_f16_e32 v31, v15
	v_cvt_f32_f16_e32 v28, v0
	;; [unrolled: 1-line block ×4, first 2 shown]
	s_waitcnt lgkmcnt(0)
	v_perm_b32 v15, v35, v16, s8
	v_perm_b32 v14, v34, v33, s8
	v_accvgpr_write_b32 a55, v31
	v_pk_mul_f16 v16, v6, v249 op_sel_hi:[0,1]
	v_accvgpr_write_b32 a54, v30
	v_accvgpr_write_b32 a53, v29
	;; [unrolled: 1-line block ×3, first 2 shown]
	v_pk_mul_f16 v13, v6, v250 op_sel_hi:[0,1]
	v_add_f32_e32 v0, v12, v7
	v_mfma_f32_16x16x16f16 a[52:55], v[14:15], v[2:3], a[52:55]
	v_cvt_f32_f16_sdwa v15, v16 dst_sel:DWORD dst_unused:UNUSED_PAD src0_sel:WORD_1
	v_cvt_f32_f16_e32 v12, v13
	v_cvt_f32_f16_sdwa v13, v13 dst_sel:DWORD dst_unused:UNUSED_PAD src0_sel:WORD_1
	v_cvt_f32_f16_e32 v14, v16
	v_accvgpr_write_b32 a59, v15
	v_accvgpr_write_b32 a56, v12
	;; [unrolled: 1-line block ×4, first 2 shown]
	v_cndmask_b32_e64 v0, v7, v0, s[20:21]
	v_add_f32_e32 v7, v11, v0
	v_mfma_f32_16x16x16f16 a[56:59], v[18:19], v[4:5], a[56:59]
	v_cndmask_b32_e64 v0, v0, v7, s[10:11]
	s_nop 7
	s_nop 1
	v_accvgpr_read_b32 v12, a58
	v_cvt_f16_f32_e32 v14, v12
	v_accvgpr_read_b32 v12, a59
	v_accvgpr_read_b32 v7, a56
	;; [unrolled: 1-line block ×3, first 2 shown]
	v_cvt_f16_f32_e32 v15, v12
	v_cvt_f16_f32_e32 v7, v7
	;; [unrolled: 1-line block ×3, first 2 shown]
	v_mov_b32_e32 v12, s6
	v_mad_u32_u24 v12, v103, s9, v12
	v_cvt_f32_f16_e32 v15, v15
	s_add_i32 s6, 0, 0x1e0
	v_add_u32_e32 v16, v12, v24
	v_add3_u32 v18, v12, v22, v102
	v_add3_u32 v19, v12, v23, v102
	v_cvt_f32_f16_e32 v12, v7
	v_cvt_f32_f16_e32 v13, v11
	;; [unrolled: 1-line block ×3, first 2 shown]
	v_mov_b32_e32 v7, s6
	v_mad_u32_u24 v7, v103, s9, v7
	v_add_u32_e32 v11, v7, v24
	v_add3_u32 v20, v7, v22, v102
	v_add3_u32 v7, v7, v23, v102
	ds_read_u16 v16, v16 offset:16896
	ds_read_u16 v22, v18 offset:17424
	;; [unrolled: 1-line block ×8, first 2 shown]
	v_pk_mul_f16 v7, v6, v252 op_sel_hi:[0,1]
	v_pk_mul_f16 v6, v6, v251 op_sel_hi:[0,1]
	v_accvgpr_write_b32 a59, v15
	v_accvgpr_write_b32 a58, v14
	;; [unrolled: 1-line block ×4, first 2 shown]
	v_cvt_f32_f16_sdwa v13, v6 dst_sel:DWORD dst_unused:UNUSED_PAD src0_sel:WORD_1
	s_waitcnt lgkmcnt(4)
	v_perm_b32 v19, v19, v18, s8
	v_perm_b32 v18, v22, v16, s8
	v_add_f32_e32 v16, v10, v0
	v_cvt_f32_f16_e32 v10, v7
	v_cvt_f32_f16_sdwa v11, v7 dst_sel:DWORD dst_unused:UNUSED_PAD src0_sel:WORD_1
	v_cvt_f32_f16_e32 v12, v6
	v_perm_b32 v7, v89, v88, s8
	v_perm_b32 v6, v17, v51, s8
	v_accvgpr_write_b32 a63, v13
	v_accvgpr_write_b32 a62, v12
	v_accvgpr_write_b32 a61, v11
	v_accvgpr_write_b32 a60, v10
	v_cndmask_b32_e32 v0, v0, v16, vcc
	v_add_f32_e32 v8, v8, v0
	v_mfma_f32_16x16x16f16 a[60:63], v[6:7], v[4:5], a[60:63]
	v_cndmask_b32_e64 v0, v0, v8, s[4:5]
	s_waitcnt lgkmcnt(0)
	v_perm_b32 v11, v25, v20, s8
	v_perm_b32 v10, v24, v23, s8
	v_fmac_f32_e32 v0, v41, v1
	ds_bpermute_b32 v1, v26, v0
	s_movk_i32 s8, 0x210
	v_cmp_gt_u32_e64 s[4:5], 16, v64
	v_mfma_f32_16x16x16f16 a[56:59], v[18:19], v[2:3], a[56:59]
	s_waitcnt lgkmcnt(0)
	v_add_f32_e32 v0, v0, v1
	ds_bpermute_b32 v1, v21, v0
	v_accvgpr_read_b32 v7, a63
	v_accvgpr_read_b32 v4, a60
	;; [unrolled: 1-line block ×4, first 2 shown]
	v_cvt_f16_f32_e32 v7, v7
	v_cvt_f16_f32_e32 v4, v4
	;; [unrolled: 1-line block ×4, first 2 shown]
	v_cvt_f32_f16_e32 v7, v7
	v_cvt_f32_f16_e32 v4, v4
	;; [unrolled: 1-line block ×4, first 2 shown]
	v_accvgpr_write_b32 a63, v7
	v_accvgpr_write_b32 a60, v4
	;; [unrolled: 1-line block ×4, first 2 shown]
	s_barrier
	s_waitcnt lgkmcnt(0)
	v_mfma_f32_16x16x16f16 a[60:63], v[10:11], v[2:3], a[60:63]
	s_and_saveexec_b64 s[6:7], s[4:5]
	s_cbranch_execz .LBB29_399
; %bb.398:
	v_add_f32_e32 v0, v0, v1
	v_or_b32_e32 v1, v90, v64
	v_mad_u32_u24 v1, v1, s8, 0
	ds_write2_b32 v1, v9, v0 offset0:128 offset1:129
.LBB29_399:
	s_or_b64 exec, exec, s[6:7]
	v_cmp_eq_u32_e32 vcc, 0, v92
	v_cmp_eq_u32_e64 s[6:7], 1, v92
	s_waitcnt lgkmcnt(0)
	s_barrier
	s_and_saveexec_b64 s[8:9], s[6:7]
	s_xor_b64 s[6:7], exec, s[8:9]
	s_cbranch_execz .LBB29_401
; %bb.400:
	s_barrier
	s_waitcnt lgkmcnt(0)
                                        ; implicit-def: $vgpr91
                                        ; implicit-def: $vgpr21
.LBB29_401:
	s_andn2_saveexec_b64 s[8:9], s[6:7]
	s_cbranch_execz .LBB29_407
; %bb.402:
	v_and_or_b32 v1, v64, 31, v90
	s_movk_i32 s6, 0x210
	v_mad_u32_u24 v0, v1, s6, 0
	ds_read_b64 v[4:5], v0 offset:512
	s_mov_b32 s6, 0x3fb8aa3b
	s_mov_b32 s10, 0x42b17218
	s_waitcnt lgkmcnt(0)
	s_barrier
	ds_bpermute_b32 v0, v21, v4
	v_max_f32_e32 v2, v4, v4
	s_waitcnt lgkmcnt(0)
	v_max_f32_e32 v0, v0, v0
	v_max_f32_e32 v0, v2, v0
	v_sub_f32_e32 v2, v4, v0
	v_mul_f32_e32 v3, 0x3fb8aa3b, v2
	v_fma_f32 v4, v2, s6, -v3
	v_rndne_f32_e32 v6, v3
	v_fmac_f32_e32 v4, 0x32a5705f, v2
	v_sub_f32_e32 v3, v3, v6
	v_add_f32_e32 v3, v3, v4
	v_cvt_i32_f32_e32 v6, v6
	v_exp_f32_e32 v3, v3
	s_mov_b32 s6, 0xc2ce8ed0
	v_cmp_ngt_f32_e64 s[6:7], s6, v2
	v_mov_b32_e32 v4, 0x7f800000
	v_ldexp_f32 v3, v3, v6
	v_cndmask_b32_e64 v3, 0, v3, s[6:7]
	v_cmp_nlt_f32_e64 s[6:7], s10, v2
	v_cndmask_b32_e64 v2, v4, v3, s[6:7]
	v_mul_f32_e32 v3, v5, v2
	ds_bpermute_b32 v3, v21, v3
	v_cmp_gt_u32_e64 s[6:7], 32, v64
	s_waitcnt lgkmcnt(0)
	v_fmac_f32_e32 v3, v5, v2
	s_and_saveexec_b64 s[10:11], s[6:7]
	s_cbranch_execz .LBB29_404
; %bb.403:
	v_mul_u32_u24_e32 v1, 0x210, v1
	v_add_u32_e32 v1, 0, v1
	ds_write_b64 v1, v[2:3] offset:512
.LBB29_404:
	s_or_b64 exec, exec, s[10:11]
	s_and_saveexec_b64 s[6:7], s[4:5]
	s_cbranch_execz .LBB29_406
; %bb.405:
	s_add_i32 s4, s69, s68
	s_lshl_b32 s4, s4, 5
	s_mov_b32 s5, 0
	s_lshl_b64 s[4:5], s[4:5], 3
	s_add_u32 s4, s74, s4
	v_or_b32_e32 v1, v91, v64
	s_addc_u32 s5, s75, s5
	v_lshlrev_b32_e32 v2, 3, v1
	v_mov_b32_e32 v1, v3
	global_store_dwordx2 v2, v[0:1], s[4:5]
.LBB29_406:
	s_or_b64 exec, exec, s[6:7]
.LBB29_407:
	s_or_b64 exec, exec, s[8:9]
	v_accvgpr_read_b32 v0, a60
	v_accvgpr_read_b32 v1, a61
	;; [unrolled: 1-line block ×3, first 2 shown]
	v_cvt_f16_f32_e32 v0, v0
	v_cvt_f16_f32_e32 v1, v1
	v_accvgpr_read_b32 v62, a2
	v_accvgpr_read_b32 v61, a1
	;; [unrolled: 1-line block ×61, first 2 shown]
	v_cvt_f16_f32_e32 v60, v60
	v_cvt_f16_f32_e32 v61, v61
	;; [unrolled: 1-line block ×62, first 2 shown]
	v_pack_b32_f16 v0, v0, v1
	v_or_b32_e32 v1, v90, v101
	s_movk_i32 s4, 0x84
	v_mad_u32_u24 v1, v1, s4, v93
	v_pack_b32_f16 v62, v62, v63
	v_pack_b32_f16 v60, v60, v61
	s_mov_b32 s7, 0
	v_lshl_add_u32 v1, v1, 2, 0
	v_pack_b32_f16 v58, v58, v59
	v_pack_b32_f16 v56, v56, v57
	;; [unrolled: 1-line block ×29, first 2 shown]
	ds_write2_b32 v1, v60, v62 offset1:1
	ds_write2_b32 v1, v56, v58 offset0:8 offset1:9
	ds_write2_b32 v1, v52, v54 offset0:16 offset1:17
	;; [unrolled: 1-line block ×15, first 2 shown]
	s_waitcnt lgkmcnt(0)
	s_barrier
	s_and_saveexec_b64 s[4:5], vcc
	s_cbranch_execz .LBB29_409
; %bb.408:
	s_lshl_b32 s6, s69, 6
	s_lshl_b64 s[8:9], s[6:7], 3
	s_add_u32 s8, s74, s8
	s_addc_u32 s9, s75, s9
	s_lshl_b32 s6, s68, 12
	s_lshl_b64 s[6:7], s[6:7], 3
	s_add_u32 s6, s8, s6
	v_bfe_u32 v1, v165, 1, 4
	s_movk_i32 s8, 0x3e0
	v_and_or_b32 v0, v165, s8, v1
	s_movk_i32 s8, 0x210
	v_mad_u32_u24 v6, v0, s8, 0
	v_add_u32_e32 v0, v6, v65
	ds_read2st64_b32 v[2:3], v0 offset1:1
	ds_read2st64_b32 v[4:5], v0 offset0:33 offset1:34
	ds_read2st64_b32 v[6:7], v6 offset0:2 offset1:35
	v_lshrrev_b32_e32 v0, 1, v165
	s_addc_u32 s7, s9, s7
	s_waitcnt lgkmcnt(2)
	v_cvt_f32_f16_e32 v8, v2
	v_cvt_f32_f16_sdwa v9, v2 dst_sel:DWORD dst_unused:UNUSED_PAD src0_sel:WORD_1
	s_waitcnt lgkmcnt(1)
	v_cvt_f32_f16_e32 v10, v4
	v_cvt_f32_f16_sdwa v11, v4 dst_sel:DWORD dst_unused:UNUSED_PAD src0_sel:WORD_1
	s_waitcnt lgkmcnt(0)
	v_mov_b32_e32 v2, v7
	v_pk_fma_f32 v[8:9], v[6:7], v[8:9], 0 op_sel_hi:[0,1,0]
	v_cvt_f32_f16_e32 v4, v5
	v_pk_fma_f32 v[8:9], v[2:3], v[10:11], v[8:9] op_sel_hi:[0,1,1]
	v_cvt_f32_f16_e32 v10, v3
	v_cvt_f32_f16_sdwa v11, v3 dst_sel:DWORD dst_unused:UNUSED_PAD src0_sel:WORD_1
	v_cvt_f32_f16_sdwa v5, v5 dst_sel:DWORD dst_unused:UNUSED_PAD src0_sel:WORD_1
	s_movk_i32 s9, 0x7e0
	v_lshlrev_b32_e32 v12, 6, v165
	v_pk_fma_f32 v[6:7], v[6:7], v[10:11], 0 op_sel_hi:[0,1,0]
	v_pk_fma_f32 v[2:3], v[2:3], v[4:5], v[6:7] op_sel_hi:[0,1,1]
	v_add_u32_e32 v6, 2, v0
	v_lshlrev_b32_e32 v4, 1, v6
	v_and_b32_e32 v5, 15, v6
	v_and_or_b32 v4, v4, s9, v5
	v_add_lshl_u32 v12, v64, v12, 3
	v_mad_u32_u24 v7, v4, s8, 0
	global_store_dwordx2 v12, v[8:9], s[6:7]
	v_add_u32_e32 v8, v7, v65
	ds_read2st64_b32 v[4:5], v8 offset1:1
	global_store_dwordx2 v12, v[2:3], s[6:7] offset:512
	ds_read2st64_b32 v[2:3], v8 offset0:33 offset1:34
	v_lshlrev_b32_e32 v12, 7, v6
	ds_read2st64_b32 v[6:7], v7 offset0:2 offset1:35
	s_waitcnt lgkmcnt(2)
	v_cvt_f32_f16_e32 v8, v4
	v_cvt_f32_f16_sdwa v9, v4 dst_sel:DWORD dst_unused:UNUSED_PAD src0_sel:WORD_1
	s_waitcnt lgkmcnt(1)
	v_cvt_f32_f16_e32 v10, v2
	v_cvt_f32_f16_sdwa v11, v2 dst_sel:DWORD dst_unused:UNUSED_PAD src0_sel:WORD_1
	s_waitcnt lgkmcnt(0)
	v_mov_b32_e32 v2, v7
	v_pk_fma_f32 v[8:9], v[6:7], v[8:9], 0 op_sel_hi:[0,1,0]
	v_add_lshl_u32 v4, v64, v12, 3
	v_pk_fma_f32 v[8:9], v[2:3], v[10:11], v[8:9] op_sel_hi:[0,1,1]
	global_store_dwordx2 v4, v[8:9], s[6:7]
	v_cvt_f32_f16_e32 v4, v5
	v_cvt_f32_f16_sdwa v5, v5 dst_sel:DWORD dst_unused:UNUSED_PAD src0_sel:WORD_1
	v_cvt_f32_f16_e32 v10, v3
	v_cvt_f32_f16_sdwa v11, v3 dst_sel:DWORD dst_unused:UNUSED_PAD src0_sel:WORD_1
	v_add_co_u32_e32 v8, vcc, v64, v12
	v_mov_b32_e32 v7, s7
	v_addc_co_u32_e64 v9, s[10:11], 0, 0, vcc
	v_pk_fma_f32 v[4:5], v[6:7], v[4:5], 0 op_sel_hi:[0,1,0]
	v_add_u32_e32 v6, 4, v0
	v_lshlrev_b64 v[8:9], 3, v[8:9]
	v_pk_fma_f32 v[2:3], v[2:3], v[10:11], v[4:5] op_sel_hi:[0,1,1]
	v_lshlrev_b32_e32 v4, 1, v6
	v_and_b32_e32 v5, 15, v6
	v_add_co_u32_e32 v8, vcc, s6, v8
	v_and_or_b32 v4, v4, s9, v5
	v_addc_co_u32_e32 v9, vcc, v7, v9, vcc
	v_mad_u32_u24 v7, v4, s8, 0
	v_add_u32_e32 v10, v7, v65
	ds_read2st64_b32 v[4:5], v10 offset1:1
	global_store_dwordx2 v[8:9], v[2:3], off offset:512
	ds_read2st64_b32 v[2:3], v10 offset0:33 offset1:34
	v_lshlrev_b32_e32 v12, 7, v6
	ds_read2st64_b32 v[6:7], v7 offset0:2 offset1:35
	s_waitcnt lgkmcnt(2)
	v_cvt_f32_f16_e32 v8, v4
	v_cvt_f32_f16_sdwa v9, v4 dst_sel:DWORD dst_unused:UNUSED_PAD src0_sel:WORD_1
	s_waitcnt lgkmcnt(1)
	v_cvt_f32_f16_e32 v10, v2
	v_cvt_f32_f16_sdwa v11, v2 dst_sel:DWORD dst_unused:UNUSED_PAD src0_sel:WORD_1
	s_waitcnt lgkmcnt(0)
	v_mov_b32_e32 v2, v7
	v_pk_fma_f32 v[8:9], v[6:7], v[8:9], 0 op_sel_hi:[0,1,0]
	v_add_lshl_u32 v4, v64, v12, 3
	v_pk_fma_f32 v[8:9], v[2:3], v[10:11], v[8:9] op_sel_hi:[0,1,1]
	global_store_dwordx2 v4, v[8:9], s[6:7]
	v_cvt_f32_f16_e32 v4, v5
	v_cvt_f32_f16_sdwa v5, v5 dst_sel:DWORD dst_unused:UNUSED_PAD src0_sel:WORD_1
	v_cvt_f32_f16_e32 v10, v3
	v_cvt_f32_f16_sdwa v11, v3 dst_sel:DWORD dst_unused:UNUSED_PAD src0_sel:WORD_1
	v_add_co_u32_e32 v8, vcc, v64, v12
	v_mov_b32_e32 v7, s7
	v_addc_co_u32_e64 v9, s[10:11], 0, 0, vcc
	v_pk_fma_f32 v[4:5], v[6:7], v[4:5], 0 op_sel_hi:[0,1,0]
	v_add_u32_e32 v6, 6, v0
	v_lshlrev_b64 v[8:9], 3, v[8:9]
	v_pk_fma_f32 v[2:3], v[2:3], v[10:11], v[4:5] op_sel_hi:[0,1,1]
	v_lshlrev_b32_e32 v4, 1, v6
	v_and_b32_e32 v5, 15, v6
	v_add_co_u32_e32 v8, vcc, s6, v8
	v_and_or_b32 v4, v4, s9, v5
	v_addc_co_u32_e32 v9, vcc, v7, v9, vcc
	v_mad_u32_u24 v7, v4, s8, 0
	v_add_u32_e32 v10, v7, v65
	ds_read2st64_b32 v[4:5], v10 offset1:1
	global_store_dwordx2 v[8:9], v[2:3], off offset:512
	;; [unrolled: 35-line block ×6, first 2 shown]
	ds_read2st64_b32 v[2:3], v10 offset0:33 offset1:34
	v_lshlrev_b32_e32 v12, 7, v6
	ds_read2st64_b32 v[6:7], v7 offset0:2 offset1:35
	s_waitcnt lgkmcnt(2)
	v_cvt_f32_f16_e32 v8, v4
	v_cvt_f32_f16_sdwa v9, v4 dst_sel:DWORD dst_unused:UNUSED_PAD src0_sel:WORD_1
	s_waitcnt lgkmcnt(1)
	v_cvt_f32_f16_e32 v10, v2
	v_cvt_f32_f16_sdwa v11, v2 dst_sel:DWORD dst_unused:UNUSED_PAD src0_sel:WORD_1
	s_waitcnt lgkmcnt(0)
	v_mov_b32_e32 v2, v7
	v_pk_fma_f32 v[8:9], v[6:7], v[8:9], 0 op_sel_hi:[0,1,0]
	v_add_lshl_u32 v4, v64, v12, 3
	v_pk_fma_f32 v[8:9], v[2:3], v[10:11], v[8:9] op_sel_hi:[0,1,1]
	global_store_dwordx2 v4, v[8:9], s[6:7]
	v_cvt_f32_f16_e32 v4, v5
	v_cvt_f32_f16_sdwa v5, v5 dst_sel:DWORD dst_unused:UNUSED_PAD src0_sel:WORD_1
	v_cvt_f32_f16_e32 v10, v3
	v_cvt_f32_f16_sdwa v11, v3 dst_sel:DWORD dst_unused:UNUSED_PAD src0_sel:WORD_1
	v_mov_b32_e32 v7, s7
	v_add_co_u32_e32 v8, vcc, v64, v12
	v_pk_fma_f32 v[4:5], v[6:7], v[4:5], 0 op_sel_hi:[0,1,0]
	v_add_u32_e32 v6, 16, v0
	v_addc_co_u32_e64 v9, s[10:11], 0, 0, vcc
	v_pk_fma_f32 v[2:3], v[2:3], v[10:11], v[4:5] op_sel_hi:[0,1,1]
	v_lshlrev_b32_e32 v4, 1, v6
	v_lshlrev_b64 v[8:9], 3, v[8:9]
	v_and_or_b32 v1, v4, s9, v1
	v_add_co_u32_e32 v8, vcc, s6, v8
	v_mad_u32_u24 v1, v1, s8, 0
	v_addc_co_u32_e32 v9, vcc, v7, v9, vcc
	v_add_u32_e32 v7, v1, v65
	ds_read2st64_b32 v[4:5], v7 offset1:1
	global_store_dwordx2 v[8:9], v[2:3], off offset:512
	ds_read2st64_b32 v[2:3], v7 offset0:33 offset1:34
	v_lshlrev_b32_e32 v12, 7, v6
	ds_read2st64_b32 v[6:7], v1 offset0:2 offset1:35
	s_waitcnt lgkmcnt(2)
	v_cvt_f32_f16_e32 v8, v4
	v_cvt_f32_f16_sdwa v9, v4 dst_sel:DWORD dst_unused:UNUSED_PAD src0_sel:WORD_1
	s_waitcnt lgkmcnt(1)
	v_cvt_f32_f16_e32 v10, v2
	v_cvt_f32_f16_sdwa v11, v2 dst_sel:DWORD dst_unused:UNUSED_PAD src0_sel:WORD_1
	s_waitcnt lgkmcnt(0)
	v_mov_b32_e32 v2, v7
	v_pk_fma_f32 v[8:9], v[6:7], v[8:9], 0 op_sel_hi:[0,1,0]
	v_add_lshl_u32 v1, v64, v12, 3
	v_pk_fma_f32 v[8:9], v[2:3], v[10:11], v[8:9] op_sel_hi:[0,1,1]
	global_store_dwordx2 v1, v[8:9], s[6:7]
	v_add_co_u32_e32 v8, vcc, v64, v12
	v_cvt_f32_f16_e32 v4, v5
	v_cvt_f32_f16_sdwa v5, v5 dst_sel:DWORD dst_unused:UNUSED_PAD src0_sel:WORD_1
	v_addc_co_u32_e64 v9, s[10:11], 0, 0, vcc
	v_cvt_f32_f16_e32 v10, v3
	v_cvt_f32_f16_sdwa v11, v3 dst_sel:DWORD dst_unused:UNUSED_PAD src0_sel:WORD_1
	v_lshlrev_b64 v[8:9], 3, v[8:9]
	v_mov_b32_e32 v1, s7
	v_add_co_u32_e32 v8, vcc, s6, v8
	v_addc_co_u32_e32 v9, vcc, v1, v9, vcc
	v_pk_fma_f32 v[4:5], v[6:7], v[4:5], 0 op_sel_hi:[0,1,0]
	v_add_u32_e32 v1, 18, v0
	v_pk_fma_f32 v[2:3], v[2:3], v[10:11], v[4:5] op_sel_hi:[0,1,1]
	v_lshlrev_b32_e32 v4, 1, v1
	v_and_b32_e32 v5, 15, v1
	v_and_or_b32 v4, v4, s9, v5
	v_mad_u32_u24 v6, v4, s8, 0
	v_add_u32_e32 v7, v6, v65
	ds_read2st64_b32 v[4:5], v7 offset1:1
	global_store_dwordx2 v[8:9], v[2:3], off offset:512
	ds_read2st64_b32 v[2:3], v7 offset0:33 offset1:34
	ds_read2st64_b32 v[6:7], v6 offset0:2 offset1:35
	v_lshlrev_b32_e32 v1, 7, v1
	s_waitcnt lgkmcnt(2)
	v_cvt_f32_f16_e32 v8, v4
	v_cvt_f32_f16_sdwa v9, v4 dst_sel:DWORD dst_unused:UNUSED_PAD src0_sel:WORD_1
	s_waitcnt lgkmcnt(1)
	v_cvt_f32_f16_e32 v10, v2
	v_cvt_f32_f16_sdwa v11, v2 dst_sel:DWORD dst_unused:UNUSED_PAD src0_sel:WORD_1
	s_waitcnt lgkmcnt(0)
	v_mov_b32_e32 v2, v7
	v_pk_fma_f32 v[8:9], v[6:7], v[8:9], 0 op_sel_hi:[0,1,0]
	v_add_lshl_u32 v4, v64, v1, 3
	v_pk_fma_f32 v[8:9], v[2:3], v[10:11], v[8:9] op_sel_hi:[0,1,1]
	global_store_dwordx2 v4, v[8:9], s[6:7]
	v_add_co_u32_e32 v8, vcc, v64, v1
	v_cvt_f32_f16_e32 v4, v5
	v_cvt_f32_f16_sdwa v5, v5 dst_sel:DWORD dst_unused:UNUSED_PAD src0_sel:WORD_1
	v_addc_co_u32_e64 v9, s[10:11], 0, 0, vcc
	v_cvt_f32_f16_e32 v10, v3
	v_cvt_f32_f16_sdwa v11, v3 dst_sel:DWORD dst_unused:UNUSED_PAD src0_sel:WORD_1
	v_lshlrev_b64 v[8:9], 3, v[8:9]
	v_mov_b32_e32 v1, s7
	v_add_co_u32_e32 v8, vcc, s6, v8
	v_addc_co_u32_e32 v9, vcc, v1, v9, vcc
	v_pk_fma_f32 v[4:5], v[6:7], v[4:5], 0 op_sel_hi:[0,1,0]
	v_add_u32_e32 v1, 20, v0
	v_pk_fma_f32 v[2:3], v[2:3], v[10:11], v[4:5] op_sel_hi:[0,1,1]
	v_lshlrev_b32_e32 v4, 1, v1
	v_and_b32_e32 v5, 15, v1
	v_and_or_b32 v4, v4, s9, v5
	v_mad_u32_u24 v6, v4, s8, 0
	v_add_u32_e32 v7, v6, v65
	ds_read2st64_b32 v[4:5], v7 offset1:1
	global_store_dwordx2 v[8:9], v[2:3], off offset:512
	ds_read2st64_b32 v[2:3], v7 offset0:33 offset1:34
	ds_read2st64_b32 v[6:7], v6 offset0:2 offset1:35
	v_lshlrev_b32_e32 v1, 7, v1
	;; [unrolled: 35-line block ×6, first 2 shown]
	s_waitcnt lgkmcnt(2)
	v_cvt_f32_f16_e32 v8, v4
	v_cvt_f32_f16_sdwa v9, v4 dst_sel:DWORD dst_unused:UNUSED_PAD src0_sel:WORD_1
	s_waitcnt lgkmcnt(1)
	v_cvt_f32_f16_e32 v10, v2
	v_cvt_f32_f16_sdwa v11, v2 dst_sel:DWORD dst_unused:UNUSED_PAD src0_sel:WORD_1
	s_waitcnt lgkmcnt(0)
	v_mov_b32_e32 v2, v7
	v_pk_fma_f32 v[8:9], v[6:7], v[8:9], 0 op_sel_hi:[0,1,0]
	v_add_lshl_u32 v4, v64, v1, 3
	v_pk_fma_f32 v[8:9], v[2:3], v[10:11], v[8:9] op_sel_hi:[0,1,1]
	global_store_dwordx2 v4, v[8:9], s[6:7]
	v_cvt_f32_f16_e32 v4, v5
	v_cvt_f32_f16_sdwa v5, v5 dst_sel:DWORD dst_unused:UNUSED_PAD src0_sel:WORD_1
	v_cvt_f32_f16_e32 v10, v3
	v_cvt_f32_f16_sdwa v11, v3 dst_sel:DWORD dst_unused:UNUSED_PAD src0_sel:WORD_1
	v_add_co_u32_e32 v8, vcc, v64, v1
	v_addc_co_u32_e64 v9, s[10:11], 0, 0, vcc
	v_lshlrev_b64 v[8:9], 3, v[8:9]
	v_pk_fma_f32 v[4:5], v[6:7], v[4:5], 0 op_sel_hi:[0,1,0]
	v_mov_b32_e32 v1, s7
	v_add_co_u32_e32 v8, vcc, s6, v8
	v_pk_fma_f32 v[2:3], v[2:3], v[10:11], v[4:5] op_sel_hi:[0,1,1]
	v_add_u32_e32 v4, 30, v0
	v_addc_co_u32_e32 v9, vcc, v1, v9, vcc
	v_lshlrev_b32_e32 v0, 1, v4
	v_and_b32_e32 v1, 15, v4
	v_and_or_b32 v0, v0, s9, v1
	v_mad_u32_u24 v5, v0, s8, 0
	v_add_u32_e32 v6, v5, v65
	ds_read2st64_b32 v[0:1], v6 offset1:1
	global_store_dwordx2 v[8:9], v[2:3], off offset:512
	ds_read2st64_b32 v[2:3], v6 offset0:33 offset1:34
	v_lshlrev_b32_e32 v10, 7, v4
	ds_read2st64_b32 v[4:5], v5 offset0:2 offset1:35
	s_waitcnt lgkmcnt(2)
	v_cvt_f32_f16_e32 v6, v0
	v_cvt_f32_f16_sdwa v7, v0 dst_sel:DWORD dst_unused:UNUSED_PAD src0_sel:WORD_1
	s_waitcnt lgkmcnt(1)
	v_cvt_f32_f16_e32 v8, v2
	v_cvt_f32_f16_sdwa v9, v2 dst_sel:DWORD dst_unused:UNUSED_PAD src0_sel:WORD_1
	s_waitcnt lgkmcnt(0)
	v_mov_b32_e32 v0, v5
	v_pk_fma_f32 v[6:7], v[4:5], v[6:7], 0 op_sel_hi:[0,1,0]
	v_add_lshl_u32 v2, v64, v10, 3
	v_pk_fma_f32 v[6:7], v[0:1], v[8:9], v[6:7] op_sel_hi:[0,1,1]
	global_store_dwordx2 v2, v[6:7], s[6:7]
	v_add_co_u32_e32 v6, vcc, v64, v10
	v_cvt_f32_f16_e32 v8, v1
	v_cvt_f32_f16_sdwa v9, v1 dst_sel:DWORD dst_unused:UNUSED_PAD src0_sel:WORD_1
	v_addc_co_u32_e64 v7, s[8:9], 0, 0, vcc
	v_cvt_f32_f16_e32 v2, v3
	v_cvt_f32_f16_sdwa v3, v3 dst_sel:DWORD dst_unused:UNUSED_PAD src0_sel:WORD_1
	v_lshlrev_b64 v[6:7], 3, v[6:7]
	v_mov_b32_e32 v5, s7
	v_add_co_u32_e32 v6, vcc, s6, v6
	v_addc_co_u32_e32 v7, vcc, v5, v7, vcc
	v_pk_fma_f32 v[4:5], v[4:5], v[8:9], 0 op_sel_hi:[0,1,0]
	v_pk_fma_f32 v[0:1], v[0:1], v[2:3], v[4:5] op_sel_hi:[0,1,1]
	global_store_dwordx2 v[6:7], v[0:1], off offset:512
.LBB29_409:
	s_or_b64 exec, exec, s[4:5]
	s_barrier
	s_endpgm
	.section	.rodata,"a",@progbits
	.p2align	6, 0x0
	.amdhsa_kernel _ZL18flash_attn_ext_f16ILi256ELi256ELi32ELi1ELb0ELb0EEvPKcS1_S1_S1_S1_PKiPfP15HIP_vector_typeIfLj2EEffffjfiS5_IjLj3EEiiiiiiiiiiiliiliiiiil
		.amdhsa_group_segment_fixed_size 0
		.amdhsa_private_segment_fixed_size 32
		.amdhsa_kernarg_size 464
		.amdhsa_user_sgpr_count 8
		.amdhsa_user_sgpr_private_segment_buffer 1
		.amdhsa_user_sgpr_dispatch_ptr 0
		.amdhsa_user_sgpr_queue_ptr 0
		.amdhsa_user_sgpr_kernarg_segment_ptr 1
		.amdhsa_user_sgpr_dispatch_id 0
		.amdhsa_user_sgpr_flat_scratch_init 1
		.amdhsa_user_sgpr_kernarg_preload_length 0
		.amdhsa_user_sgpr_kernarg_preload_offset 0
		.amdhsa_user_sgpr_private_segment_size 0
		.amdhsa_uses_dynamic_stack 0
		.amdhsa_system_sgpr_private_segment_wavefront_offset 1
		.amdhsa_system_sgpr_workgroup_id_x 1
		.amdhsa_system_sgpr_workgroup_id_y 0
		.amdhsa_system_sgpr_workgroup_id_z 0
		.amdhsa_system_sgpr_workgroup_info 0
		.amdhsa_system_vgpr_workitem_id 1
		.amdhsa_next_free_vgpr 437
		.amdhsa_next_free_sgpr 100
		.amdhsa_accum_offset 256
		.amdhsa_reserve_vcc 1
		.amdhsa_reserve_flat_scratch 1
		.amdhsa_float_round_mode_32 0
		.amdhsa_float_round_mode_16_64 0
		.amdhsa_float_denorm_mode_32 3
		.amdhsa_float_denorm_mode_16_64 3
		.amdhsa_dx10_clamp 1
		.amdhsa_ieee_mode 1
		.amdhsa_fp16_overflow 0
		.amdhsa_tg_split 0
		.amdhsa_exception_fp_ieee_invalid_op 0
		.amdhsa_exception_fp_denorm_src 0
		.amdhsa_exception_fp_ieee_div_zero 0
		.amdhsa_exception_fp_ieee_overflow 0
		.amdhsa_exception_fp_ieee_underflow 0
		.amdhsa_exception_fp_ieee_inexact 0
		.amdhsa_exception_int_div_zero 0
	.end_amdhsa_kernel
	.section	.text._ZL18flash_attn_ext_f16ILi256ELi256ELi32ELi1ELb0ELb0EEvPKcS1_S1_S1_S1_PKiPfP15HIP_vector_typeIfLj2EEffffjfiS5_IjLj3EEiiiiiiiiiiiliiliiiiil,"axG",@progbits,_ZL18flash_attn_ext_f16ILi256ELi256ELi32ELi1ELb0ELb0EEvPKcS1_S1_S1_S1_PKiPfP15HIP_vector_typeIfLj2EEffffjfiS5_IjLj3EEiiiiiiiiiiiliiliiiiil,comdat
.Lfunc_end29:
	.size	_ZL18flash_attn_ext_f16ILi256ELi256ELi32ELi1ELb0ELb0EEvPKcS1_S1_S1_S1_PKiPfP15HIP_vector_typeIfLj2EEffffjfiS5_IjLj3EEiiiiiiiiiiiliiliiiiil, .Lfunc_end29-_ZL18flash_attn_ext_f16ILi256ELi256ELi32ELi1ELb0ELb0EEvPKcS1_S1_S1_S1_PKiPfP15HIP_vector_typeIfLj2EEffffjfiS5_IjLj3EEiiiiiiiiiiiliiliiiiil
                                        ; -- End function
	.section	.AMDGPU.csdata,"",@progbits
; Kernel info:
; codeLenInByte = 102816
; NumSgprs: 106
; NumVgprs: 256
; NumAgprs: 181
; TotalNumVgprs: 437
; ScratchSize: 32
; MemoryBound: 0
; FloatMode: 240
; IeeeMode: 1
; LDSByteSize: 0 bytes/workgroup (compile time only)
; SGPRBlocks: 13
; VGPRBlocks: 54
; NumSGPRsForWavesPerEU: 106
; NumVGPRsForWavesPerEU: 437
; AccumOffset: 256
; Occupancy: 1
; WaveLimiterHint : 1
; COMPUTE_PGM_RSRC2:SCRATCH_EN: 1
; COMPUTE_PGM_RSRC2:USER_SGPR: 8
; COMPUTE_PGM_RSRC2:TRAP_HANDLER: 0
; COMPUTE_PGM_RSRC2:TGID_X_EN: 1
; COMPUTE_PGM_RSRC2:TGID_Y_EN: 0
; COMPUTE_PGM_RSRC2:TGID_Z_EN: 0
; COMPUTE_PGM_RSRC2:TIDIG_COMP_CNT: 1
; COMPUTE_PGM_RSRC3_GFX90A:ACCUM_OFFSET: 63
; COMPUTE_PGM_RSRC3_GFX90A:TG_SPLIT: 0
	.section	.text._ZL18flash_attn_ext_f16ILi256ELi256ELi32ELi1ELb1ELb0EEvPKcS1_S1_S1_S1_PKiPfP15HIP_vector_typeIfLj2EEffffjfiS5_IjLj3EEiiiiiiiiiiiliiliiiiil,"axG",@progbits,_ZL18flash_attn_ext_f16ILi256ELi256ELi32ELi1ELb1ELb0EEvPKcS1_S1_S1_S1_PKiPfP15HIP_vector_typeIfLj2EEffffjfiS5_IjLj3EEiiiiiiiiiiiliiliiiiil,comdat
	.globl	_ZL18flash_attn_ext_f16ILi256ELi256ELi32ELi1ELb1ELb0EEvPKcS1_S1_S1_S1_PKiPfP15HIP_vector_typeIfLj2EEffffjfiS5_IjLj3EEiiiiiiiiiiiliiliiiiil ; -- Begin function _ZL18flash_attn_ext_f16ILi256ELi256ELi32ELi1ELb1ELb0EEvPKcS1_S1_S1_S1_PKiPfP15HIP_vector_typeIfLj2EEffffjfiS5_IjLj3EEiiiiiiiiiiiliiliiiiil
	.p2align	8
	.type	_ZL18flash_attn_ext_f16ILi256ELi256ELi32ELi1ELb1ELb0EEvPKcS1_S1_S1_S1_PKiPfP15HIP_vector_typeIfLj2EEffffjfiS5_IjLj3EEiiiiiiiiiiiliiliiiiil,@function
_ZL18flash_attn_ext_f16ILi256ELi256ELi32ELi1ELb1ELb0EEvPKcS1_S1_S1_S1_PKiPfP15HIP_vector_typeIfLj2EEffffjfiS5_IjLj3EEiiiiiiiiiiiliiliiiiil: ; @_ZL18flash_attn_ext_f16ILi256ELi256ELi32ELi1ELb1ELb0EEvPKcS1_S1_S1_S1_PKiPfP15HIP_vector_typeIfLj2EEffffjfiS5_IjLj3EEiiiiiiiiiiiliiliiiiil
; %bb.0:
	s_load_dwordx2 s[14:15], s[4:5], 0x80
	s_load_dwordx4 s[76:79], s[4:5], 0x64
	s_add_u32 flat_scratch_lo, s6, s9
	s_addc_u32 flat_scratch_hi, s7, 0
	s_add_u32 s0, s0, s9
	s_addc_u32 s1, s1, 0
	s_waitcnt lgkmcnt(0)
	s_abs_i32 s6, s15
	v_mov_b32_e32 v19, v0
	v_cvt_f32_u32_e32 v0, s6
	s_sub_i32 s10, 0, s6
	s_abs_i32 s9, s77
	s_xor_b32 s7, s77, s15
	v_rcp_iflag_f32_e32 v0, v0
	s_ashr_i32 s7, s7, 31
                                        ; implicit-def: $vgpr254 : SGPR spill to VGPR lane
	s_load_dword s67, s[4:5], 0xd0
	s_mov_b32 s66, s8
	v_mul_f32_e32 v0, 0x4f7ffffe, v0
	v_cvt_u32_f32_e32 v0, v0
	s_mov_b32 s8, 0
	s_waitcnt lgkmcnt(0)
	v_cvt_f32_u32_e32 v1, s67
	v_cvt_f32_ubyte0_e32 v2, 0
	v_readfirstlane_b32 s11, v0
	s_mul_i32 s10, s10, s11
	s_mul_hi_u32 s10, s11, s10
	s_add_i32 s11, s11, s10
	s_mul_hi_u32 s10, s9, s11
	s_mul_i32 s11, s10, s6
	s_sub_i32 s9, s9, s11
	s_add_i32 s12, s10, 1
	s_sub_i32 s11, s9, s6
	s_cmp_ge_u32 s9, s6
	s_cselect_b32 s10, s12, s10
	s_cselect_b32 s9, s11, s9
	s_add_i32 s11, s10, 1
	s_cmp_ge_u32 s9, s6
	s_cselect_b32 s6, s11, s10
	s_add_i32 s9, s14, 63
	s_xor_b32 s6, s6, s7
	s_ashr_i32 s10, s9, 31
	s_sub_i32 s7, s6, s7
	s_lshr_b32 s6, s10, 26
	s_add_i32 s9, s9, s6
	s_add_i32 s6, s76, 31
	s_lshr_b32 s6, s6, 5
	s_ashr_i32 s9, s9, 6
	v_writelane_b32 v254, s6, 0
	v_writelane_b32 v254, s9, 1
	s_mul_i32 s6, s6, s9
	v_writelane_b32 v254, s7, 2
	v_writelane_b32 v254, s6, 3
	s_mul_i32 s7, s6, s7
	s_mov_b32 s6, s14
	v_writelane_b32 v254, s6, 4
	v_writelane_b32 v254, s7, 5
	s_mul_i32 s6, s7, s15
	s_mul_i32 s10, s6, s78
	v_writelane_b32 v254, s7, 6
	s_ashr_i32 s11, s10, 31
	v_writelane_b32 v254, s6, 7
	s_mul_i32 s6, s11, s66
	s_mul_hi_u32 s7, s10, s66
	s_add_i32 s9, s7, s6
	s_mul_i32 s12, s10, s66
	s_cmp_lg_u64 s[8:9], 0
	s_cbranch_scc0 .LBB30_2
; %bb.1:
	v_madmk_f32 v0, v2, 0x4f800000, v1
	v_rcp_f32_e32 v0, v0
	s_sub_u32 s8, 0, s67
	s_subb_u32 s13, 0, 0
	s_mov_b64 s[6:7], 0
	v_mul_f32_e32 v0, 0x5f7ffffc, v0
	v_mul_f32_e32 v3, 0x2f800000, v0
	v_trunc_f32_e32 v3, v3
	v_madmk_f32 v0, v3, 0xcf800000, v0
	v_cvt_u32_f32_e32 v3, v3
	v_cvt_u32_f32_e32 v0, v0
	v_readfirstlane_b32 s14, v3
	v_readfirstlane_b32 s15, v0
	s_mul_hi_u32 s17, s8, s15
	s_mul_i32 s18, s8, s14
	s_mul_i32 s16, s13, s15
	s_add_i32 s17, s17, s18
	s_add_i32 s17, s17, s16
	s_mul_i32 s19, s8, s15
	s_mul_hi_u32 s16, s15, s17
	s_mul_i32 s18, s15, s17
	s_mul_hi_u32 s15, s15, s19
	s_add_u32 s15, s15, s18
	s_addc_u32 s16, 0, s16
	s_mul_hi_u32 s20, s14, s19
	s_mul_i32 s19, s14, s19
	s_add_u32 s15, s15, s19
	s_mul_hi_u32 s18, s14, s17
	s_addc_u32 s15, s16, s20
	s_addc_u32 s16, s18, 0
	s_mul_i32 s17, s14, s17
	s_add_u32 s15, s15, s17
	s_addc_u32 s16, 0, s16
	v_add_co_u32_e32 v0, vcc, s15, v0
	s_cmp_lg_u64 vcc, 0
	s_addc_u32 s14, s14, s16
	v_readfirstlane_b32 s16, v0
	s_mul_i32 s15, s8, s14
	s_mul_hi_u32 s17, s8, s16
	s_add_i32 s15, s17, s15
	s_mul_i32 s13, s13, s16
	s_add_i32 s15, s15, s13
	s_mul_i32 s8, s8, s16
	s_mul_hi_u32 s17, s14, s8
	s_mul_i32 s18, s14, s8
	s_mul_i32 s20, s16, s15
	s_mul_hi_u32 s8, s16, s8
	s_mul_hi_u32 s19, s16, s15
	s_add_u32 s8, s8, s20
	s_addc_u32 s16, 0, s19
	s_add_u32 s8, s8, s18
	s_mul_hi_u32 s13, s14, s15
	s_addc_u32 s8, s16, s17
	s_addc_u32 s13, s13, 0
	s_mul_i32 s15, s14, s15
	s_add_u32 s8, s8, s15
	s_addc_u32 s13, 0, s13
	v_add_co_u32_e32 v0, vcc, s8, v0
	s_cmp_lg_u64 vcc, 0
	s_addc_u32 s13, s14, s13
	s_ashr_i32 s14, s9, 31
	s_add_u32 s8, s12, s14
	s_mov_b32 s15, s14
	s_addc_u32 s9, s9, s14
	s_xor_b64 s[8:9], s[8:9], s[14:15]
	v_readfirstlane_b32 s18, v0
	s_mul_i32 s17, s8, s13
	s_mul_hi_u32 s19, s8, s18
	s_mul_hi_u32 s16, s8, s13
	s_add_u32 s17, s19, s17
	s_addc_u32 s16, 0, s16
	s_mul_hi_u32 s20, s9, s18
	s_mul_i32 s18, s9, s18
	s_add_u32 s17, s17, s18
	s_mul_hi_u32 s19, s9, s13
	s_addc_u32 s16, s16, s20
	s_addc_u32 s17, s19, 0
	s_mul_i32 s13, s9, s13
	s_add_u32 s13, s16, s13
	s_addc_u32 s16, 0, s17
	s_add_u32 s17, s13, 1
	s_addc_u32 s18, s16, 0
	s_add_u32 s19, s13, 2
	s_mul_i32 s21, s67, s16
	s_mul_hi_u32 s22, s67, s13
	s_addc_u32 s20, s16, 0
	s_add_i32 s22, s22, s21
	s_mul_i32 s21, s67, s13
	v_mov_b32_e32 v0, s21
	v_sub_co_u32_e32 v0, vcc, s8, v0
	s_cmp_lg_u64 vcc, 0
	s_subb_u32 s8, s9, s22
	v_subrev_co_u32_e32 v3, vcc, s67, v0
	s_cmp_lg_u64 vcc, 0
	s_subb_u32 s9, s8, 0
	v_readfirstlane_b32 s21, v3
	s_cmp_ge_u32 s21, s67
	s_cselect_b32 s21, -1, 0
	s_cmp_eq_u32 s9, 0
	s_cselect_b32 s9, s21, -1
	s_cmp_lg_u32 s9, 0
	s_cselect_b32 s9, s20, s18
	v_readfirstlane_b32 s18, v0
	s_cselect_b32 s17, s19, s17
	s_cmp_ge_u32 s18, s67
	s_cselect_b32 s18, -1, 0
	s_cmp_eq_u32 s8, 0
	s_cselect_b32 s8, s18, -1
	s_cmp_lg_u32 s8, 0
	s_cselect_b32 s9, s9, s16
	s_cselect_b32 s8, s17, s13
	s_xor_b64 s[8:9], s[8:9], s[14:15]
	s_sub_u32 s80, s8, s14
	s_branch .LBB30_3
.LBB30_2:
	s_mov_b64 s[6:7], -1
                                        ; implicit-def: $sgpr80_sgpr81
.LBB30_3:
	s_load_dwordx2 s[8:9], s[4:5], 0x74
	v_cvt_f32_u32_e32 v0, s67
	s_andn2_b64 vcc, exec, s[6:7]
	s_waitcnt lgkmcnt(0)
	v_writelane_b32 v254, s8, 8
	v_writelane_b32 v254, s9, 9
	s_cbranch_vccnz .LBB30_5
; %bb.4:
	v_rcp_iflag_f32_e32 v3, v0
	s_sub_i32 s6, 0, s67
	v_mul_f32_e32 v3, 0x4f7ffffe, v3
	v_cvt_u32_f32_e32 v3, v3
	v_readfirstlane_b32 s7, v3
	s_mul_i32 s6, s6, s7
	s_mul_hi_u32 s6, s7, s6
	s_add_i32 s7, s7, s6
	s_mul_hi_u32 s6, s12, s7
	s_mul_i32 s8, s6, s67
	s_sub_i32 s8, s12, s8
	s_add_i32 s7, s6, 1
	s_sub_i32 s9, s8, s67
	s_cmp_ge_u32 s8, s67
	s_cselect_b32 s6, s7, s6
	s_cselect_b32 s8, s9, s8
	s_add_i32 s7, s6, 1
	s_cmp_ge_u32 s8, s67
	s_cselect_b32 s80, s7, s6
.LBB30_5:
	s_add_i32 s6, s66, 1
	s_mul_i32 s7, s11, s6
	s_mul_hi_u32 s8, s10, s6
	s_add_i32 s9, s8, s7
	s_mov_b32 s8, 0
	s_cmp_lg_u64 s[8:9], 0
	s_mul_i32 s8, s10, s6
	s_cbranch_scc0 .LBB30_7
; %bb.6:
	v_madmk_f32 v1, v2, 0x4f800000, v1
	v_rcp_f32_e32 v1, v1
	s_sub_u32 s10, 0, s67
	s_subb_u32 s11, 0, 0
	s_mov_b64 s[6:7], 0
	v_mul_f32_e32 v1, 0x5f7ffffc, v1
	v_mul_f32_e32 v2, 0x2f800000, v1
	v_trunc_f32_e32 v2, v2
	v_madmk_f32 v1, v2, 0xcf800000, v1
	v_cvt_u32_f32_e32 v2, v2
	v_cvt_u32_f32_e32 v1, v1
	v_readfirstlane_b32 s12, v2
	v_readfirstlane_b32 s13, v1
	s_mul_hi_u32 s15, s10, s13
	s_mul_i32 s16, s10, s12
	s_mul_i32 s14, s11, s13
	s_add_i32 s15, s15, s16
	s_add_i32 s15, s15, s14
	s_mul_i32 s17, s10, s13
	s_mul_hi_u32 s14, s13, s15
	s_mul_i32 s16, s13, s15
	s_mul_hi_u32 s13, s13, s17
	s_add_u32 s13, s13, s16
	s_addc_u32 s14, 0, s14
	s_mul_hi_u32 s18, s12, s17
	s_mul_i32 s17, s12, s17
	s_add_u32 s13, s13, s17
	s_mul_hi_u32 s16, s12, s15
	s_addc_u32 s13, s14, s18
	s_addc_u32 s14, s16, 0
	s_mul_i32 s15, s12, s15
	s_add_u32 s13, s13, s15
	s_addc_u32 s14, 0, s14
	v_add_co_u32_e32 v1, vcc, s13, v1
	s_cmp_lg_u64 vcc, 0
	s_addc_u32 s12, s12, s14
	v_readfirstlane_b32 s14, v1
	s_mul_i32 s13, s10, s12
	s_mul_hi_u32 s15, s10, s14
	s_add_i32 s13, s15, s13
	s_mul_i32 s11, s11, s14
	s_add_i32 s13, s13, s11
	s_mul_i32 s10, s10, s14
	s_mul_hi_u32 s15, s12, s10
	s_mul_i32 s16, s12, s10
	s_mul_i32 s18, s14, s13
	s_mul_hi_u32 s10, s14, s10
	s_mul_hi_u32 s17, s14, s13
	s_add_u32 s10, s10, s18
	s_addc_u32 s14, 0, s17
	s_add_u32 s10, s10, s16
	s_mul_hi_u32 s11, s12, s13
	s_addc_u32 s10, s14, s15
	s_addc_u32 s11, s11, 0
	s_mul_i32 s13, s12, s13
	s_add_u32 s10, s10, s13
	s_addc_u32 s11, 0, s11
	v_add_co_u32_e32 v1, vcc, s10, v1
	s_cmp_lg_u64 vcc, 0
	s_addc_u32 s14, s12, s11
	s_ashr_i32 s10, s9, 31
	s_add_u32 s12, s8, s10
	s_mov_b32 s11, s10
	s_addc_u32 s13, s9, s10
	s_xor_b64 s[12:13], s[12:13], s[10:11]
	v_readfirstlane_b32 s16, v1
	s_mul_i32 s15, s12, s14
	s_mul_hi_u32 s17, s12, s16
	s_mul_hi_u32 s9, s12, s14
	s_add_u32 s15, s17, s15
	s_addc_u32 s9, 0, s9
	s_mul_hi_u32 s18, s13, s16
	s_mul_i32 s16, s13, s16
	s_add_u32 s15, s15, s16
	s_mul_hi_u32 s17, s13, s14
	s_addc_u32 s9, s9, s18
	s_addc_u32 s15, s17, 0
	s_mul_i32 s14, s13, s14
	s_add_u32 s9, s9, s14
	s_addc_u32 s14, 0, s15
	s_add_u32 s15, s9, 1
	s_addc_u32 s16, s14, 0
	s_add_u32 s17, s9, 2
	s_mul_i32 s19, s67, s14
	s_mul_hi_u32 s20, s67, s9
	s_addc_u32 s18, s14, 0
	s_add_i32 s20, s20, s19
	s_mul_i32 s19, s67, s9
	v_mov_b32_e32 v1, s19
	v_sub_co_u32_e32 v1, vcc, s12, v1
	s_cmp_lg_u64 vcc, 0
	s_subb_u32 s12, s13, s20
	v_subrev_co_u32_e32 v2, vcc, s67, v1
	s_cmp_lg_u64 vcc, 0
	s_subb_u32 s13, s12, 0
	v_readfirstlane_b32 s19, v2
	s_cmp_ge_u32 s19, s67
	s_cselect_b32 s19, -1, 0
	s_cmp_eq_u32 s13, 0
	s_cselect_b32 s13, s19, -1
	s_cmp_lg_u32 s13, 0
	s_cselect_b32 s13, s18, s16
	v_readfirstlane_b32 s16, v1
	s_cselect_b32 s15, s17, s15
	s_cmp_ge_u32 s16, s67
	s_cselect_b32 s16, -1, 0
	s_cmp_eq_u32 s12, 0
	s_cselect_b32 s12, s16, -1
	s_cmp_lg_u32 s12, 0
	s_cselect_b32 s13, s13, s14
	s_cselect_b32 s12, s15, s9
	s_xor_b64 s[12:13], s[12:13], s[10:11]
	s_sub_u32 s10, s12, s10
	v_writelane_b32 v254, s10, 12
	v_writelane_b32 v254, s11, 13
	s_branch .LBB30_8
.LBB30_7:
	s_mov_b64 s[6:7], -1
                                        ; implicit-def: $sgpr10_sgpr11
                                        ; kill: killed $sgpr10_sgpr11
.LBB30_8:
	s_load_dwordx2 s[10:11], s[4:5], 0x5c
	s_andn2_b64 vcc, exec, s[6:7]
	s_waitcnt lgkmcnt(0)
	v_writelane_b32 v254, s10, 10
	v_writelane_b32 v254, s11, 11
	s_cbranch_vccnz .LBB30_10
; %bb.9:
	v_rcp_iflag_f32_e32 v0, v0
	s_sub_i32 s6, 0, s67
	v_mul_f32_e32 v0, 0x4f7ffffe, v0
	v_cvt_u32_f32_e32 v0, v0
	v_readfirstlane_b32 s7, v0
	s_mul_i32 s6, s6, s7
	s_mul_hi_u32 s6, s7, s6
	s_add_i32 s7, s7, s6
	s_mul_hi_u32 s6, s8, s7
	s_mul_i32 s9, s6, s67
	s_sub_i32 s8, s8, s9
	s_add_i32 s7, s6, 1
	s_sub_i32 s9, s8, s67
	s_cmp_ge_u32 s8, s67
	s_cselect_b32 s6, s7, s6
	s_cselect_b32 s8, s9, s8
	s_add_i32 s7, s6, 1
	s_cmp_ge_u32 s8, s67
	s_cselect_b32 s6, s7, s6
	v_writelane_b32 v254, s6, 12
	v_writelane_b32 v254, s7, 13
.LBB30_10:
	s_load_dwordx16 s[12:27], s[4:5], 0x0
	s_load_dwordx4 s[60:63], s[4:5], 0x40
	s_load_dwordx2 s[96:97], s[4:5], 0x50
	s_load_dwordx2 s[6:7], s[4:5], 0x8c
	s_load_dwordx4 s[8:11], s[4:5], 0x98
	s_load_dwordx2 s[28:29], s[4:5], 0xa8
	s_load_dwordx2 s[30:31], s[4:5], 0xb8
	s_nop 0
	s_load_dwordx2 s[4:5], s[4:5], 0xc8
	v_bfe_u32 v173, v19, 10, 10
	s_waitcnt lgkmcnt(0)
	s_ashr_i32 s86, s6, 2
	s_ashr_i32 s82, s10, 2
	v_writelane_b32 v254, s28, 14
	v_writelane_b32 v254, s29, 15
	;; [unrolled: 1-line block ×4, first 2 shown]
	v_readlane_b32 s28, v254, 1
	s_abs_i32 s55, s28
	v_cvt_f32_u32_e32 v0, s55
	s_ashr_i32 s4, s79, 3
	v_writelane_b32 v254, s4, 18
	s_mov_b32 s5, s7
	v_rcp_iflag_f32_e32 v0, v0
	v_writelane_b32 v254, s4, 19
	v_writelane_b32 v254, s5, 20
	s_mov_b64 s[4:5], s[8:9]
	v_mul_f32_e32 v0, 0x4f7ffffe, v0
	s_mov_b32 s7, s11
	v_cvt_u32_f32_e32 v0, v0
	v_writelane_b32 v254, s4, 21
	v_writelane_b32 v254, s5, 22
	;; [unrolled: 1-line block ×4, first 2 shown]
	s_sub_i32 s6, 0, s55
	v_readfirstlane_b32 s7, v0
	s_mul_i32 s6, s6, s7
	s_ashr_i32 s5, s28, 31
	s_mul_hi_u32 s6, s7, s6
	v_writelane_b32 v254, s5, 25
	s_abs_i32 s5, s80
	s_add_i32 s58, s7, s6
	s_mul_hi_u32 s6, s5, s58
	s_mul_i32 s6, s6, s55
	s_sub_i32 s5, s5, s6
	s_ashr_i32 s78, s31, 1
	s_ashr_i32 s4, s80, 31
	s_sub_i32 s6, s5, s55
	s_cmp_ge_u32 s5, s55
	s_cselect_b32 s5, s6, s5
	s_sub_i32 s6, s5, s55
	s_cmp_ge_u32 s5, s55
	s_cselect_b32 s5, s6, s5
	s_xor_b32 s5, s5, s4
	s_sub_i32 s56, s5, s4
	v_readlane_b32 s4, v254, 12
	v_readlane_b32 s5, v254, 13
	v_writelane_b32 v254, s12, 26
	v_writelane_b32 v254, s13, 27
	;; [unrolled: 1-line block ×7, first 2 shown]
	s_mov_b32 s8, s4
	s_sub_i32 s4, s4, s80
	v_writelane_b32 v254, s19, 33
	s_add_i32 s6, s4, s56
	v_writelane_b32 v254, s20, 34
	s_min_i32 s92, s28, s6
	v_writelane_b32 v254, s21, 35
	s_cmp_gt_i32 s8, s80
	v_writelane_b32 v254, s22, 36
	s_cselect_b64 s[48:49], -1, 0
	s_cmp_le_i32 s8, s80
	v_cvt_f16_f32_e32 v0, s60
	v_writelane_b32 v254, s23, 37
	s_cselect_b64 s[4:5], -1, 0
	s_cmp_gt_i32 s28, s6
	v_writelane_b32 v254, s24, 38
	s_cselect_b64 s[6:7], -1, 0
	v_writelane_b32 v254, s25, 39
	s_or_b64 s[4:5], s[6:7], s[4:5]
	v_writelane_b32 v254, s26, 40
	s_mov_b32 s45, 0
	s_and_b64 vcc, exec, s[4:5]
	v_pack_b32_f16 v174, v0, v0
	v_lshlrev_b32_e32 v95, 3, v173
	v_add_u32_e32 v182, 4, v173
	v_add_u32_e32 v181, 8, v173
	;; [unrolled: 1-line block ×7, first 2 shown]
	v_lshlrev_b32_e32 v94, 4, v173
	v_and_b32_e32 v96, 1, v173
	v_writelane_b32 v254, s27, 41
	v_accvgpr_write_b32 a8, v173
	s_cbranch_vccz .LBB30_13
; %bb.11:
	s_andn2_b64 vcc, exec, s[48:49]
	s_cbranch_vccz .LBB30_456
.LBB30_12:
	s_endpgm
.LBB30_13:
	s_cmp_lg_u64 s[18:19], 0
	v_writelane_b32 v254, s67, 42
	s_cselect_b64 s[4:5], -1, 0
	v_writelane_b32 v254, s4, 43
	s_cmp_eq_u64 s[20:21], 0
	v_writelane_b32 v254, s5, 44
	s_cselect_b64 s[4:5], -1, 0
	v_writelane_b32 v254, s4, 45
	s_cmp_lg_u64 s[22:23], 0
	v_writelane_b32 v254, s5, 46
	s_cselect_b64 s[4:5], -1, 0
	v_writelane_b32 v254, s4, 47
	v_writelane_b32 v254, s5, 48
	s_add_i32 s5, 0, 0x60
	v_mov_b32_e32 v10, s5
	s_add_i32 s5, 0, 0x80
	v_mov_b32_e32 v12, s5
	;; [unrolled: 2-line block ×4, first 2 shown]
	s_add_i32 s5, 0, 0xe0
	v_and_b32_e32 v98, 0x3ff, v19
	v_mov_b32_e32 v18, s5
	s_add_i32 s5, 0, 0x100
	v_lshrrev_b32_e32 v2, 3, v98
	v_mov_b32_e32 v20, s5
	s_add_i32 s5, 0, 0x120
	v_and_b32_e32 v1, 15, v98
	v_and_b32_e32 v2, 30, v2
	v_mov_b32_e32 v22, s5
	s_add_i32 s5, 0, 0x140
	v_mul_u32_u24_e32 v0, 0x210, v1
	v_lshlrev_b32_e32 v3, 2, v2
	v_mov_b32_e32 v24, s5
	s_add_i32 s5, 0, 0x160
	v_add3_u32 v0, 0, v0, v3
	v_lshrrev_b32_e32 v3, 5, v98
	v_lshlrev_b32_e32 v4, 2, v98
	v_mov_b32_e32 v26, s5
	s_add_i32 s5, 0, 0x180
	v_lshl_add_u32 v183, v173, 1, v3
	v_and_b32_e32 v162, 0x7c, v4
	v_mov_b32_e32 v28, s5
	s_add_i32 s5, 0, 0x1a0
	v_mul_u32_u24_e32 v3, 0x210, v183
	v_lshlrev_b32_e32 v4, 2, v162
	v_mov_b32_e32 v30, s5
	s_add_i32 s5, 0, 0x1c0
	v_add3_u32 v152, 0, v3, v4
	v_and_b32_e32 v3, 8, v95
	v_mov_b32_e32 v32, s5
	s_add_i32 s5, 0, 0x1e0
	s_movk_i32 s4, 0x420
	v_mul_u32_u24_e32 v4, 0x420, v3
	v_mov_b32_e32 v34, s5
	v_lshrrev_b32_e32 v35, 2, v98
	v_mad_u32_u24 v5, v3, s4, 0
	v_add3_u32 v7, 0, 32, v4
	v_add3_u32 v4, 0, 64, v4
	v_mad_u32_u24 v10, v3, s4, v10
	v_mad_u32_u24 v12, v3, s4, v12
	;; [unrolled: 1-line block ×13, first 2 shown]
	v_and_b32_e32 v36, 60, v35
	v_accvgpr_write_b32 a12, v19
	v_lshlrev_b32_e32 v6, 1, v1
	v_add_u32_e32 v8, 0x4200, v7
	v_add_u32_e32 v9, 0x4200, v4
	;; [unrolled: 1-line block ×15, first 2 shown]
	v_mul_u32_u24_e32 v37, 0x108, v36
	v_add_u32_e32 v153, v5, v6
	v_add_u32_e32 v184, v8, v6
	;; [unrolled: 1-line block ×16, first 2 shown]
	v_or_b32_e32 v6, v37, v1
	v_lshlrev_b32_e32 v6, 1, v6
	v_add_u32_e32 v207, v4, v6
	v_add_u32_e32 v4, v13, v6
	v_accvgpr_write_b32 a42, v4
	v_add_u32_e32 v4, v14, v6
	v_accvgpr_write_b32 a43, v4
	;; [unrolled: 2-line block ×6, first 2 shown]
	v_add_u32_e32 v4, v19, v6
	s_lshl_b32 s44, s66, 5
	v_accvgpr_write_b32 a48, v4
	v_add_u32_e32 v4, v20, v6
	v_add_u32_e32 v198, v3, v6
	s_ashr_i32 s79, s78, 31
	s_ashr_i32 s87, s86, 31
	s_ashr_i32 s83, s82, 31
	s_lshl_b32 s9, s86, 3
	s_lshl_b32 s8, s82, 3
	s_lshl_b64 s[4:5], s[44:45], 3
	v_or_b32_e32 v3, v95, v98
	v_accvgpr_write_b32 a49, v4
	v_add_u32_e32 v4, v21, v6
	s_add_u32 s4, s26, s4
	v_lshlrev_b32_e32 v3, 3, v3
	v_add_u32_e32 v169, v5, v6
	v_add_u32_e32 v201, v7, v6
	;; [unrolled: 1-line block ×7, first 2 shown]
	v_accvgpr_write_b32 a50, v4
	v_add_u32_e32 v175, v22, v6
	v_add_u32_e32 v4, v23, v6
	v_add_u32_e32 v188, v24, v6
	v_add_u32_e32 v189, v25, v6
	v_add_u32_e32 v190, v26, v6
	v_add_u32_e32 v191, v27, v6
	v_add_u32_e32 v192, v28, v6
	v_add_u32_e32 v193, v29, v6
	v_add_u32_e32 v194, v30, v6
	v_add_u32_e32 v195, v31, v6
	v_add_u32_e32 v196, v32, v6
	v_add_u32_e32 v197, v33, v6
	v_add_u32_e32 v199, v34, v6
	v_add_co_u32_e32 v6, vcc, s4, v3
	s_movk_i32 s4, 0x84
	v_or_b32_e32 v3, v94, v1
	v_lshrrev_b32_e32 v50, 1, v173
	s_addc_u32 s5, s27, s5
	v_mad_u32_u24 v32, v3, s4, v2
	v_add_u32_e32 v3, 2, v50
	v_accvgpr_write_b32 a51, v4
	v_mov_b32_e32 v4, s5
	s_movk_i32 s5, 0x1e0
	v_lshlrev_b32_e32 v2, 1, v3
	v_accvgpr_write_b32 a55, v3
	v_and_b32_e32 v3, 15, v3
	v_and_or_b32 v33, v2, s5, v3
	v_add_u32_e32 v3, 4, v50
	v_lshlrev_b32_e32 v2, 1, v3
	v_accvgpr_write_b32 a56, v3
	v_and_b32_e32 v3, 15, v3
	v_and_or_b32 v34, v2, s5, v3
	v_add_u32_e32 v3, 6, v50
	;; [unrolled: 5-line block ×12, first 2 shown]
	v_writelane_b32 v254, s66, 49
	v_lshlrev_b32_e32 v2, 1, v3
	v_accvgpr_write_b32 a67, v3
	v_and_b32_e32 v3, 15, v3
	v_and_or_b32 v48, v2, s5, v3
	v_add_u32_e32 v3, 30, v50
	v_readlane_b32 s39, v254, 7
	v_lshlrev_b32_e32 v2, 1, v3
	v_accvgpr_write_b32 a68, v3
	v_and_b32_e32 v3, 15, v3
	s_abs_i32 s40, s39
	v_and_or_b32 v49, v2, s5, v3
	v_cvt_f32_u32_e32 v2, s40
	v_readlane_b32 s38, v254, 6
	s_abs_i32 s41, s38
	v_readlane_b32 s37, v254, 3
	v_rcp_iflag_f32_e32 v2, v2
	s_abs_i32 s42, s37
	s_abs_i32 s43, s30
	s_mov_b32 s6, s30
	v_mul_f32_e32 v2, 0x4f7ffffe, v2
	v_cvt_u32_f32_e32 v2, v2
	v_writelane_b32 v254, s6, 50
	v_writelane_b32 v254, s7, 51
	s_mul_i32 s6, s76, s77
	v_readfirstlane_b32 s33, v2
	v_cvt_f32_u32_e32 v2, s41
	v_writelane_b32 v254, s6, 52
	s_mov_b64 s[30:31], s[62:63]
	s_mov_b32 s29, s61
	v_rcp_iflag_f32_e32 v2, v2
	v_cmp_nle_f32_e64 s[6:7], s61, 0
	s_mov_b64 s[74:75], s[26:27]
	s_mov_b64 s[72:73], s[24:25]
	v_mul_f32_e32 v2, 0x4f7ffffe, v2
	v_cvt_u32_f32_e32 v2, v2
	s_mov_b64 s[70:71], s[22:23]
	s_mov_b64 s[68:69], s[20:21]
	;; [unrolled: 1-line block ×3, first 2 shown]
	v_readfirstlane_b32 s34, v2
	v_cvt_f32_u32_e32 v2, s42
	s_mov_b64 s[64:65], s[16:17]
	s_mov_b64 s[62:63], s[14:15]
	s_mov_b64 s[60:61], s[12:13]
	v_rcp_iflag_f32_e32 v2, v2
	s_movk_i32 s22, 0x210
	s_movk_i32 s23, 0x90
	v_and_b32_e32 v18, 16, v94
	v_mul_f32_e32 v2, 0x4f7ffffe, v2
	v_cvt_u32_f32_e32 v2, v2
	v_mad_u32_u24 v217, v18, s22, v0
	v_add_u32_e32 v52, v18, v36
	v_or_b32_e32 v35, 3, v35
	v_readfirstlane_b32 s35, v2
	v_cvt_f32_u32_e32 v2, s43
	v_mul_u32_u24_e32 v225, 0x210, v35
	v_lshlrev_b32_e32 v35, 1, v37
	v_add_u32_e32 v226, 0x4200, v153
	v_rcp_iflag_f32_e32 v2, v2
	v_add_u32_e32 v227, 32, v153
	v_add_u32_e32 v228, 64, v153
	;; [unrolled: 1-line block ×3, first 2 shown]
	v_mul_f32_e32 v2, 0x4f7ffffe, v2
	v_cvt_u32_f32_e32 v2, v2
	v_add_u32_e32 v230, 0x80, v153
	v_add_u32_e32 v231, 0xa0, v153
	;; [unrolled: 1-line block ×3, first 2 shown]
	v_readfirstlane_b32 s36, v2
	v_and_b32_e32 v2, 0x7f0, v95
	v_or_b32_e32 v1, v2, v1
	v_mad_u32_u24 v2, v2, s22, v0
	v_mad_u32_u24 v0, v1, s23, 0
	v_add_u16_e32 v1, v18, v36
	v_lshrrev_b16_e32 v1, 1, v1
	v_lshl_add_u32 v1, v1, 2, v0
	v_accvgpr_write_b32 a72, v1
	v_add_u32_e32 v1, 32, v52
	v_accvgpr_write_b32 a73, v1
	v_lshl_add_u32 v1, v1, 1, v0
	v_accvgpr_write_b32 a74, v1
	v_add_u32_e32 v1, 34, v52
	v_lshl_add_u32 v0, v1, 1, v0
	v_accvgpr_write_b32 a76, v0
	v_mul_lo_u32 v0, s82, v183
	v_add_u32_e32 v233, 0xe0, v153
	v_add_u32_e32 v234, 0x100, v153
	;; [unrolled: 1-line block ×29, first 2 shown]
	v_mul_u32_u24_e32 v35, 0x210, v35
	v_add_u32_e32 v22, s8, v20
	v_accvgpr_write_b32 a77, v35
	v_and_b32_e32 v35, 31, v98
	v_add_u32_e32 v24, s8, v22
	v_mul_u32_u24_e32 v224, 0x210, v36
	v_add_u32_e32 v36, v94, v35
	v_add_u32_e32 v26, s8, v24
	v_mul_u32_u24_e32 v36, 0x210, v36
	v_lshl_add_u32 v32, v32, 2, 0
	v_add_u32_e32 v28, s8, v26
	v_accvgpr_write_b32 a78, v36
	v_accvgpr_write_b32 a79, v32
	v_mad_u32_u24 v32, v173, s4, v98
	v_add_u32_e32 v36, 16, v50
	v_add_u32_e32 v30, s8, v28
	s_movk_i32 s8, 0xe0
	v_lshl_add_u32 v53, v32, 2, 0
	v_bfe_u32 v32, v173, 1, 4
	v_accvgpr_write_b32 a81, v36
	v_lshlrev_b32_e32 v36, 1, v36
	v_and_or_b32 v36, v36, s5, v32
	v_and_or_b32 v32, v173, s8, v32
	v_mad_u32_u24 v37, v32, s4, v98
	v_lshl_add_u32 v37, v37, 2, 0
	v_accvgpr_write_b32 a82, v37
	v_add_u32_e32 v37, 64, v98
	v_accvgpr_write_b32 a54, v50
	v_mul_u32_u24_e32 v50, 0x210, v32
	v_mad_u32_u24 v32, v32, s4, v37
	v_lshl_add_u32 v32, v32, 2, 0
	v_accvgpr_write_b32 a84, v32
	v_mad_u32_u24 v32, v33, s4, v98
	v_lshl_add_u32 v32, v32, 2, 0
	v_accvgpr_write_b32 a85, v32
	v_mul_u32_u24_e32 v32, 0x210, v33
	v_accvgpr_write_b32 a86, v32
	v_mad_u32_u24 v32, v33, s4, v37
	v_lshl_add_u32 v32, v32, 2, 0
	v_accvgpr_write_b32 a87, v32
	v_mad_u32_u24 v32, v34, s4, v98
	v_lshl_add_u32 v32, v32, 2, 0
	v_accvgpr_write_b32 a88, v32
	v_mul_u32_u24_e32 v32, 0x210, v34
	v_accvgpr_write_b32 a89, v32
	;; [unrolled: 8-line block ×10, first 2 shown]
	v_mad_u32_u24 v32, v44, s4, v37
	v_lshl_add_u32 v32, v32, 2, 0
	v_accvgpr_write_b32 a114, v32
	v_mad_u32_u24 v32, v45, s4, v98
	v_accvgpr_write_b32 a75, v1
	v_ashrrev_i32_e32 v1, 31, v0
	v_lshl_add_u32 v32, v32, 2, 0
	v_addc_co_u32_e32 v7, vcc, 0, v4, vcc
	v_accvgpr_write_b32 a115, v32
	v_mul_u32_u24_e32 v32, 0x210, v45
	v_lshlrev_b64 v[58:59], 2, v[0:1]
	v_ashrrev_i32_e32 v19, 31, v18
	v_accvgpr_write_b32 a116, v32
	v_mad_u32_u24 v32, v45, s4, v37
	v_mov_b32_e32 v0, s65
	v_add_co_u32_e32 v1, vcc, s64, v58
	v_lshl_add_u32 v32, v32, 2, 0
	v_addc_co_u32_e32 v0, vcc, v0, v59, vcc
	v_lshlrev_b64 v[60:61], 2, v[18:19]
	v_ashrrev_i32_e32 v21, 31, v20
	v_accvgpr_write_b32 a117, v32
	v_mad_u32_u24 v32, v46, s4, v98
	v_accvgpr_write_b32 a130, v1
	v_accvgpr_write_b32 a131, v0
	v_mov_b32_e32 v0, s65
	v_add_co_u32_e32 v1, vcc, s64, v60
	v_lshl_add_u32 v32, v32, 2, 0
	v_addc_co_u32_e32 v0, vcc, v0, v61, vcc
	v_lshlrev_b64 v[62:63], 2, v[20:21]
	v_ashrrev_i32_e32 v23, 31, v22
	v_accvgpr_write_b32 a118, v32
	v_mul_u32_u24_e32 v32, 0x210, v46
	v_accvgpr_write_b32 a132, v1
	v_accvgpr_write_b32 a133, v0
	v_mov_b32_e32 v0, s65
	v_add_co_u32_e32 v1, vcc, s64, v62
	v_accvgpr_write_b32 a119, v32
	v_mad_u32_u24 v32, v46, s4, v37
	v_addc_co_u32_e32 v0, vcc, v0, v63, vcc
	v_lshlrev_b64 v[64:65], 2, v[22:23]
	v_ashrrev_i32_e32 v25, 31, v24
	v_lshl_add_u32 v32, v32, 2, 0
	v_accvgpr_write_b32 a134, v1
	v_accvgpr_write_b32 a135, v0
	v_mov_b32_e32 v0, s65
	v_add_co_u32_e32 v1, vcc, s64, v64
	v_accvgpr_write_b32 a120, v32
	v_mad_u32_u24 v32, v47, s4, v98
	v_addc_co_u32_e32 v0, vcc, v0, v65, vcc
	v_lshlrev_b64 v[66:67], 2, v[24:25]
	v_ashrrev_i32_e32 v27, 31, v26
	v_lshl_add_u32 v32, v32, 2, 0
	v_accvgpr_write_b32 a136, v1
	v_accvgpr_write_b32 a137, v0
	v_mov_b32_e32 v0, s65
	v_add_co_u32_e32 v1, vcc, s64, v66
	v_writelane_b32 v254, s28, 53
	v_mul_lo_u32 v16, s86, v183
	v_accvgpr_write_b32 a121, v32
	v_mul_u32_u24_e32 v32, 0x210, v47
	v_addc_co_u32_e32 v0, vcc, v0, v67, vcc
	v_lshlrev_b64 v[68:69], 2, v[26:27]
	v_writelane_b32 v254, s29, 54
	v_add_u32_e32 v14, s9, v16
	v_ashrrev_i32_e32 v29, 31, v28
	v_accvgpr_write_b32 a122, v32
	v_mad_u32_u24 v32, v47, s4, v37
	v_accvgpr_write_b32 a138, v1
	v_accvgpr_write_b32 a139, v0
	v_mov_b32_e32 v0, s65
	v_add_co_u32_e32 v1, vcc, s64, v68
	v_writelane_b32 v254, s30, 55
	v_add_u32_e32 v12, s9, v14
	v_lshl_add_u32 v32, v32, 2, 0
	v_addc_co_u32_e32 v0, vcc, v0, v69, vcc
	v_lshlrev_b64 v[70:71], 2, v[28:29]
	v_writelane_b32 v254, s31, 56
	v_add_u32_e32 v10, s9, v12
	v_ashrrev_i32_e32 v31, 31, v30
	v_accvgpr_write_b32 a123, v32
	v_mad_u32_u24 v32, v48, s4, v98
	v_accvgpr_write_b32 a140, v1
	v_accvgpr_write_b32 a141, v0
	v_mov_b32_e32 v0, s65
	v_add_co_u32_e32 v1, vcc, s64, v70
	v_accvgpr_write_b32 a53, v7
	v_writelane_b32 v254, s6, 57
	v_add_u32_e32 v8, s9, v10
	v_lshl_add_u32 v32, v32, 2, 0
	v_addc_co_u32_e32 v0, vcc, v0, v71, vcc
	v_lshlrev_b64 v[72:73], 2, v[30:31]
	v_accvgpr_write_b32 a52, v6
	v_writelane_b32 v254, s7, 58
	v_cmp_lt_u32_e64 s[6:7], 63, v98
	v_ashrrev_i32_e32 v17, 31, v16
	v_add_u32_e32 v6, s9, v8
	v_accvgpr_write_b32 a124, v32
	v_mul_u32_u24_e32 v32, 0x210, v48
	v_accvgpr_write_b32 a142, v1
	v_accvgpr_write_b32 a143, v0
	v_mov_b32_e32 v0, s65
	v_add_co_u32_e32 v1, vcc, s64, v72
	v_accvgpr_write_b32 a69, v2
	v_writelane_b32 v254, s6, 59
	v_mul_u32_u24_e32 v2, 0x90, v173
	v_lshlrev_b32_e32 v56, 1, v98
	v_add_u32_e32 v4, s9, v6
	v_accvgpr_write_b32 a125, v32
	v_mad_u32_u24 v32, v48, s4, v37
	v_addc_co_u32_e32 v0, vcc, v0, v73, vcc
	v_lshlrev_b64 v[74:75], 2, v[16:17]
	v_writelane_b32 v254, s7, 60
	v_add3_u32 v51, 0, v2, v56
	v_ashrrev_i32_e32 v15, 31, v14
	v_add_u32_e32 v2, s9, v4
	s_lshl_b32 s9, s77, 7
	v_lshl_add_u32 v32, v32, 2, 0
	v_mul_u32_u24_e32 v33, 0x210, v49
	v_accvgpr_write_b32 a144, v1
	v_accvgpr_write_b32 a145, v0
	v_mov_b32_e32 v0, s63
	v_add_co_u32_e32 v1, vcc, s62, v74
	v_writelane_b32 v254, s9, 61
	v_accvgpr_write_b32 a126, v32
	v_mad_u32_u24 v32, v49, s4, v37
	v_accvgpr_write_b32 a127, v33
	v_mad_u32_u24 v33, v49, s4, v98
	s_ashr_i32 s4, s39, 31
	v_addc_co_u32_e32 v0, vcc, v0, v75, vcc
	v_lshlrev_b64 v[76:77], 2, v[14:15]
	v_ashrrev_i32_e32 v13, 31, v12
	v_writelane_b32 v254, s4, 62
	s_sub_i32 s4, 0, s40
	v_accvgpr_write_b32 a146, v1
	v_accvgpr_write_b32 a147, v0
	v_mov_b32_e32 v0, s63
	v_add_co_u32_e32 v1, vcc, s62, v76
	s_mul_i32 s4, s4, s33
	v_addc_co_u32_e32 v0, vcc, v0, v77, vcc
	v_lshlrev_b64 v[78:79], 2, v[12:13]
	v_ashrrev_i32_e32 v11, 31, v10
	s_mul_hi_u32 s4, s33, s4
	v_accvgpr_write_b32 a148, v1
	v_accvgpr_write_b32 a149, v0
	v_mov_b32_e32 v0, s63
	v_add_co_u32_e32 v1, vcc, s62, v78
	s_add_i32 s4, s33, s4
                                        ; implicit-def: $vgpr255 : SGPR spill to VGPR lane
	v_addc_co_u32_e32 v0, vcc, v0, v79, vcc
	v_lshlrev_b64 v[80:81], 2, v[10:11]
	v_ashrrev_i32_e32 v9, 31, v8
	v_writelane_b32 v255, s4, 0
	s_ashr_i32 s4, s38, 31
	v_accvgpr_write_b32 a150, v1
	v_accvgpr_write_b32 a151, v0
	v_mov_b32_e32 v0, s63
	v_add_co_u32_e32 v1, vcc, s62, v80
	v_writelane_b32 v255, s4, 1
	s_sub_i32 s4, 0, s41
	v_addc_co_u32_e32 v0, vcc, v0, v81, vcc
	v_lshlrev_b64 v[82:83], 2, v[8:9]
	v_ashrrev_i32_e32 v7, 31, v6
	s_mul_i32 s4, s4, s34
	v_accvgpr_write_b32 a152, v1
	v_accvgpr_write_b32 a153, v0
	v_mov_b32_e32 v0, s63
	v_add_co_u32_e32 v1, vcc, s62, v82
	s_mul_hi_u32 s4, s34, s4
	v_addc_co_u32_e32 v0, vcc, v0, v83, vcc
	v_lshlrev_b64 v[84:85], 2, v[6:7]
	v_ashrrev_i32_e32 v5, 31, v4
	v_writelane_b32 v255, s41, 2
	s_add_i32 s4, s34, s4
	v_accvgpr_write_b32 a154, v1
	v_accvgpr_write_b32 a155, v0
	v_mov_b32_e32 v0, s63
	v_add_co_u32_e32 v1, vcc, s62, v84
	v_writelane_b32 v255, s4, 3
	s_sub_i32 s4, 0, s42
	v_addc_co_u32_e32 v0, vcc, v0, v85, vcc
	v_lshlrev_b64 v[86:87], 2, v[4:5]
	v_ashrrev_i32_e32 v3, 31, v2
	s_mul_i32 s4, s4, s35
	v_accvgpr_write_b32 a156, v1
	v_accvgpr_write_b32 a157, v0
	v_mov_b32_e32 v0, s63
	v_add_co_u32_e32 v1, vcc, s62, v86
	s_mul_hi_u32 s4, s35, s4
	v_addc_co_u32_e32 v0, vcc, v0, v87, vcc
	v_lshlrev_b64 v[88:89], 2, v[2:3]
	v_writelane_b32 v255, s42, 4
	s_add_i32 s4, s35, s4
	v_accvgpr_write_b32 a158, v1
	v_accvgpr_write_b32 a159, v0
	v_mov_b32_e32 v0, s63
	v_add_co_u32_e32 v1, vcc, s62, v88
	v_writelane_b32 v255, s4, 5
	s_sub_i32 s4, 0, s43
	v_addc_co_u32_e32 v0, vcc, v0, v89, vcc
	s_mul_i32 s4, s4, s36
	v_accvgpr_write_b32 a161, v0
	v_mbcnt_lo_u32_b32 v0, -1, 0
	v_writelane_b32 v255, s43, 6
	s_mul_hi_u32 s4, s36, s4
	s_ashr_i32 s5, s37, 31
	v_mbcnt_hi_u32_b32 v99, -1, v0
	v_add_u32_e32 v0, 0x240, v51
	v_writelane_b32 v255, s5, 7
	s_add_i32 s4, s36, s4
	v_accvgpr_write_b32 a163, v0
	v_add_u32_e32 v0, 0x480, v51
	v_writelane_b32 v255, s4, 8
	v_cmp_eq_u32_e64 s[4:5], 0, v96
	v_accvgpr_write_b32 a164, v0
	v_add_u32_e32 v0, 0x6c0, v51
	v_writelane_b32 v255, s4, 9
	v_accvgpr_write_b32 a165, v0
	v_add_u32_e32 v0, 0x900, v51
	v_writelane_b32 v255, s5, 10
	v_cmp_eq_u32_e64 s[4:5], 1, v96
	v_accvgpr_write_b32 a166, v0
	v_add_u32_e32 v0, 0xb40, v51
	v_writelane_b32 v255, s4, 11
	v_accvgpr_write_b32 a167, v0
	v_add_u32_e32 v0, 0xd80, v51
	v_writelane_b32 v255, s5, 12
	v_cmp_gt_u32_e64 s[4:5], 16, v98
	v_accvgpr_write_b32 a168, v0
	v_add_u32_e32 v0, 0xfc0, v51
	v_writelane_b32 v255, s4, 13
	v_accvgpr_write_b32 a169, v0
	v_add_u32_e32 v0, 8, v183
	v_writelane_b32 v255, s5, 14
	v_cmp_gt_u32_e64 s[4:5], 32, v98
	v_accvgpr_write_b32 a170, v0
	v_add_u32_e32 v0, 16, v183
	v_writelane_b32 v255, s4, 15
	v_accvgpr_write_b32 a171, v0
	v_add_u32_e32 v0, 24, v183
	v_writelane_b32 v255, s5, 16
	s_mov_b32 s4, s78
	v_accvgpr_write_b32 a172, v0
	v_add_u32_e32 v0, 32, v183
	v_writelane_b32 v255, s4, 17
	v_accvgpr_write_b32 a173, v0
	v_add_u32_e32 v0, 40, v183
	v_writelane_b32 v255, s5, 18
	s_lshl_b64 s[4:5], s[78:79], 1
	v_accvgpr_write_b32 a174, v0
	v_add_u32_e32 v0, 48, v183
	v_writelane_b32 v255, s4, 19
	v_accvgpr_write_b32 a175, v0
	v_add_u32_e32 v0, 56, v183
	v_cmp_gt_u32_e64 s[6:7], 64, v183
	v_writelane_b32 v255, s5, 20
	v_accvgpr_write_b32 a176, v0
	v_add_u32_e32 v0, 0x840, v53
	s_mov_b32 s4, s76
	v_accvgpr_write_b32 a177, v0
	v_or_b32_e32 v0, 1, v52
	v_writelane_b32 v255, s4, 21
	v_accvgpr_write_b32 a178, v0
	v_or_b32_e32 v0, 2, v52
	v_writelane_b32 v255, s5, 22
	;; [unrolled: 3-line block ×3, first 2 shown]
	v_accvgpr_write_b32 a180, v0
	v_add_u32_e32 v0, 33, v52
	v_writelane_b32 v255, s7, 24
	s_mov_b64 s[94:95], src_private_base
	v_lshl_add_u32 v33, v33, 2, 0
	v_lshl_add_u32 v32, v32, 2, 0
	v_accvgpr_write_b32 a181, v0
	v_add_u32_e32 v0, 35, v52
	v_writelane_b32 v255, s55, 25
	v_accvgpr_write_b32 a10, v95
	s_mov_b32 s94, 0
	v_cmp_gt_u32_e64 s[90:91], 56, v183
	v_cmp_gt_u32_e64 s[10:11], 48, v183
	;; [unrolled: 1-line block ×7, first 2 shown]
	s_movk_i32 s47, 0x80
	v_cmp_gt_u32_e64 s[22:23], 64, v52
	v_cmp_gt_u32_e64 s[24:25], 63, v52
	;; [unrolled: 1-line block ×5, first 2 shown]
	v_accvgpr_write_b32 a9, v94
	v_accvgpr_write_b32 a83, v50
	;; [unrolled: 1-line block ×4, first 2 shown]
	v_writelane_b32 v254, s40, 63
	v_cmp_gt_u32_e64 s[34:35], 31, v52
	v_cmp_gt_u32_e64 s[36:37], 30, v52
	;; [unrolled: 1-line block ×3, first 2 shown]
	v_accvgpr_write_b32 a11, v96
	s_lshl_b64 s[42:43], s[82:83], 8
	s_lshl_b64 s[40:41], s[86:87], 8
	v_accvgpr_write_b32 a160, v1
	s_mov_b32 s85, 0x42b17218
	s_mov_b32 s88, 0x3fb8aa3b
	;; [unrolled: 1-line block ×3, first 2 shown]
	s_brev_b32 s8, -2
	s_mov_b32 s9, 0x3f200000
	s_mov_b32 s81, 0xc1a00000
	;; [unrolled: 1-line block ×3, first 2 shown]
	v_mov_b32_e32 v125, 0
	v_accvgpr_write_b32 a70, v51
	v_add_u32_e32 v209, 0x1080, v152
	v_add_u32_e32 v205, 0x2100, v152
	v_add_u32_e32 v202, 0x3180, v152
	v_add_u32_e32 v200, 0x4200, v152
	v_add_u32_e32 v208, 0x5280, v152
	v_add_u32_e32 v220, 0x6300, v152
	v_add_u32_e32 v222, 0x7380, v152
	v_accvgpr_write_b32 a80, v53
	v_accvgpr_write_b32 a71, v52
	;; [unrolled: 1-line block ×3, first 2 shown]
	v_lshlrev_b32_e32 v90, 4, v35
	v_mov_b32_e32 v218, 0xbd5c1c4e
	v_mov_b32_e32 v119, 0x3e088382
	;; [unrolled: 1-line block ×4, first 2 shown]
	v_writelane_b32 v255, s58, 26
	v_accvgpr_write_b32 a22, v98
	v_accvgpr_write_b32 a162, v99
	s_branch .LBB30_16
.LBB30_14:                              ;   in Loop: Header=BB30_16 Depth=1
	s_or_b64 exec, exec, s[48:49]
	s_barrier
.LBB30_15:                              ;   in Loop: Header=BB30_16 Depth=1
	v_readlane_b32 s50, v254, 1
	s_add_i32 s4, s80, s50
	s_abs_i32 s33, s4
	v_readlane_b32 s58, v255, 26
	s_mul_hi_u32 s44, s33, s58
	v_readlane_b32 s55, v255, 25
	s_mul_i32 s44, s44, s55
	s_sub_i32 s33, s33, s44
	s_ashr_i32 s5, s4, 31
	s_sub_i32 s44, s33, s55
	s_cmp_ge_u32 s33, s55
	s_cselect_b32 s33, s44, s33
	s_sub_i32 s44, s33, s55
	s_cmp_ge_u32 s33, s55
	s_cselect_b32 s33, s44, s33
	s_xor_b32 s33, s33, s5
	s_sub_i32 s5, s5, s33
	s_add_i32 s80, s4, s5
	v_readlane_b32 s4, v254, 12
	s_mov_b32 s44, s4
	s_sub_i32 s4, s4, s80
	s_min_i32 s92, s50, s4
	s_cmp_gt_i32 s44, s80
	v_readlane_b32 s5, v254, 13
	s_cselect_b64 s[48:49], -1, 0
	s_cmp_le_i32 s50, s4
	s_cselect_b64 s[4:5], -1, 0
	s_and_b64 s[4:5], s[4:5], s[48:49]
	s_mov_b32 s56, 0
	s_and_b64 vcc, exec, s[4:5]
	s_cbranch_vccz .LBB30_455
.LBB30_16:                              ; =>This Loop Header: Depth=1
                                        ;     Child Loop BB30_279 Depth 2
                                        ;     Child Loop BB30_63 Depth 2
	s_ashr_i32 s4, s80, 31
	v_readlane_b32 s5, v254, 62
	s_xor_b32 s4, s4, s5
	s_abs_i32 s5, s80
	v_readlane_b32 s33, v255, 0
	s_mul_hi_u32 s33, s5, s33
	v_readlane_b32 s49, v254, 63
	s_mul_i32 s44, s33, s49
	s_sub_i32 s5, s5, s44
	s_add_i32 s44, s33, 1
	s_sub_i32 s48, s5, s49
	s_cmp_ge_u32 s5, s49
	s_cselect_b32 s33, s44, s33
	s_cselect_b32 s5, s48, s5
	s_add_i32 s44, s33, 1
	s_cmp_ge_u32 s5, s49
	v_readlane_b32 s48, v254, 43
	s_cselect_b32 s5, s44, s33
	v_readlane_b32 s49, v254, 44
	s_xor_b32 s5, s5, s4
	s_andn2_b64 vcc, exec, s[48:49]
	s_mov_b64 s[48:49], 0
	s_sub_i32 s4, s5, s4
	v_writelane_b32 v255, s48, 27
	s_ashr_i32 s5, s4, 31
	v_writelane_b32 v255, s49, 28
	s_cbranch_vccnz .LBB30_18
; %bb.17:                               ;   in Loop: Header=BB30_16 Depth=1
	s_abs_i32 s33, s4
	v_readlane_b32 s44, v255, 8
	s_mul_hi_u32 s44, s33, s44
	v_readlane_b32 s48, v255, 6
	s_mul_i32 s44, s44, s48
	s_sub_i32 s33, s33, s44
	s_sub_i32 s44, s33, s48
	s_cmp_ge_u32 s33, s48
	s_cselect_b32 s33, s44, s33
	s_sub_i32 s44, s33, s48
	s_cmp_ge_u32 s33, s48
	s_cselect_b32 s33, s44, s33
	s_xor_b32 s33, s33, s5
	v_readlane_b32 s50, v254, 16
	s_sub_i32 s33, s33, s5
	v_readlane_b32 s51, v254, 17
	s_ashr_i32 s44, s33, 31
	s_mul_i32 s48, s33, s51
	s_mul_hi_u32 s49, s33, s50
	s_add_i32 s48, s49, s48
	s_mul_i32 s44, s44, s50
	v_readlane_b32 s60, v254, 26
	s_add_i32 s48, s48, s44
	s_mul_i32 s33, s33, s50
	v_readlane_b32 s66, v254, 32
	v_readlane_b32 s67, v254, 33
	s_add_u32 s50, s66, s33
	s_addc_u32 s51, s67, s48
	v_writelane_b32 v255, s50, 27
	v_writelane_b32 v255, s51, 28
	v_readlane_b32 s61, v254, 27
	v_readlane_b32 s62, v254, 28
	;; [unrolled: 1-line block ×13, first 2 shown]
.LBB30_18:                              ;   in Loop: Header=BB30_16 Depth=1
	v_readlane_b32 s33, v254, 7
	s_mul_i32 s33, s4, s33
	s_sub_i32 s33, s80, s33
	s_ashr_i32 s44, s33, 31
	v_readlane_b32 s48, v255, 1
	s_xor_b32 s44, s44, s48
	s_abs_i32 s48, s33
	v_readlane_b32 s49, v255, 3
	s_mul_hi_u32 s49, s48, s49
	v_readlane_b32 s52, v255, 2
	s_mul_i32 s50, s49, s52
	s_sub_i32 s48, s48, s50
	s_add_i32 s50, s49, 1
	s_sub_i32 s51, s48, s52
	s_cmp_ge_u32 s48, s52
	s_cselect_b32 s49, s50, s49
	s_cselect_b32 s48, s51, s48
	s_add_i32 s50, s49, 1
	s_cmp_ge_u32 s48, s52
	s_cselect_b32 s48, s50, s49
	s_xor_b32 s48, s48, s44
	s_sub_i32 s57, s48, s44
	v_readlane_b32 s44, v254, 6
	s_mul_i32 s44, s57, s44
	s_sub_i32 s33, s33, s44
	s_ashr_i32 s44, s33, 31
	v_readlane_b32 s48, v255, 7
	s_xor_b32 s44, s44, s48
	s_abs_i32 s48, s33
	v_readlane_b32 s49, v255, 5
	s_mul_hi_u32 s49, s48, s49
	v_readlane_b32 s52, v255, 4
	s_mul_i32 s50, s49, s52
	s_sub_i32 s48, s48, s50
	s_add_i32 s50, s49, 1
	s_sub_i32 s51, s48, s52
	s_cmp_ge_u32 s48, s52
	s_cselect_b32 s49, s50, s49
	s_cselect_b32 s48, s51, s48
	s_add_i32 s50, s49, 1
	s_cmp_ge_u32 s48, s52
	s_cselect_b32 s48, s50, s49
	s_xor_b32 s48, s48, s44
	s_sub_i32 s44, s48, s44
	v_readlane_b32 s48, v254, 2
	s_mul_i32 s48, s57, s48
	s_add_i32 s54, s48, s44
	v_readlane_b32 s48, v254, 57
	v_readlane_b32 s49, v254, 58
	s_andn2_b64 vcc, exec, s[48:49]
	v_mov_b32_e32 v92, 1.0
	s_cbranch_vccnz .LBB30_20
; %bb.19:                               ;   in Loop: Header=BB30_16 Depth=1
	s_sub_i32 s48, s54, s96
	s_lshl_b32 s48, s48, 1
	s_add_i32 s50, s54, 1
	s_or_b32 s51, s48, 1
	s_cmp_lt_u32 s54, s96
	v_readlane_b32 s60, v254, 53
	s_cselect_b64 vcc, -1, 0
	v_readlane_b32 s62, v254, 55
	v_readlane_b32 s63, v254, 56
	s_and_b64 s[48:49], vcc, exec
	v_mov_b32_e32 v0, s63
	v_mov_b32_e32 v1, s62
	s_cselect_b32 s48, s50, s51
	v_cndmask_b32_e32 v16, v0, v1, vcc
	v_cvt_f32_i32_e32 v0, s48
	v_cmp_neq_f32_e32 vcc, 1.0, v16
	s_mov_b32 s48, 0x3f2aaaab
	s_movk_i32 s50, 0x204
	v_cndmask_b32_e32 v17, 1.0, v0, vcc
	v_cmp_eq_f32_e32 vcc, 0, v17
	v_cndmask_b32_e64 v18, |v16|, 1.0, vcc
	v_frexp_mant_f32_e32 v0, v18
	v_cmp_gt_f32_e64 s[48:49], s48, v0
	v_cndmask_b32_e64 v1, 1.0, 2.0, s[48:49]
	v_mul_f32_e32 v0, v0, v1
	v_add_f32_e32 v3, 1.0, v0
	v_rcp_f32_e32 v8, v3
	v_add_f32_e32 v1, -1.0, v3
	v_sub_f32_e32 v5, v0, v1
	v_add_f32_e32 v1, -1.0, v0
	v_mul_f32_e32 v9, v1, v8
	v_mul_f32_e32 v2, v3, v9
	v_fma_f32 v4, v9, v3, -v2
	v_fmac_f32_e32 v4, v9, v5
	v_add_f32_e32 v0, v2, v4
	v_sub_f32_e32 v3, v1, v0
	v_pk_add_f32 v[6:7], v[0:1], v[2:3] neg_lo:[0,1] neg_hi:[0,1]
	v_mov_b32_e32 v5, v0
	v_pk_add_f32 v[0:1], v[6:7], v[4:5] neg_lo:[0,1] neg_hi:[0,1]
	v_add_f32_e32 v0, v0, v1
	v_add_f32_e32 v0, v3, v0
	v_mul_f32_e32 v1, v8, v0
	v_add_f32_e32 v0, v9, v1
	v_sub_f32_e32 v2, v0, v9
	v_sub_f32_e32 v10, v1, v2
	v_mul_f32_e32 v1, v0, v0
	v_fma_f32 v3, v0, v0, -v1
	v_add_f32_e32 v2, v10, v10
	v_fmac_f32_e32 v3, v0, v2
	v_add_f32_e32 v2, v1, v3
	v_mov_b32_e32 v4, 0x3e91f4c4
	v_fmac_f32_e32 v4, 0x3e76c4e1, v2
	v_mov_b32_e32 v5, 0x3ecccdef
	v_fma_f32 v4, v2, v4, v5
	v_sub_f32_e32 v1, v2, v1
	v_sub_f32_e32 v11, v3, v1
	v_mul_f32_e32 v1, v2, v4
	v_fma_f32 v3, v2, v4, -v1
	v_fmac_f32_e32 v3, v11, v4
	v_add_f32_e32 v4, v1, v3
	v_add_f32_e32 v5, 0x3f2aaaaa, v4
	v_sub_f32_e32 v1, v4, v1
	v_sub_f32_e32 v1, v3, v1
	v_add_f32_e32 v3, 0xbf2aaaaa, v5
	v_add_f32_e32 v1, 0x31739010, v1
	v_sub_f32_e32 v3, v4, v3
	v_pk_mul_f32 v[6:7], v[0:1], v[2:3]
	v_fma_f32 v4, v2, v0, -v6
	v_pk_add_f32 v[8:9], v[0:1], v[2:3]
	v_fmac_f32_e32 v4, v2, v10
	v_mov_b32_e32 v7, v9
	v_fmac_f32_e32 v4, v11, v0
	v_pk_add_f32 v[2:3], v[6:7], v[4:5]
	v_sub_f32_e32 v1, v2, v6
	v_sub_f32_e32 v1, v4, v1
	;; [unrolled: 1-line block ×3, first 2 shown]
	v_add_f32_e32 v8, v9, v4
	v_mov_b32_e32 v4, v3
	v_pk_mul_f32 v[4:5], v[2:3], v[4:5]
	v_cvt_f64_f32_e32 v[6:7], v18
	v_frexp_exp_i32_f64_e32 v5, v[6:7]
	v_subbrev_co_u32_e64 v5, s[48:49], 0, v5, s[48:49]
	v_cvt_f32_i32_e32 v5, v5
	v_fma_f32 v6, v2, v3, -v4
	v_fmac_f32_e32 v6, v2, v8
	s_mov_b32 s48, 0x3f317218
	v_mul_f32_e32 v2, 0x3f317218, v5
	v_fmac_f32_e32 v6, v1, v3
	v_fma_f32 v8, v5, s48, -v2
	v_fmac_f32_e32 v8, 0xb102e308, v5
	v_ldexp_f32 v9, v0, 1
	v_add_f32_e32 v3, v4, v6
	v_pk_add_f32 v[0:1], v[2:3], v[8:9]
	v_ldexp_f32 v12, v10, 1
	v_mov_b32_e32 v10, v3
	v_mov_b32_e32 v11, v1
	;; [unrolled: 1-line block ×3, first 2 shown]
	v_pk_add_f32 v[4:5], v[10:11], v[4:5] neg_lo:[0,1] neg_hi:[0,1]
	v_mov_b32_e32 v7, v3
	v_pk_add_f32 v[4:5], v[6:7], v[4:5] neg_lo:[0,1] neg_hi:[0,1]
	v_add_f32_e32 v3, v12, v4
	v_add_f32_e32 v3, v3, v5
	v_pk_add_f32 v[4:5], v[0:1], v[2:3] neg_lo:[0,1] neg_hi:[0,1]
	v_pk_add_f32 v[6:7], v[0:1], v[2:3]
	v_mov_b32_e32 v10, v4
	v_mov_b32_e32 v11, v7
	;; [unrolled: 1-line block ×3, first 2 shown]
	v_pk_add_f32 v[10:11], v[8:9], v[10:11]
	v_mov_b32_e32 v2, v11
	v_pk_add_f32 v[12:13], v[2:3], v[0:1] neg_lo:[0,1] neg_hi:[0,1]
	v_mov_b32_e32 v13, v12
	v_mov_b32_e32 v10, v7
	;; [unrolled: 1-line block ×4, first 2 shown]
	v_pk_add_f32 v[4:5], v[8:9], v[4:5] neg_lo:[0,1] neg_hi:[0,1]
	v_pk_add_f32 v[14:15], v[6:7], v[12:13] neg_lo:[0,1] neg_hi:[0,1]
	;; [unrolled: 1-line block ×3, first 2 shown]
	v_mov_b32_e32 v8, v3
	v_pk_add_f32 v[0:1], v[8:9], v[0:1] neg_lo:[0,1] neg_hi:[0,1]
	v_mov_b32_e32 v14, v4
	v_pk_add_f32 v[6:7], v[14:15], v[0:1]
	v_mov_b32_e32 v8, v7
	v_pk_add_f32 v[8:9], v[6:7], v[8:9]
	v_pk_add_f32 v[2:3], v[2:3], v[8:9]
	v_mov_b32_e32 v5, v11
	v_mov_b32_e32 v7, v2
	v_pk_add_f32 v[10:11], v[6:7], v[4:5] neg_lo:[0,1] neg_hi:[0,1]
	v_mov_b32_e32 v1, v8
	v_sub_f32_e32 v3, v6, v10
	v_pk_add_f32 v[0:1], v[0:1], v[10:11] neg_lo:[0,1] neg_hi:[0,1]
	v_sub_f32_e32 v3, v4, v3
	v_add_f32_e32 v0, v0, v3
	v_add_f32_e32 v0, v0, v1
	v_add_f32_e32 v1, v2, v0
	v_sub_f32_e32 v2, v1, v2
	v_sub_f32_e32 v0, v0, v2
	v_mul_f32_e32 v2, v17, v1
	v_fma_f32 v1, v17, v1, -v2
	v_fmac_f32_e32 v1, v17, v0
	v_add_f32_e32 v0, v2, v1
	v_cmp_class_f32_e64 s[48:49], v2, s50
	v_sub_f32_e32 v3, v0, v2
	v_cndmask_b32_e64 v0, v0, v2, s[48:49]
	v_cmp_eq_f32_e64 s[48:49], s85, v0
	v_mov_b32_e32 v2, 0x37000000
	v_cndmask_b32_e64 v2, 0, v2, s[48:49]
	v_sub_f32_e32 v1, v1, v3
	v_sub_f32_e32 v3, v0, v2
	v_mul_f32_e32 v4, 0x3fb8aa3b, v3
	v_fma_f32 v5, v3, s88, -v4
	v_rndne_f32_e32 v6, v4
	v_fmac_f32_e32 v5, 0x32a5705f, v3
	v_sub_f32_e32 v4, v4, v6
	v_add_f32_e32 v4, v4, v5
	v_exp_f32_e32 v4, v4
	v_cvt_i32_f32_e32 v5, v6
	s_mov_b32 s51, 0x7f800000
	v_cmp_neq_f32_e64 s[48:49], |v0|, s51
	v_cndmask_b32_e64 v0, 0, v1, s[48:49]
	v_ldexp_f32 v1, v4, v5
	v_cmp_ngt_f32_e64 s[48:49], s89, v3
	v_cndmask_b32_e64 v1, 0, v1, s[48:49]
	v_cmp_nlt_f32_e64 s[48:49], s85, v3
	v_add_f32_e32 v0, v2, v0
	v_cndmask_b32_e64 v1, v144, v1, s[48:49]
	v_fma_f32 v0, v1, v0, v1
	v_cmp_class_f32_e64 s[48:49], v1, s50
	v_trunc_f32_e32 v2, v17
	v_cndmask_b32_e64 v0, v0, v1, s[48:49]
	v_cndmask_b32_e64 v1, v16, 1.0, vcc
	v_cmp_eq_f32_e32 vcc, v2, v17
	v_mul_f32_e32 v2, 0.5, v17
	v_trunc_f32_e32 v3, v2
	v_cmp_neq_f32_e64 s[48:49], v3, v2
	s_and_b64 s[48:49], vcc, s[48:49]
	v_cndmask_b32_e64 v2, 1.0, v1, s[48:49]
	v_bfi_b32 v0, s8, v0, v2
	v_mov_b32_e32 v4, 0x7fc00000
	v_cndmask_b32_e32 v2, v4, v0, vcc
	v_cmp_gt_f32_e32 vcc, 0, v1
	v_cndmask_b32_e32 v0, v0, v2, vcc
	v_cmp_eq_f32_e32 vcc, s51, v18
	v_cmp_eq_f32_e64 s[50:51], 0, v1
	v_cmp_gt_f32_e64 s[52:53], 0, v17
	s_xor_b64 s[52:53], s[52:53], s[50:51]
	v_cndmask_b32_e64 v2, v144, 0, s[52:53]
	v_cndmask_b32_e64 v3, 0, v1, s[48:49]
	v_bfi_b32 v2, s8, v2, v3
	s_or_b64 vcc, vcc, s[50:51]
	v_cndmask_b32_e32 v0, v0, v2, vcc
	v_cmp_o_f32_e32 vcc, v1, v1
	v_cndmask_b32_e32 v92, v4, v0, vcc
	v_readlane_b32 s61, v254, 54
.LBB30_20:                              ;   in Loop: Header=BB30_16 Depth=1
	v_readlane_b32 s48, v254, 3
	s_mul_i32 s44, s44, s48
	s_sub_i32 s33, s33, s44
	s_ashr_i32 s44, s33, 31
	v_readlane_b32 s48, v254, 25
	s_abs_i32 s33, s33
	s_xor_b32 s44, s44, s48
	s_mul_hi_u32 s48, s33, s58
	s_mul_i32 s49, s48, s55
	s_sub_i32 s33, s33, s49
	s_add_i32 s49, s48, 1
	s_sub_i32 s50, s33, s55
	s_cmp_ge_u32 s33, s55
	s_cselect_b32 s48, s49, s48
	s_cselect_b32 s33, s50, s33
	s_add_i32 s49, s48, 1
	s_cmp_ge_u32 s33, s55
	s_cselect_b32 s33, s49, s48
	v_readlane_b32 s48, v254, 47
	s_xor_b32 s33, s33, s44
	v_readlane_b32 s49, v254, 48
	s_andn2_b64 vcc, exec, s[48:49]
	s_sub_i32 s58, s33, s44
	s_cbranch_vccnz .LBB30_22
; %bb.21:                               ;   in Loop: Header=BB30_16 Depth=1
	v_readlane_b32 s33, v254, 0
	s_mul_i32 s33, s4, s33
	s_add_i32 s48, s58, s33
	s_ashr_i32 s49, s48, 31
	v_readlane_b32 s60, v254, 26
	s_lshl_b64 s[48:49], s[48:49], 2
	v_readlane_b32 s70, v254, 36
	v_readlane_b32 s71, v254, 37
	s_add_u32 s48, s70, s48
	s_addc_u32 s49, s71, s49
	global_load_dword v0, v125, s[48:49]
	v_readlane_b32 s61, v254, 27
	v_readlane_b32 s62, v254, 28
	;; [unrolled: 1-line block ×13, first 2 shown]
	s_waitcnt vmcnt(0)
	v_readfirstlane_b32 s33, v0
	s_ashr_i32 s44, s33, 31
	s_lshr_b32 s44, s44, 26
	s_add_i32 s33, s33, s44
	s_ashr_i32 s33, s33, 6
	s_min_i32 s92, s92, s33
	s_branch .LBB30_23
.LBB30_22:                              ;   in Loop: Header=BB30_16 Depth=1
	v_readlane_b32 s60, v254, 26
	v_readlane_b32 s61, v254, 27
	;; [unrolled: 1-line block ×16, first 2 shown]
.LBB30_23:                              ;   in Loop: Header=BB30_16 Depth=1
	v_readlane_b32 s33, v254, 52
	s_mul_i32 s33, s33, s4
	s_add_i32 s33, s54, s33
	s_lshl_b32 s44, s33, 7
	s_lshl_b64 s[48:49], s[44:45], 3
	s_add_u32 s33, s72, s48
	v_writelane_b32 v255, s33, 29
	s_addc_u32 s33, s73, s49
	v_readlane_b32 s48, v254, 14
	v_readlane_b32 s49, v254, 15
	v_writelane_b32 v255, s33, 30
	s_mul_i32 s33, s4, s49
	s_mul_hi_u32 s44, s4, s48
	s_add_i32 s33, s44, s33
	s_mul_i32 s44, s5, s48
	s_add_i32 s44, s33, s44
	s_mul_i32 s33, s4, s48
	v_readlane_b32 s48, v254, 21
	v_readlane_b32 s49, v254, 22
	;; [unrolled: 1-line block ×3, first 2 shown]
	v_writelane_b32 v255, s33, 31
	s_add_u32 s33, s64, s33
	s_mov_b64 s[52:53], s[48:49]
	s_mul_i32 s48, s57, s51
	v_writelane_b32 v255, s44, 32
	s_addc_u32 s44, s65, s44
	s_ashr_i32 s49, s48, 31
	s_add_u32 s33, s33, s48
	v_writelane_b32 v255, s48, 33
	s_addc_u32 s84, s44, s49
	s_ashr_i32 s55, s54, 31
	v_writelane_b32 v255, s49, 34
	s_lshl_b64 s[48:49], s[54:55], 2
	v_readlane_b32 s50, v254, 23
	s_add_u32 s44, s68, s48
	s_addc_u32 s50, s69, s49
	v_readlane_b32 s48, v254, 45
	v_readlane_b32 s49, v254, 46
	s_and_b64 s[48:49], s[48:49], exec
	s_cselect_b32 s65, 0, s50
	v_readlane_b32 s50, v254, 8
	v_readlane_b32 s51, v254, 9
	s_cselect_b32 s64, 0, s44
	s_mul_i32 s44, s4, s51
	s_ashr_i32 s48, s44, 31
	s_add_u32 s44, s60, s44
	s_mul_i32 s49, s54, s50
	s_addc_u32 s48, s61, s48
	s_ashr_i32 s50, s49, 31
	s_add_u32 s74, s44, s49
	s_addc_u32 s66, s48, s50
	s_mul_i32 s44, s4, s53
	s_mul_hi_u32 s48, s4, s52
	s_add_i32 s44, s48, s44
	s_mul_i32 s5, s5, s52
	s_mul_i32 s4, s4, s52
	v_readlane_b32 s48, v254, 19
	s_add_i32 s5, s44, s5
	v_writelane_b32 v255, s4, 35
	v_readlane_b32 s49, v254, 20
	s_add_u32 s4, s62, s4
	v_writelane_b32 v255, s5, 36
	s_mul_i32 s44, s57, s49
	s_addc_u32 s5, s63, s5
	s_ashr_i32 s48, s44, 31
	v_writelane_b32 v255, s44, 37
	s_add_u32 s4, s4, s44
	v_writelane_b32 v255, s48, 38
	s_addc_u32 s5, s5, s48
	v_writelane_b32 v255, s80, 39
	s_cmp_lg_u32 s56, 0
	v_writelane_b32 v255, s81, 40
	s_cbranch_scc0 .LBB30_101
; %bb.24:                               ;   in Loop: Header=BB30_16 Depth=1
	s_lshl_b32 s44, s58, 5
	v_add_u32_e32 v1, s44, v173
	s_mov_b32 s75, s58
	v_cmp_le_i32_e32 vcc, s76, v1
	s_and_saveexec_b64 s[48:49], vcc
	s_xor_b64 s[48:49], exec, s[48:49]
	s_cbranch_execz .LBB30_26
; %bb.25:                               ;   in Loop: Header=BB30_16 Depth=1
	v_accvgpr_read_b32 v0, a80
	ds_write2st64_b32 v0, v125, v125 offset1:1
.LBB30_26:                              ;   in Loop: Header=BB30_16 Depth=1
	s_andn2_saveexec_b64 s[48:49], s[48:49]
	s_cbranch_execz .LBB30_28
; %bb.27:                               ;   in Loop: Header=BB30_16 Depth=1
	v_readlane_b32 s50, v254, 18
	v_mad_u64_u32 v[2:3], s[50:51], v1, s50, v[98:99]
	v_ashrrev_i32_e32 v3, 31, v2
	v_lshlrev_b64 v[2:3], 3, v[2:3]
	v_add_co_u32_e32 v2, vcc, s74, v2
	v_mov_b32_e32 v0, s66
	v_addc_co_u32_e32 v3, vcc, v0, v3, vcc
	global_load_dwordx2 v[4:5], v[2:3], off
	s_waitcnt vmcnt(0)
	v_cvt_f16_f32_e32 v0, v4
	global_load_dwordx2 v[2:3], v[2:3], off offset:512
	v_cvt_f16_f32_e32 v4, v5
	v_pack_b32_f16 v0, v0, v4
	v_pk_mul_f16 v0, v174, v0
	s_waitcnt vmcnt(0)
	v_cvt_f16_f32_e32 v2, v2
	v_cvt_f16_f32_e32 v3, v3
	v_pack_b32_f16 v2, v2, v3
	v_pk_mul_f16 v2, v174, v2
	v_accvgpr_read_b32 v3, a80
	ds_write2st64_b32 v3, v0, v2 offset1:1
.LBB30_28:                              ;   in Loop: Header=BB30_16 Depth=1
	s_or_b64 exec, exec, s[48:49]
	v_add_u32_e32 v51, s44, v182
	v_cmp_le_i32_e32 vcc, s76, v51
	s_and_saveexec_b64 s[48:49], vcc
	s_xor_b64 s[48:49], exec, s[48:49]
	s_cbranch_execz .LBB30_30
; %bb.29:                               ;   in Loop: Header=BB30_16 Depth=1
	v_accvgpr_read_b32 v0, a177
	ds_write2st64_b32 v0, v125, v125 offset1:1
.LBB30_30:                              ;   in Loop: Header=BB30_16 Depth=1
	s_andn2_saveexec_b64 s[48:49], s[48:49]
	s_cbranch_execz .LBB30_32
; %bb.31:                               ;   in Loop: Header=BB30_16 Depth=1
	v_readlane_b32 s50, v254, 18
	v_mad_u64_u32 v[2:3], s[50:51], v51, s50, v[98:99]
	v_ashrrev_i32_e32 v3, 31, v2
	v_lshlrev_b64 v[2:3], 3, v[2:3]
	v_add_co_u32_e32 v2, vcc, s74, v2
	v_mov_b32_e32 v0, s66
	v_addc_co_u32_e32 v3, vcc, v0, v3, vcc
	global_load_dwordx2 v[4:5], v[2:3], off
	s_waitcnt vmcnt(0)
	v_cvt_f16_f32_e32 v0, v4
	global_load_dwordx2 v[2:3], v[2:3], off offset:512
	v_cvt_f16_f32_e32 v4, v5
	v_pack_b32_f16 v0, v0, v4
	v_pk_mul_f16 v0, v174, v0
	s_waitcnt vmcnt(0)
	v_cvt_f16_f32_e32 v2, v2
	v_cvt_f16_f32_e32 v3, v3
	v_pack_b32_f16 v2, v2, v3
	v_pk_mul_f16 v2, v174, v2
	v_accvgpr_read_b32 v3, a177
	ds_write2st64_b32 v3, v0, v2 offset1:1
.LBB30_32:                              ;   in Loop: Header=BB30_16 Depth=1
	s_or_b64 exec, exec, s[48:49]
	v_add_u32_e32 v57, s44, v181
	v_cmp_le_i32_e32 vcc, s76, v57
	s_and_saveexec_b64 s[48:49], vcc
	s_xor_b64 s[48:49], exec, s[48:49]
	s_cbranch_execz .LBB30_34
; %bb.33:                               ;   in Loop: Header=BB30_16 Depth=1
	v_accvgpr_read_b32 v0, a177
	v_add_u32_e32 v0, 64, v0
	ds_write2st64_b32 v0, v125, v125 offset0:8 offset1:9
.LBB30_34:                              ;   in Loop: Header=BB30_16 Depth=1
	s_andn2_saveexec_b64 s[48:49], s[48:49]
	s_cbranch_execz .LBB30_36
; %bb.35:                               ;   in Loop: Header=BB30_16 Depth=1
	v_readlane_b32 s50, v254, 18
	v_mad_u64_u32 v[2:3], s[50:51], v57, s50, v[98:99]
	v_ashrrev_i32_e32 v3, 31, v2
	v_lshlrev_b64 v[2:3], 3, v[2:3]
	v_add_co_u32_e32 v2, vcc, s74, v2
	v_mov_b32_e32 v0, s66
	v_addc_co_u32_e32 v3, vcc, v0, v3, vcc
	global_load_dwordx2 v[4:5], v[2:3], off
	s_waitcnt vmcnt(0)
	v_cvt_f16_f32_e32 v0, v4
	global_load_dwordx2 v[2:3], v[2:3], off offset:512
	v_cvt_f16_f32_e32 v4, v5
	v_pack_b32_f16 v0, v0, v4
	v_pk_mul_f16 v0, v174, v0
	s_waitcnt vmcnt(0)
	v_cvt_f16_f32_e32 v2, v2
	v_cvt_f16_f32_e32 v3, v3
	v_pack_b32_f16 v2, v2, v3
	v_accvgpr_read_b32 v3, a177
	v_pk_mul_f16 v2, v174, v2
	v_add_u32_e32 v3, 64, v3
	ds_write2st64_b32 v3, v0, v2 offset0:8 offset1:9
.LBB30_36:                              ;   in Loop: Header=BB30_16 Depth=1
	s_or_b64 exec, exec, s[48:49]
	v_add_u32_e32 v91, s44, v180
	v_cmp_le_i32_e32 vcc, s76, v91
	s_and_saveexec_b64 s[48:49], vcc
	s_xor_b64 s[48:49], exec, s[48:49]
	s_cbranch_execz .LBB30_38
; %bb.37:                               ;   in Loop: Header=BB30_16 Depth=1
	v_accvgpr_read_b32 v0, a177
	v_add_u32_e32 v0, 0x80, v0
	ds_write2st64_b32 v0, v125, v125 offset0:16 offset1:17
.LBB30_38:                              ;   in Loop: Header=BB30_16 Depth=1
	s_andn2_saveexec_b64 s[48:49], s[48:49]
	s_cbranch_execz .LBB30_40
; %bb.39:                               ;   in Loop: Header=BB30_16 Depth=1
	v_readlane_b32 s50, v254, 18
	v_mad_u64_u32 v[2:3], s[50:51], v91, s50, v[98:99]
	v_ashrrev_i32_e32 v3, 31, v2
	v_lshlrev_b64 v[2:3], 3, v[2:3]
	v_add_co_u32_e32 v2, vcc, s74, v2
	v_mov_b32_e32 v0, s66
	v_addc_co_u32_e32 v3, vcc, v0, v3, vcc
	global_load_dwordx2 v[4:5], v[2:3], off
	s_waitcnt vmcnt(0)
	v_cvt_f16_f32_e32 v0, v4
	global_load_dwordx2 v[2:3], v[2:3], off offset:512
	v_cvt_f16_f32_e32 v4, v5
	v_pack_b32_f16 v0, v0, v4
	v_pk_mul_f16 v0, v174, v0
	s_waitcnt vmcnt(0)
	v_cvt_f16_f32_e32 v2, v2
	v_cvt_f16_f32_e32 v3, v3
	v_pack_b32_f16 v2, v2, v3
	v_accvgpr_read_b32 v3, a177
	v_pk_mul_f16 v2, v174, v2
	v_add_u32_e32 v3, 0x80, v3
	ds_write2st64_b32 v3, v0, v2 offset0:16 offset1:17
.LBB30_40:                              ;   in Loop: Header=BB30_16 Depth=1
	s_or_b64 exec, exec, s[48:49]
	v_add_u32_e32 v53, s44, v179
	v_cmp_le_i32_e32 vcc, s76, v53
	s_and_saveexec_b64 s[48:49], vcc
	s_xor_b64 s[48:49], exec, s[48:49]
	s_cbranch_execz .LBB30_42
; %bb.41:                               ;   in Loop: Header=BB30_16 Depth=1
	v_accvgpr_read_b32 v0, a177
	v_add_u32_e32 v0, 0xc0, v0
	ds_write2st64_b32 v0, v125, v125 offset0:24 offset1:25
.LBB30_42:                              ;   in Loop: Header=BB30_16 Depth=1
	s_andn2_saveexec_b64 s[48:49], s[48:49]
	s_cbranch_execz .LBB30_44
; %bb.43:                               ;   in Loop: Header=BB30_16 Depth=1
	v_readlane_b32 s50, v254, 18
	v_mad_u64_u32 v[2:3], s[50:51], v53, s50, v[98:99]
	v_ashrrev_i32_e32 v3, 31, v2
	v_lshlrev_b64 v[2:3], 3, v[2:3]
	v_add_co_u32_e32 v2, vcc, s74, v2
	v_mov_b32_e32 v0, s66
	v_addc_co_u32_e32 v3, vcc, v0, v3, vcc
	global_load_dwordx2 v[4:5], v[2:3], off
	s_waitcnt vmcnt(0)
	v_cvt_f16_f32_e32 v0, v4
	global_load_dwordx2 v[2:3], v[2:3], off offset:512
	v_cvt_f16_f32_e32 v4, v5
	v_pack_b32_f16 v0, v0, v4
	v_pk_mul_f16 v0, v174, v0
	s_waitcnt vmcnt(0)
	v_cvt_f16_f32_e32 v2, v2
	v_cvt_f16_f32_e32 v3, v3
	v_pack_b32_f16 v2, v2, v3
	v_accvgpr_read_b32 v3, a177
	v_pk_mul_f16 v2, v174, v2
	v_add_u32_e32 v3, 0xc0, v3
	ds_write2st64_b32 v3, v0, v2 offset0:24 offset1:25
.LBB30_44:                              ;   in Loop: Header=BB30_16 Depth=1
	s_or_b64 exec, exec, s[48:49]
	v_add_u32_e32 v112, s44, v178
	v_cmp_le_i32_e32 vcc, s76, v112
	s_and_saveexec_b64 s[48:49], vcc
	s_xor_b64 s[48:49], exec, s[48:49]
	s_cbranch_execz .LBB30_46
; %bb.45:                               ;   in Loop: Header=BB30_16 Depth=1
	v_accvgpr_read_b32 v0, a177
	ds_write2st64_b32 v0, v125, v125 offset0:33 offset1:34
.LBB30_46:                              ;   in Loop: Header=BB30_16 Depth=1
	s_andn2_saveexec_b64 s[48:49], s[48:49]
	s_cbranch_execz .LBB30_48
; %bb.47:                               ;   in Loop: Header=BB30_16 Depth=1
	v_readlane_b32 s50, v254, 18
	v_mad_u64_u32 v[2:3], s[50:51], v112, s50, v[98:99]
	v_ashrrev_i32_e32 v3, 31, v2
	v_lshlrev_b64 v[2:3], 3, v[2:3]
	v_add_co_u32_e32 v2, vcc, s74, v2
	v_mov_b32_e32 v0, s66
	v_addc_co_u32_e32 v3, vcc, v0, v3, vcc
	global_load_dwordx2 v[4:5], v[2:3], off
	s_waitcnt vmcnt(0)
	v_cvt_f16_f32_e32 v0, v4
	global_load_dwordx2 v[2:3], v[2:3], off offset:512
	v_cvt_f16_f32_e32 v4, v5
	v_pack_b32_f16 v0, v0, v4
	v_pk_mul_f16 v0, v174, v0
	s_waitcnt vmcnt(0)
	v_cvt_f16_f32_e32 v2, v2
	v_cvt_f16_f32_e32 v3, v3
	v_pack_b32_f16 v2, v2, v3
	v_pk_mul_f16 v2, v174, v2
	v_accvgpr_read_b32 v3, a177
	ds_write2st64_b32 v3, v0, v2 offset0:33 offset1:34
.LBB30_48:                              ;   in Loop: Header=BB30_16 Depth=1
	s_or_b64 exec, exec, s[48:49]
	v_add_u32_e32 v113, s44, v177
	v_cmp_le_i32_e32 vcc, s76, v113
	s_and_saveexec_b64 s[48:49], vcc
	s_xor_b64 s[48:49], exec, s[48:49]
	s_cbranch_execz .LBB30_50
; %bb.49:                               ;   in Loop: Header=BB30_16 Depth=1
	v_accvgpr_read_b32 v0, a177
	v_add_u32_e32 v0, 64, v0
	ds_write2st64_b32 v0, v125, v125 offset0:41 offset1:42
.LBB30_50:                              ;   in Loop: Header=BB30_16 Depth=1
	s_andn2_saveexec_b64 s[48:49], s[48:49]
	s_cbranch_execz .LBB30_52
; %bb.51:                               ;   in Loop: Header=BB30_16 Depth=1
	v_readlane_b32 s50, v254, 18
	v_mad_u64_u32 v[2:3], s[50:51], v113, s50, v[98:99]
	v_ashrrev_i32_e32 v3, 31, v2
	v_lshlrev_b64 v[2:3], 3, v[2:3]
	v_add_co_u32_e32 v2, vcc, s74, v2
	v_mov_b32_e32 v0, s66
	v_addc_co_u32_e32 v3, vcc, v0, v3, vcc
	global_load_dwordx2 v[4:5], v[2:3], off
	s_waitcnt vmcnt(0)
	v_cvt_f16_f32_e32 v0, v4
	global_load_dwordx2 v[2:3], v[2:3], off offset:512
	v_cvt_f16_f32_e32 v4, v5
	v_pack_b32_f16 v0, v0, v4
	v_pk_mul_f16 v0, v174, v0
	s_waitcnt vmcnt(0)
	v_cvt_f16_f32_e32 v2, v2
	v_cvt_f16_f32_e32 v3, v3
	v_pack_b32_f16 v2, v2, v3
	v_accvgpr_read_b32 v3, a177
	v_pk_mul_f16 v2, v174, v2
	v_add_u32_e32 v3, 64, v3
	ds_write2st64_b32 v3, v0, v2 offset0:41 offset1:42
.LBB30_52:                              ;   in Loop: Header=BB30_16 Depth=1
	s_or_b64 exec, exec, s[48:49]
	v_add_u32_e32 v50, s44, v176
	v_cmp_le_i32_e32 vcc, s76, v50
	s_and_saveexec_b64 s[48:49], vcc
	s_xor_b64 s[48:49], exec, s[48:49]
	s_cbranch_execz .LBB30_54
; %bb.53:                               ;   in Loop: Header=BB30_16 Depth=1
	v_accvgpr_read_b32 v0, a177
	v_add_u32_e32 v0, 0x80, v0
	ds_write2st64_b32 v0, v125, v125 offset0:49 offset1:50
.LBB30_54:                              ;   in Loop: Header=BB30_16 Depth=1
	s_andn2_saveexec_b64 s[48:49], s[48:49]
	s_cbranch_execz .LBB30_56
; %bb.55:                               ;   in Loop: Header=BB30_16 Depth=1
	v_readlane_b32 s50, v254, 18
	v_mad_u64_u32 v[2:3], s[50:51], v50, s50, v[98:99]
	v_ashrrev_i32_e32 v3, 31, v2
	v_lshlrev_b64 v[2:3], 3, v[2:3]
	v_add_co_u32_e32 v2, vcc, s74, v2
	v_mov_b32_e32 v0, s66
	v_addc_co_u32_e32 v3, vcc, v0, v3, vcc
	global_load_dwordx2 v[4:5], v[2:3], off
	s_waitcnt vmcnt(0)
	v_cvt_f16_f32_e32 v0, v4
	global_load_dwordx2 v[2:3], v[2:3], off offset:512
	v_cvt_f16_f32_e32 v4, v5
	v_pack_b32_f16 v0, v0, v4
	v_pk_mul_f16 v0, v174, v0
	s_waitcnt vmcnt(0)
	v_cvt_f16_f32_e32 v2, v2
	v_cvt_f16_f32_e32 v3, v3
	v_pack_b32_f16 v2, v2, v3
	v_accvgpr_read_b32 v3, a177
	v_pk_mul_f16 v2, v174, v2
	v_add_u32_e32 v3, 0x80, v3
	ds_write2st64_b32 v3, v0, v2 offset0:49 offset1:50
.LBB30_56:                              ;   in Loop: Header=BB30_16 Depth=1
	s_or_b64 exec, exec, s[48:49]
	v_accvgpr_read_b32 v0, a69
	s_waitcnt lgkmcnt(0)
	s_barrier
	ds_read2_b64 v[30:33], v0 offset1:4
	ds_read2_b64 v[26:29], v0 offset0:8 offset1:12
	ds_read2_b64 v[22:25], v0 offset0:16 offset1:20
	;; [unrolled: 1-line block ×7, first 2 shown]
	s_add_i32 s54, s92, -1
	s_cmp_le_i32 s54, s56
	v_mov_b32_e32 v114, 0
	s_waitcnt lgkmcnt(0)
	s_barrier
	s_cbranch_scc1 .LBB30_102
; %bb.57:                               ;   in Loop: Header=BB30_16 Depth=1
	v_readlane_b32 s50, v255, 27
	v_lshlrev_b32_e32 v0, 1, v98
	v_readlane_b32 s52, v254, 10
	v_add_co_u32_e32 v116, vcc, s50, v0
	v_mul_hi_u32 v0, s52, v1
	v_readlane_b32 s53, v254, 11
	v_add_u32_e32 v0, v1, v0
	v_readlane_b32 s51, v255, 28
	v_lshrrev_b32_e32 v0, s53, v0
	s_cmp_lg_u64 s[50:51], 0
	v_mov_b32_e32 v34, s51
	v_mul_lo_u32 v0, v0, s76
	v_readlane_b32 s50, v255, 17
	v_sub_u32_e32 v0, v1, v0
	v_readlane_b32 s51, v255, 18
	s_mov_b32 s58, s50
	v_addc_co_u32_e32 v117, vcc, 0, v34, vcc
	v_mad_i64_i32 v[34:35], s[50:51], v0, s58, 0
	v_mul_hi_u32 v0, s52, v51
	v_add_u32_e32 v0, v51, v0
	v_lshrrev_b32_e32 v0, s53, v0
	v_mul_lo_u32 v0, v0, s76
	v_sub_u32_e32 v0, v51, v0
	v_mad_i64_i32 v[36:37], s[50:51], v0, s58, 0
	v_mul_hi_u32 v0, s52, v57
	v_add_u32_e32 v0, v57, v0
	v_lshrrev_b32_e32 v0, s53, v0
	v_mul_lo_u32 v0, v0, s76
	v_sub_u32_e32 v0, v57, v0
	;; [unrolled: 6-line block ×7, first 2 shown]
	v_mad_i64_i32 v[48:49], s[50:51], v0, s58, 0
	v_and_b32_e32 v0, 64, v99
	v_add_u32_e32 v0, 64, v0
	v_xor_b32_e32 v52, 32, v99
	v_cmp_lt_i32_e32 vcc, v52, v0
	v_xor_b32_e32 v54, 16, v99
	v_cndmask_b32_e32 v52, v99, v52, vcc
	v_cmp_lt_i32_e32 vcc, v54, v0
	v_cndmask_b32_e32 v0, v99, v54, vcc
	s_cselect_b64 s[48:49], -1, 0
	v_mov_b32_e32 v147, 0
	v_lshlrev_b32_e32 v52, 2, v52
	v_lshlrev_b32_e32 v122, 2, v0
	v_mov_b32_e32 v94, v92
	v_mov_b32_e32 v95, v92
	s_lshl_b32 s50, s56, 6
	v_mov_b32_e32 v150, 0
	v_mov_b32_e32 v154, 0xfeffffff
	v_lshlrev_b64 v[96:97], 1, v[34:35]
	v_lshlrev_b64 v[98:99], 1, v[36:37]
	;; [unrolled: 1-line block ×8, first 2 shown]
	v_mov_b32_e32 v148, 0
	v_mov_b32_e32 v146, 0
	;; [unrolled: 1-line block ×31, first 2 shown]
	s_andn2_b64 vcc, exec, s[48:49]
	s_ashr_i32 s51, s50, 31
	s_cbranch_vccnz .LBB30_63
.LBB30_58:                              ;   in Loop: Header=BB30_16 Depth=1
                                        ; implicit-def: $sgpr55
	s_mov_b64 s[52:53], exec
	v_readlane_b32 s58, v254, 59
	v_readlane_b32 s59, v254, 60
	s_and_b64 s[58:59], s[52:53], s[58:59]
	s_xor_b64 s[52:53], s[58:59], s[52:53]
	s_mov_b64 exec, s[58:59]
	s_cbranch_execz .LBB30_60
; %bb.59:                               ;   in Loop: Header=BB30_16 Depth=1
	v_accvgpr_read_b32 v34, a70
	ds_write_b16 v34, v125 offset:33792
	v_accvgpr_read_b32 v34, a163
	ds_write_b16 v34, v125 offset:33792
	;; [unrolled: 2-line block ×4, first 2 shown]
	s_mov_b32 s55, 0
.LBB30_60:                              ;   in Loop: Header=BB30_16 Depth=1
	s_or_saveexec_b64 s[52:53], s[52:53]
	v_mov_b32_e32 v34, s55
	v_mov_b32_e32 v35, s55
	;; [unrolled: 1-line block ×4, first 2 shown]
	s_xor_b64 exec, exec, s[52:53]
	s_cbranch_execz .LBB30_62
; %bb.61:                               ;   in Loop: Header=BB30_16 Depth=1
	s_lshl_b64 s[58:59], s[50:51], 1
	v_add_co_u32_e32 v38, vcc, s58, v116
	v_mov_b32_e32 v34, s59
	v_addc_co_u32_e32 v39, vcc, v117, v34, vcc
	v_add_co_u32_e32 v34, vcc, v38, v96
	v_addc_co_u32_e32 v35, vcc, v39, v97, vcc
	flat_load_ushort v36, v[34:35]
	v_add_co_u32_e32 v34, vcc, v38, v98
	v_addc_co_u32_e32 v35, vcc, v39, v99, vcc
	flat_load_ushort v37, v[34:35]
	;; [unrolled: 3-line block ×4, first 2 shown]
	v_accvgpr_read_b32 v35, a70
	s_waitcnt vmcnt(0) lgkmcnt(0)
	ds_write_b16 v35, v36 offset:33792
	v_accvgpr_read_b32 v35, a163
	ds_write_b16 v35, v37 offset:33792
	v_accvgpr_read_b32 v35, a164
	;; [unrolled: 2-line block ×3, first 2 shown]
	ds_write_b16 v35, v34 offset:33792
	v_add_co_u32_e32 v34, vcc, v38, v104
	v_addc_co_u32_e32 v35, vcc, v39, v105, vcc
	v_add_co_u32_e32 v36, vcc, v38, v106
	v_addc_co_u32_e32 v37, vcc, v39, v107, vcc
	flat_load_ushort v34, v[34:35]
	s_nop 0
	flat_load_ushort v35, v[36:37]
	v_add_co_u32_e32 v36, vcc, v38, v108
	v_addc_co_u32_e32 v37, vcc, v39, v109, vcc
	v_add_co_u32_e32 v38, vcc, v38, v110
	v_addc_co_u32_e32 v39, vcc, v39, v111, vcc
	flat_load_ushort v36, v[36:37]
	s_nop 0
	flat_load_ushort v37, v[38:39]
.LBB30_62:                              ;   in Loop: Header=BB30_16 Depth=1
	s_or_b64 exec, exec, s[52:53]
	v_accvgpr_read_b32 v38, a166
	s_waitcnt vmcnt(0) lgkmcnt(0)
	ds_write_b16 v38, v34 offset:33792
	v_accvgpr_read_b32 v34, a167
	ds_write_b16 v34, v35 offset:33792
	v_accvgpr_read_b32 v34, a168
	;; [unrolled: 2-line block ×3, first 2 shown]
	ds_write_b16 v34, v37 offset:33792
.LBB30_63:                              ;   Parent Loop BB30_16 Depth=1
                                        ; =>  This Inner Loop Header: Depth=2
	s_mul_hi_i32 s53, s50, s86
	s_mul_i32 s52, s50, s86
	s_lshl_b64 s[52:53], s[52:53], 2
	s_add_u32 s52, s4, s52
	s_addc_u32 s51, s5, s53
	v_add_co_u32_e32 v34, vcc, s52, v74
	v_mov_b32_e32 v35, s51
	v_addc_co_u32_e32 v35, vcc, v35, v75, vcc
	v_lshlrev_b32_e32 v149, 2, v162
	v_add_co_u32_e32 v34, vcc, v34, v149
	v_addc_co_u32_e32 v35, vcc, 0, v35, vcc
	v_mov_b32_e32 v38, s95
	v_mov_b32_e32 v39, s94
	buffer_store_dword v125, off, s[0:3], 0
	buffer_store_dword v125, off, s[0:3], 0 offset:4
	buffer_store_dword v125, off, s[0:3], 0 offset:8
	;; [unrolled: 1-line block ×3, first 2 shown]
	v_cndmask_b32_e64 v35, v38, v35, s[6:7]
	v_cndmask_b32_e64 v34, v39, v34, s[6:7]
	flat_load_dwordx4 v[34:37], v[34:35]
                                        ; implicit-def: $vgpr43
	s_waitcnt vmcnt(0) lgkmcnt(0)
	ds_write_b128 v152, v[34:37]
	v_add_co_u32_e32 v34, vcc, s52, v76
	v_mov_b32_e32 v35, s51
	v_addc_co_u32_e32 v35, vcc, v35, v77, vcc
	v_add_co_u32_e32 v34, vcc, v34, v149
	v_addc_co_u32_e32 v35, vcc, 0, v35, vcc
	v_cndmask_b32_e64 v35, v38, v35, s[90:91]
	v_cndmask_b32_e64 v34, v39, v34, s[90:91]
	flat_load_dwordx4 v[34:37], v[34:35]
	s_waitcnt vmcnt(0) lgkmcnt(0)
	ds_write_b128 v209, v[34:37]
	v_add_co_u32_e32 v34, vcc, s52, v78
	v_mov_b32_e32 v35, s51
	v_addc_co_u32_e32 v35, vcc, v35, v79, vcc
	v_add_co_u32_e32 v34, vcc, v34, v149
	v_addc_co_u32_e32 v35, vcc, 0, v35, vcc
	v_cndmask_b32_e64 v35, v38, v35, s[10:11]
	v_cndmask_b32_e64 v34, v39, v34, s[10:11]
	flat_load_dwordx4 v[34:37], v[34:35]
	s_waitcnt vmcnt(0) lgkmcnt(0)
	ds_write_b128 v205, v[34:37]
	v_add_co_u32_e32 v34, vcc, s52, v80
	v_mov_b32_e32 v35, s51
	v_addc_co_u32_e32 v35, vcc, v35, v81, vcc
	v_add_co_u32_e32 v34, vcc, v34, v149
	v_addc_co_u32_e32 v35, vcc, 0, v35, vcc
	v_cndmask_b32_e64 v35, v38, v35, s[12:13]
	v_cndmask_b32_e64 v34, v39, v34, s[12:13]
	flat_load_dwordx4 v[34:37], v[34:35]
	s_waitcnt vmcnt(0) lgkmcnt(0)
	ds_write_b128 v202, v[34:37]
	v_add_co_u32_e32 v34, vcc, s52, v82
	v_mov_b32_e32 v35, s51
	v_addc_co_u32_e32 v35, vcc, v35, v83, vcc
	v_add_co_u32_e32 v34, vcc, v34, v149
	v_addc_co_u32_e32 v35, vcc, 0, v35, vcc
	v_cndmask_b32_e64 v35, v38, v35, s[14:15]
	v_cndmask_b32_e64 v34, v39, v34, s[14:15]
	flat_load_dwordx4 v[34:37], v[34:35]
	s_waitcnt vmcnt(0) lgkmcnt(0)
	ds_write_b128 v200, v[34:37]
	v_add_co_u32_e32 v34, vcc, s52, v84
	v_mov_b32_e32 v35, s51
	v_addc_co_u32_e32 v35, vcc, v35, v85, vcc
	v_add_co_u32_e32 v34, vcc, v34, v149
	v_addc_co_u32_e32 v35, vcc, 0, v35, vcc
	v_cndmask_b32_e64 v35, v38, v35, s[16:17]
	v_cndmask_b32_e64 v34, v39, v34, s[16:17]
	flat_load_dwordx4 v[34:37], v[34:35]
	s_waitcnt vmcnt(0) lgkmcnt(0)
	ds_write_b128 v208, v[34:37]
	v_add_co_u32_e32 v34, vcc, s52, v86
	v_mov_b32_e32 v35, s51
	v_addc_co_u32_e32 v35, vcc, v35, v87, vcc
	v_add_co_u32_e32 v34, vcc, v34, v149
	v_addc_co_u32_e32 v35, vcc, 0, v35, vcc
	v_cndmask_b32_e64 v35, v38, v35, s[18:19]
	v_cndmask_b32_e64 v34, v39, v34, s[18:19]
	flat_load_dwordx4 v[34:37], v[34:35]
	s_waitcnt vmcnt(0) lgkmcnt(0)
	ds_write_b128 v220, v[34:37]
	v_add_co_u32_e32 v34, vcc, s52, v88
	v_mov_b32_e32 v35, s51
	v_addc_co_u32_e32 v35, vcc, v35, v89, vcc
	v_add_co_u32_e32 v34, vcc, v34, v149
	v_addc_co_u32_e32 v35, vcc, 0, v35, vcc
	v_cndmask_b32_e64 v35, v38, v35, s[20:21]
	v_cndmask_b32_e64 v34, v39, v34, s[20:21]
	flat_load_dwordx4 v[34:37], v[34:35]
	v_add_u32_e32 v38, 0x4000, v217
	s_waitcnt vmcnt(0) lgkmcnt(0)
	ds_write_b128 v222, v[34:37]
	s_waitcnt lgkmcnt(0)
	s_barrier
	ds_read2_b64 v[34:37], v217 offset1:4
	s_waitcnt lgkmcnt(0)
	v_mfma_f32_16x16x16f16 a[0:3], v[34:35], v[30:31], 0
	v_mfma_f32_16x16x16f16 a[0:3], v[36:37], v[32:33], a[0:3]
	ds_read2_b64 v[34:37], v217 offset0:8 offset1:12
	s_waitcnt lgkmcnt(0)
	v_mfma_f32_16x16x16f16 a[0:3], v[34:35], v[26:27], a[0:3]
	v_mfma_f32_16x16x16f16 a[0:3], v[36:37], v[28:29], a[0:3]
	ds_read2_b64 v[34:37], v217 offset0:16 offset1:20
	;; [unrolled: 4-line block ×8, first 2 shown]
	s_waitcnt lgkmcnt(0)
	v_mfma_f32_16x16x16f16 a[4:7], v[34:35], v[30:31], 0
	s_nop 7
	v_accvgpr_read_b32 v42, a0
	v_cmp_nlt_f32_e64 s[52:53], |v42|, s9
	v_mfma_f32_16x16x16f16 a[4:7], v[36:37], v[32:33], a[4:7]
	ds_read2_b64 v[34:37], v38 offset0:72 offset1:76
	s_waitcnt lgkmcnt(0)
	v_mfma_f32_16x16x16f16 a[4:7], v[34:35], v[26:27], a[4:7]
	v_mfma_f32_16x16x16f16 a[4:7], v[36:37], v[28:29], a[4:7]
	ds_read2_b64 v[34:37], v38 offset0:80 offset1:84
	s_waitcnt lgkmcnt(0)
	v_mfma_f32_16x16x16f16 a[4:7], v[34:35], v[22:23], a[4:7]
	v_mfma_f32_16x16x16f16 a[4:7], v[36:37], v[24:25], a[4:7]
	ds_read2_b64 v[34:37], v38 offset0:88 offset1:92
	s_waitcnt lgkmcnt(0)
	v_mfma_f32_16x16x16f16 a[4:7], v[34:35], v[18:19], a[4:7]
	v_mfma_f32_16x16x16f16 a[4:7], v[36:37], v[20:21], a[4:7]
	ds_read2_b64 v[34:37], v38 offset0:96 offset1:100
	s_waitcnt lgkmcnt(0)
	v_mfma_f32_16x16x16f16 a[4:7], v[34:35], v[14:15], a[4:7]
	v_mfma_f32_16x16x16f16 a[4:7], v[36:37], v[16:17], a[4:7]
	ds_read2_b64 v[34:37], v38 offset0:104 offset1:108
	s_waitcnt lgkmcnt(0)
	v_mfma_f32_16x16x16f16 a[4:7], v[34:35], v[10:11], a[4:7]
	v_mfma_f32_16x16x16f16 a[4:7], v[36:37], v[12:13], a[4:7]
	ds_read2_b64 v[34:37], v38 offset0:112 offset1:116
	s_waitcnt lgkmcnt(0)
	v_mfma_f32_16x16x16f16 a[4:7], v[34:35], v[6:7], a[4:7]
	v_mfma_f32_16x16x16f16 a[4:7], v[36:37], v[8:9], a[4:7]
	ds_read2_b64 v[34:37], v38 offset0:120 offset1:124
	s_waitcnt lgkmcnt(0)
	s_barrier
	v_mfma_f32_16x16x16f16 a[4:7], v[34:35], v[2:3], a[4:7]
	v_mfma_f32_16x16x16f16 a[4:7], v[36:37], v[4:5], a[4:7]
	s_and_saveexec_b64 s[58:59], s[52:53]
	s_xor_b64 s[52:53], exec, s[58:59]
	s_cbranch_execz .LBB30_65
; %bb.64:                               ;   in Loop: Header=BB30_63 Depth=2
	v_add_f32_e64 v34, |v42|, |v42|
	v_mul_f32_e32 v35, 0x3fb8aa3b, v34
	v_rndne_f32_e32 v36, v35
	v_sub_f32_e32 v37, v35, v36
	v_fma_f32 v35, v34, s88, -v35
	v_fmac_f32_e32 v35, 0x32a5705f, v34
	v_add_f32_e32 v35, v37, v35
	v_cvt_i32_f32_e32 v36, v36
	v_exp_f32_e32 v35, v35
	v_cmp_ngt_f32_e32 vcc, s89, v34
	v_ldexp_f32 v35, v35, v36
	v_cndmask_b32_e32 v35, 0, v35, vcc
	v_cmp_nlt_f32_e32 vcc, s85, v34
	v_cndmask_b32_e32 v34, v144, v35, vcc
	v_add_f32_e32 v34, 1.0, v34
	v_rcp_f32_e32 v34, v34
	v_fma_f32 v43, v34, -2.0, 1.0
.LBB30_65:                              ;   in Loop: Header=BB30_63 Depth=2
	s_andn2_saveexec_b64 s[52:53], s[52:53]
; %bb.66:                               ;   in Loop: Header=BB30_63 Depth=2
	v_mul_f32_e32 v34, v42, v42
	v_mov_b32_e32 v35, 0x3ca908c9
	v_fmac_f32_e32 v35, 0xbbbac73d, v34
	v_fma_f32 v35, v34, v35, v218
	v_fma_f32 v35, v34, v35, v119
	;; [unrolled: 1-line block ×3, first 2 shown]
	v_mul_f32_e64 v35, |v42|, v35
	v_fma_f32 v43, v34, v35, |v42|
; %bb.67:                               ;   in Loop: Header=BB30_63 Depth=2
	s_or_b64 exec, exec, s[52:53]
	v_accvgpr_read_b32 v37, a3
	v_accvgpr_read_b32 v35, a1
	;; [unrolled: 1-line block ×4, first 2 shown]
	v_cmp_nlt_f32_e64 s[52:53], |v35|, s9
                                        ; implicit-def: $vgpr34
	s_and_saveexec_b64 s[58:59], s[52:53]
	s_xor_b64 s[52:53], exec, s[58:59]
	s_cbranch_execz .LBB30_69
; %bb.68:                               ;   in Loop: Header=BB30_63 Depth=2
	v_add_f32_e64 v34, |v35|, |v35|
	v_mul_f32_e32 v38, 0x3fb8aa3b, v34
	v_rndne_f32_e32 v39, v38
	v_sub_f32_e32 v40, v38, v39
	v_fma_f32 v38, v34, s88, -v38
	v_fmac_f32_e32 v38, 0x32a5705f, v34
	v_add_f32_e32 v38, v40, v38
	v_cvt_i32_f32_e32 v39, v39
	v_exp_f32_e32 v38, v38
	v_cmp_ngt_f32_e32 vcc, s89, v34
	v_ldexp_f32 v38, v38, v39
	v_cndmask_b32_e32 v38, 0, v38, vcc
	v_cmp_nlt_f32_e32 vcc, s85, v34
	v_cndmask_b32_e32 v34, v144, v38, vcc
	v_add_f32_e32 v34, 1.0, v34
	v_rcp_f32_e32 v34, v34
	v_fma_f32 v34, v34, -2.0, 1.0
.LBB30_69:                              ;   in Loop: Header=BB30_63 Depth=2
	s_andn2_saveexec_b64 s[52:53], s[52:53]
; %bb.70:                               ;   in Loop: Header=BB30_63 Depth=2
	v_mul_f32_e32 v34, v35, v35
	v_mov_b32_e32 v38, 0x3ca908c9
	v_fmac_f32_e32 v38, 0xbbbac73d, v34
	v_fma_f32 v38, v34, v38, v218
	v_fma_f32 v38, v34, v38, v119
	;; [unrolled: 1-line block ×3, first 2 shown]
	v_mul_f32_e64 v38, |v35|, v38
	v_fma_f32 v34, v34, v38, |v35|
; %bb.71:                               ;   in Loop: Header=BB30_63 Depth=2
	s_or_b64 exec, exec, s[52:53]
	v_cmp_nlt_f32_e64 s[52:53], |v36|, s9
                                        ; implicit-def: $vgpr44
	s_and_saveexec_b64 s[58:59], s[52:53]
	s_xor_b64 s[52:53], exec, s[58:59]
	s_cbranch_execz .LBB30_73
; %bb.72:                               ;   in Loop: Header=BB30_63 Depth=2
	v_add_f32_e64 v38, |v36|, |v36|
	v_mul_f32_e32 v39, 0x3fb8aa3b, v38
	v_rndne_f32_e32 v40, v39
	v_sub_f32_e32 v41, v39, v40
	v_fma_f32 v39, v38, s88, -v39
	v_fmac_f32_e32 v39, 0x32a5705f, v38
	v_add_f32_e32 v39, v41, v39
	v_cvt_i32_f32_e32 v40, v40
	v_exp_f32_e32 v39, v39
	v_cmp_ngt_f32_e32 vcc, s89, v38
	v_ldexp_f32 v39, v39, v40
	v_cndmask_b32_e32 v39, 0, v39, vcc
	v_cmp_nlt_f32_e32 vcc, s85, v38
	v_cndmask_b32_e32 v38, v144, v39, vcc
	v_add_f32_e32 v38, 1.0, v38
	v_rcp_f32_e32 v38, v38
	v_fma_f32 v44, v38, -2.0, 1.0
.LBB30_73:                              ;   in Loop: Header=BB30_63 Depth=2
	s_andn2_saveexec_b64 s[52:53], s[52:53]
; %bb.74:                               ;   in Loop: Header=BB30_63 Depth=2
	v_mul_f32_e32 v38, v36, v36
	v_mov_b32_e32 v39, 0x3ca908c9
	v_fmac_f32_e32 v39, 0xbbbac73d, v38
	v_fma_f32 v39, v38, v39, v218
	v_fma_f32 v39, v38, v39, v119
	;; [unrolled: 1-line block ×3, first 2 shown]
	v_mul_f32_e64 v39, |v36|, v39
	v_fma_f32 v44, v38, v39, |v36|
; %bb.75:                               ;   in Loop: Header=BB30_63 Depth=2
	s_or_b64 exec, exec, s[52:53]
	v_cmp_nlt_f32_e64 s[52:53], |v37|, s9
                                        ; implicit-def: $vgpr45
	s_and_saveexec_b64 s[58:59], s[52:53]
	s_xor_b64 s[52:53], exec, s[58:59]
	s_cbranch_execz .LBB30_77
; %bb.76:                               ;   in Loop: Header=BB30_63 Depth=2
	v_add_f32_e64 v38, |v37|, |v37|
	v_mul_f32_e32 v39, 0x3fb8aa3b, v38
	v_rndne_f32_e32 v40, v39
	v_sub_f32_e32 v41, v39, v40
	v_fma_f32 v39, v38, s88, -v39
	v_fmac_f32_e32 v39, 0x32a5705f, v38
	v_add_f32_e32 v39, v41, v39
	v_cvt_i32_f32_e32 v40, v40
	v_exp_f32_e32 v39, v39
	v_cmp_ngt_f32_e32 vcc, s89, v38
	v_ldexp_f32 v39, v39, v40
	v_cndmask_b32_e32 v39, 0, v39, vcc
	v_cmp_nlt_f32_e32 vcc, s85, v38
	v_cndmask_b32_e32 v38, v144, v39, vcc
	v_add_f32_e32 v38, 1.0, v38
	v_rcp_f32_e32 v38, v38
	v_fma_f32 v45, v38, -2.0, 1.0
.LBB30_77:                              ;   in Loop: Header=BB30_63 Depth=2
	s_andn2_saveexec_b64 s[52:53], s[52:53]
; %bb.78:                               ;   in Loop: Header=BB30_63 Depth=2
	v_mul_f32_e32 v38, v37, v37
	v_mov_b32_e32 v39, 0x3ca908c9
	v_fmac_f32_e32 v39, 0xbbbac73d, v38
	v_fma_f32 v39, v38, v39, v218
	v_fma_f32 v39, v38, v39, v119
	;; [unrolled: 1-line block ×3, first 2 shown]
	v_mul_f32_e64 v39, |v37|, v39
	v_fma_f32 v45, v38, v39, |v37|
; %bb.79:                               ;   in Loop: Header=BB30_63 Depth=2
	s_or_b64 exec, exec, s[52:53]
	v_accvgpr_read_b32 v41, a7
	v_accvgpr_read_b32 v38, a4
	;; [unrolled: 1-line block ×4, first 2 shown]
	v_cmp_nlt_f32_e64 s[52:53], |v38|, s9
                                        ; implicit-def: $vgpr46
	s_and_saveexec_b64 s[58:59], s[52:53]
	s_xor_b64 s[52:53], exec, s[58:59]
	s_cbranch_execz .LBB30_81
; %bb.80:                               ;   in Loop: Header=BB30_63 Depth=2
	v_add_f32_e64 v46, |v38|, |v38|
	v_mul_f32_e32 v47, 0x3fb8aa3b, v46
	v_rndne_f32_e32 v48, v47
	v_sub_f32_e32 v49, v47, v48
	v_fma_f32 v47, v46, s88, -v47
	v_fmac_f32_e32 v47, 0x32a5705f, v46
	v_add_f32_e32 v47, v49, v47
	v_cvt_i32_f32_e32 v48, v48
	v_exp_f32_e32 v47, v47
	v_cmp_ngt_f32_e32 vcc, s89, v46
	v_ldexp_f32 v47, v47, v48
	v_cndmask_b32_e32 v47, 0, v47, vcc
	v_cmp_nlt_f32_e32 vcc, s85, v46
	v_cndmask_b32_e32 v46, v144, v47, vcc
	v_add_f32_e32 v46, 1.0, v46
	v_rcp_f32_e32 v46, v46
	v_fma_f32 v46, v46, -2.0, 1.0
.LBB30_81:                              ;   in Loop: Header=BB30_63 Depth=2
	s_andn2_saveexec_b64 s[52:53], s[52:53]
; %bb.82:                               ;   in Loop: Header=BB30_63 Depth=2
	v_mul_f32_e32 v46, v38, v38
	v_mov_b32_e32 v47, 0x3ca908c9
	v_fmac_f32_e32 v47, 0xbbbac73d, v46
	v_fma_f32 v47, v46, v47, v218
	v_fma_f32 v47, v46, v47, v119
	;; [unrolled: 1-line block ×3, first 2 shown]
	v_mul_f32_e64 v47, |v38|, v47
	v_fma_f32 v46, v46, v47, |v38|
; %bb.83:                               ;   in Loop: Header=BB30_63 Depth=2
	s_or_b64 exec, exec, s[52:53]
	v_cmp_nlt_f32_e64 s[52:53], |v39|, s9
                                        ; implicit-def: $vgpr47
	s_and_saveexec_b64 s[58:59], s[52:53]
	s_xor_b64 s[52:53], exec, s[58:59]
	s_cbranch_execz .LBB30_85
; %bb.84:                               ;   in Loop: Header=BB30_63 Depth=2
	v_add_f32_e64 v47, |v39|, |v39|
	v_mul_f32_e32 v48, 0x3fb8aa3b, v47
	v_rndne_f32_e32 v49, v48
	v_sub_f32_e32 v93, v48, v49
	v_fma_f32 v48, v47, s88, -v48
	v_fmac_f32_e32 v48, 0x32a5705f, v47
	v_add_f32_e32 v48, v93, v48
	v_cvt_i32_f32_e32 v49, v49
	v_exp_f32_e32 v48, v48
	v_cmp_ngt_f32_e32 vcc, s89, v47
	v_ldexp_f32 v48, v48, v49
	v_cndmask_b32_e32 v48, 0, v48, vcc
	v_cmp_nlt_f32_e32 vcc, s85, v47
	v_cndmask_b32_e32 v47, v144, v48, vcc
	v_add_f32_e32 v47, 1.0, v47
	v_rcp_f32_e32 v47, v47
	v_fma_f32 v47, v47, -2.0, 1.0
.LBB30_85:                              ;   in Loop: Header=BB30_63 Depth=2
	s_andn2_saveexec_b64 s[52:53], s[52:53]
; %bb.86:                               ;   in Loop: Header=BB30_63 Depth=2
	v_mul_f32_e32 v47, v39, v39
	v_mov_b32_e32 v48, 0x3ca908c9
	v_fmac_f32_e32 v48, 0xbbbac73d, v47
	v_fma_f32 v48, v47, v48, v218
	v_fma_f32 v48, v47, v48, v119
	;; [unrolled: 1-line block ×3, first 2 shown]
	v_mul_f32_e64 v48, |v39|, v48
	v_fma_f32 v47, v47, v48, |v39|
; %bb.87:                               ;   in Loop: Header=BB30_63 Depth=2
	s_or_b64 exec, exec, s[52:53]
	v_cmp_nlt_f32_e64 s[52:53], |v40|, s9
                                        ; implicit-def: $vgpr48
	s_and_saveexec_b64 s[58:59], s[52:53]
	s_xor_b64 s[52:53], exec, s[58:59]
	s_cbranch_execz .LBB30_89
; %bb.88:                               ;   in Loop: Header=BB30_63 Depth=2
	v_add_f32_e64 v48, |v40|, |v40|
	v_mul_f32_e32 v49, 0x3fb8aa3b, v48
	v_rndne_f32_e32 v93, v49
	v_sub_f32_e32 v155, v49, v93
	v_fma_f32 v49, v48, s88, -v49
	v_fmac_f32_e32 v49, 0x32a5705f, v48
	v_add_f32_e32 v49, v155, v49
	v_cvt_i32_f32_e32 v93, v93
	v_exp_f32_e32 v49, v49
	v_cmp_ngt_f32_e32 vcc, s89, v48
	v_ldexp_f32 v49, v49, v93
	v_cndmask_b32_e32 v49, 0, v49, vcc
	v_cmp_nlt_f32_e32 vcc, s85, v48
	v_cndmask_b32_e32 v48, v144, v49, vcc
	v_add_f32_e32 v48, 1.0, v48
	v_rcp_f32_e32 v48, v48
	v_fma_f32 v48, v48, -2.0, 1.0
.LBB30_89:                              ;   in Loop: Header=BB30_63 Depth=2
	s_andn2_saveexec_b64 s[52:53], s[52:53]
; %bb.90:                               ;   in Loop: Header=BB30_63 Depth=2
	v_mul_f32_e32 v48, v40, v40
	v_mov_b32_e32 v49, 0x3ca908c9
	v_fmac_f32_e32 v49, 0xbbbac73d, v48
	v_fma_f32 v49, v48, v49, v218
	v_fma_f32 v49, v48, v49, v119
	;; [unrolled: 1-line block ×3, first 2 shown]
	v_mul_f32_e64 v49, |v40|, v49
	v_fma_f32 v48, v48, v49, |v40|
; %bb.91:                               ;   in Loop: Header=BB30_63 Depth=2
	s_or_b64 exec, exec, s[52:53]
	v_cmp_nlt_f32_e64 s[52:53], |v41|, s9
                                        ; implicit-def: $vgpr93
	s_and_saveexec_b64 s[58:59], s[52:53]
	s_xor_b64 s[52:53], exec, s[58:59]
	s_cbranch_execz .LBB30_93
; %bb.92:                               ;   in Loop: Header=BB30_63 Depth=2
	v_add_f32_e64 v49, |v41|, |v41|
	v_mul_f32_e32 v93, 0x3fb8aa3b, v49
	v_rndne_f32_e32 v155, v93
	v_sub_f32_e32 v156, v93, v155
	v_fma_f32 v93, v49, s88, -v93
	v_fmac_f32_e32 v93, 0x32a5705f, v49
	v_add_f32_e32 v93, v156, v93
	v_cvt_i32_f32_e32 v155, v155
	v_exp_f32_e32 v93, v93
	v_cmp_ngt_f32_e32 vcc, s89, v49
	v_ldexp_f32 v93, v93, v155
	v_cndmask_b32_e32 v93, 0, v93, vcc
	v_cmp_nlt_f32_e32 vcc, s85, v49
	v_cndmask_b32_e32 v49, v144, v93, vcc
	v_add_f32_e32 v49, 1.0, v49
	v_rcp_f32_e32 v49, v49
	v_fma_f32 v93, v49, -2.0, 1.0
.LBB30_93:                              ;   in Loop: Header=BB30_63 Depth=2
	s_andn2_saveexec_b64 s[52:53], s[52:53]
; %bb.94:                               ;   in Loop: Header=BB30_63 Depth=2
	v_mul_f32_e32 v49, v41, v41
	v_mov_b32_e32 v93, 0x3ca908c9
	v_fmac_f32_e32 v93, 0xbbbac73d, v49
	v_fma_f32 v93, v49, v93, v218
	v_fma_f32 v93, v49, v93, v119
	;; [unrolled: 1-line block ×3, first 2 shown]
	v_mul_f32_e64 v93, |v41|, v93
	v_fma_f32 v93, v49, v93, |v41|
; %bb.95:                               ;   in Loop: Header=BB30_63 Depth=2
	s_or_b64 exec, exec, s[52:53]
	v_bfi_b32 v34, s8, v34, v35
	v_bfi_b32 v39, s8, v47, v39
	v_mul_f32_e32 v47, s97, v34
	v_bfi_b32 v34, s8, v44, v36
	v_bfi_b32 v40, s8, v48, v40
	v_mul_f32_e32 v48, s97, v34
	v_bfi_b32 v34, s8, v45, v37
	v_bfi_b32 v38, s8, v46, v38
	;; [unrolled: 1-line block ×3, first 2 shown]
	v_mul_f32_e32 v49, s97, v34
	v_bfi_b32 v34, s8, v93, v41
	v_mul_f32_e32 v38, s97, v38
	v_mul_f32_e32 v39, s97, v39
	;; [unrolled: 1-line block ×5, first 2 shown]
	s_and_b64 vcc, exec, s[48:49]
	s_cbranch_vccz .LBB30_100
; %bb.96:                               ;   in Loop: Header=BB30_63 Depth=2
	v_accvgpr_read_b32 v34, a72
	v_add_u32_e32 v34, 0x8400, v34
	v_accvgpr_read_b32 v36, a74
	ds_read2_b32 v[34:35], v34 offset1:1
	ds_read_b32 v42, v36 offset:33792
	v_accvgpr_read_b32 v36, a76
	ds_read_b32 v43, v36 offset:33792
	v_mov_b32_e32 v93, v92
	s_waitcnt lgkmcnt(2)
	v_cvt_f32_f16_e32 v36, v34
	v_cvt_f32_f16_sdwa v37, v34 dst_sel:DWORD dst_unused:UNUSED_PAD src0_sel:WORD_1
	v_cvt_f32_f16_e32 v34, v35
	v_cvt_f32_f16_sdwa v35, v35 dst_sel:DWORD dst_unused:UNUSED_PAD src0_sel:WORD_1
	s_waitcnt lgkmcnt(1)
	v_cvt_f32_f16_sdwa v157, v42 dst_sel:DWORD dst_unused:UNUSED_PAD src0_sel:WORD_1
	s_waitcnt lgkmcnt(0)
	v_cvt_f32_f16_sdwa v159, v43 dst_sel:DWORD dst_unused:UNUSED_PAD src0_sel:WORD_1
	v_cvt_f32_f16_e32 v158, v43
	v_cvt_f32_f16_e32 v156, v42
	v_pk_fma_f32 v[44:45], v[92:93], v[34:35], v[48:49]
	v_pk_fma_f32 v[42:43], v[94:95], v[36:37], v[46:47]
	;; [unrolled: 1-line block ×4, first 2 shown]
	s_cbranch_execnz .LBB30_98
.LBB30_97:                              ;   in Loop: Header=BB30_63 Depth=2
	v_pk_mov_b32 v[34:35], v[38:39], v[38:39] op_sel:[0,1]
	v_pk_mov_b32 v[42:43], v[46:47], v[46:47] op_sel:[0,1]
	;; [unrolled: 1-line block ×4, first 2 shown]
.LBB30_98:                              ;   in Loop: Header=BB30_63 Depth=2
	v_add_f32_e32 v38, 0x40051340, v42
	v_max_f32_e32 v39, v154, v154
	v_max_f32_e32 v38, v39, v38
	v_cndmask_b32_e64 v38, v154, v38, s[22:23]
	v_add_f32_e32 v39, 0x40051340, v43
	v_max_f32_e32 v40, v38, v38
	v_max_f32_e32 v39, v40, v39
	v_cndmask_b32_e64 v38, v38, v39, s[24:25]
	;; [unrolled: 4-line block ×8, first 2 shown]
	ds_bpermute_b32 v39, v52, v38
	v_max_f32_e32 v38, v38, v38
	v_cndmask_b32_e64 v35, v35, v35, s[30:31]
	v_cndmask_b32_e64 v36, v36, v36, s[30:31]
	;; [unrolled: 1-line block ×3, first 2 shown]
	s_waitcnt lgkmcnt(0)
	v_max_f32_e32 v39, v39, v39
	v_max_f32_e32 v38, v38, v39
	ds_bpermute_b32 v39, v122, v38
	s_mul_hi_i32 s53, s50, s82
	s_mul_i32 s52, s50, s82
	s_lshl_b64 s[52:53], s[52:53], 2
	s_add_u32 s51, s33, s52
	s_waitcnt lgkmcnt(0)
	v_max_f32_e32 v39, v39, v39
	v_max_f32_e32 v46, v38, v39
	v_sub_f32_e32 v38, v42, v46
	v_mul_f32_e32 v39, 0x3fb8aa3b, v38
	v_fma_f32 v40, v38, s88, -v39
	v_rndne_f32_e32 v41, v39
	v_fmac_f32_e32 v40, 0x32a5705f, v38
	v_sub_f32_e32 v39, v39, v41
	v_add_f32_e32 v39, v39, v40
	v_exp_f32_e32 v39, v39
	v_cvt_i32_f32_e32 v40, v41
	v_cmp_ngt_f32_e32 vcc, s89, v38
	v_sub_f32_e32 v34, v34, v46
	v_sub_f32_e32 v35, v35, v46
	v_ldexp_f32 v39, v39, v40
	v_cndmask_b32_e32 v39, 0, v39, vcc
	v_cmp_nlt_f32_e32 vcc, s85, v38
	v_cndmask_b32_e32 v38, v144, v39, vcc
	v_sub_f32_e32 v39, v43, v46
	v_mul_f32_e32 v40, 0x3fb8aa3b, v39
	v_fma_f32 v41, v39, s88, -v40
	v_rndne_f32_e32 v42, v40
	v_fmac_f32_e32 v41, 0x32a5705f, v39
	v_sub_f32_e32 v40, v40, v42
	v_add_f32_e32 v40, v40, v41
	v_exp_f32_e32 v40, v40
	v_cvt_i32_f32_e32 v41, v42
	v_cmp_ngt_f32_e32 vcc, s89, v39
	v_cndmask_b32_e64 v38, 0, v38, s[22:23]
	v_cndmask_b32_e64 v43, v44, v44, s[24:25]
	v_ldexp_f32 v40, v40, v41
	v_cndmask_b32_e32 v40, 0, v40, vcc
	v_cmp_nlt_f32_e32 vcc, s85, v39
	v_cndmask_b32_e32 v40, v144, v40, vcc
	v_mov_b32_e32 v39, s45
	v_add_f32_e32 v41, v40, v38
	v_cndmask_b32_e64 v155, v39, v40, s[24:25]
	v_sub_f32_e32 v40, v43, v46
	v_cndmask_b32_e64 v39, v38, v41, s[24:25]
	v_mul_f32_e32 v41, 0x3fb8aa3b, v40
	v_fma_f32 v43, v40, s88, -v41
	v_rndne_f32_e32 v44, v41
	v_fmac_f32_e32 v43, 0x32a5705f, v40
	v_sub_f32_e32 v41, v41, v44
	v_add_f32_e32 v41, v41, v43
	v_exp_f32_e32 v41, v41
	v_cvt_i32_f32_e32 v43, v44
	v_cmp_ngt_f32_e32 vcc, s89, v40
	v_cndmask_b32_e64 v42, v45, v45, s[24:25]
	s_addc_u32 s52, s84, s53
	v_ldexp_f32 v41, v41, v43
	v_cndmask_b32_e32 v41, 0, v41, vcc
	v_cmp_nlt_f32_e32 vcc, s85, v40
	v_cndmask_b32_e32 v41, v144, v41, vcc
	v_add_f32_e32 v43, v39, v41
	v_mov_b32_e32 v40, s45
	v_cndmask_b32_e64 v40, v40, v41, s[26:27]
	v_cndmask_b32_e64 v41, v39, v43, s[26:27]
	v_sub_f32_e32 v39, v42, v46
	v_mul_f32_e32 v42, 0x3fb8aa3b, v39
	v_fma_f32 v43, v39, s88, -v42
	v_rndne_f32_e32 v44, v42
	v_fmac_f32_e32 v43, 0x32a5705f, v39
	v_sub_f32_e32 v42, v42, v44
	v_add_f32_e32 v42, v42, v43
	v_exp_f32_e32 v42, v42
	v_cvt_i32_f32_e32 v43, v44
	v_cmp_ngt_f32_e32 vcc, s89, v39
	buffer_store_dword v125, off, s[0:3], 0
	buffer_store_dword v125, off, s[0:3], 0 offset:4
	buffer_store_dword v125, off, s[0:3], 0 offset:8
	;; [unrolled: 1-line block ×3, first 2 shown]
	s_add_i32 s56, s56, 1
	v_ldexp_f32 v42, v42, v43
	v_cndmask_b32_e32 v42, 0, v42, vcc
	v_cmp_nlt_f32_e32 vcc, s85, v39
	v_cndmask_b32_e32 v42, v144, v42, vcc
	v_mov_b32_e32 v39, s45
	v_add_f32_e32 v43, v41, v42
	v_cndmask_b32_e64 v39, v39, v42, s[28:29]
	v_mul_f32_e32 v42, 0x3fb8aa3b, v34
	v_cndmask_b32_e64 v41, v41, v43, s[28:29]
	v_fma_f32 v43, v34, s88, -v42
	v_rndne_f32_e32 v44, v42
	v_fmac_f32_e32 v43, 0x32a5705f, v34
	v_sub_f32_e32 v42, v42, v44
	v_add_f32_e32 v42, v42, v43
	v_exp_f32_e32 v42, v42
	v_cvt_i32_f32_e32 v43, v44
	v_cmp_ngt_f32_e32 vcc, s89, v34
	s_add_i32 s50, s50, 64
	s_cmp_lt_i32 s56, s54
	v_ldexp_f32 v42, v42, v43
	v_cndmask_b32_e32 v42, 0, v42, vcc
	v_cmp_nlt_f32_e32 vcc, s85, v34
	v_cndmask_b32_e32 v42, v144, v42, vcc
	v_add_f32_e32 v43, v42, v41
	v_mov_b32_e32 v34, s45
	v_cndmask_b32_e64 v42, v34, v42, s[30:31]
	v_cndmask_b32_e64 v34, v41, v43, s[30:31]
	v_mul_f32_e32 v41, 0x3fb8aa3b, v35
	v_fma_f32 v43, v35, s88, -v41
	v_rndne_f32_e32 v44, v41
	v_fmac_f32_e32 v43, 0x32a5705f, v35
	v_sub_f32_e32 v41, v41, v44
	v_add_f32_e32 v41, v41, v43
	v_exp_f32_e32 v41, v41
	v_cvt_i32_f32_e32 v43, v44
	v_cmp_ngt_f32_e32 vcc, s89, v35
	v_ldexp_f32 v41, v41, v43
	v_cndmask_b32_e32 v41, 0, v41, vcc
	v_cmp_nlt_f32_e32 vcc, s85, v35
	v_cndmask_b32_e32 v41, v144, v41, vcc
	v_add_f32_e32 v43, v41, v34
	v_mov_b32_e32 v35, s45
	v_cndmask_b32_e64 v41, v35, v41, s[34:35]
	v_cndmask_b32_e64 v35, v34, v43, s[34:35]
	v_sub_f32_e32 v34, v36, v46
	v_mul_f32_e32 v36, 0x3fb8aa3b, v34
	v_fma_f32 v43, v34, s88, -v36
	v_rndne_f32_e32 v44, v36
	v_fmac_f32_e32 v43, 0x32a5705f, v34
	v_sub_f32_e32 v36, v36, v44
	v_add_f32_e32 v36, v36, v43
	v_exp_f32_e32 v36, v36
	v_cvt_i32_f32_e32 v43, v44
	v_cmp_ngt_f32_e32 vcc, s89, v34
	v_ldexp_f32 v36, v36, v43
	v_cndmask_b32_e32 v36, 0, v36, vcc
	v_cmp_nlt_f32_e32 vcc, s85, v34
	v_cndmask_b32_e32 v36, v144, v36, vcc
	v_add_f32_e32 v43, v36, v35
	v_mov_b32_e32 v34, s45
	v_cndmask_b32_e64 v156, v34, v36, s[36:37]
	v_cndmask_b32_e64 v34, v35, v43, s[36:37]
	v_sub_f32_e32 v35, v37, v46
	v_mul_f32_e32 v36, 0x3fb8aa3b, v35
	v_fma_f32 v37, v35, s88, -v36
	v_rndne_f32_e32 v43, v36
	v_fmac_f32_e32 v37, 0x32a5705f, v35
	v_sub_f32_e32 v36, v36, v43
	v_add_f32_e32 v36, v36, v37
	v_exp_f32_e32 v36, v36
	v_cvt_i32_f32_e32 v37, v43
	v_cmp_ngt_f32_e32 vcc, s89, v35
	v_ldexp_f32 v36, v36, v37
	v_cndmask_b32_e32 v36, 0, v36, vcc
	v_cmp_nlt_f32_e32 vcc, s85, v35
	v_cndmask_b32_e32 v36, v144, v36, vcc
	v_add_f32_e32 v37, v36, v34
	v_mov_b32_e32 v35, s45
	v_cndmask_b32_e64 v44, v34, v37, s[38:39]
	v_sub_f32_e32 v34, v154, v46
	v_cndmask_b32_e64 v35, v35, v36, s[38:39]
	v_mul_f32_e32 v36, 0x3fb8aa3b, v34
	v_fma_f32 v37, v34, s88, -v36
	v_rndne_f32_e32 v43, v36
	v_fmac_f32_e32 v37, 0x32a5705f, v34
	v_sub_f32_e32 v36, v36, v43
	v_add_f32_e32 v36, v36, v37
	v_exp_f32_e32 v36, v36
	v_cvt_i32_f32_e32 v37, v43
	v_cmp_ngt_f32_e32 vcc, s89, v34
	v_cvt_f16_f32_e32 v35, v35
	v_mov_b32_e32 v43, s52
	v_ldexp_f32 v36, v36, v37
	v_cndmask_b32_e32 v36, 0, v36, vcc
	v_cmp_nlt_f32_e32 vcc, s85, v34
	v_cndmask_b32_e32 v36, v144, v36, vcc
	v_cmp_le_f32_e32 vcc, s81, v34
	v_cndmask_b32_e32 v34, 0, v36, vcc
	v_fmac_f32_e32 v44, v150, v34
	v_cvt_f16_f32_e32 v34, v34
	v_cvt_f16_f32_e32 v36, v155
	;; [unrolled: 1-line block ×3, first 2 shown]
	v_mov_b32_e32 v39, s52
	v_pk_mul_f16 v115, v34, v115 op_sel_hi:[0,1]
	v_pk_mul_f16 v114, v34, v114 op_sel_hi:[0,1]
	;; [unrolled: 1-line block ×32, first 2 shown]
	v_cvt_f16_f32_e32 v34, v38
	v_cvt_f16_f32_e32 v38, v41
	v_mov_b32_e32 v142, s95
	v_mov_b32_e32 v145, s94
	v_pack_b32_f16 v36, v34, v36
	v_cvt_f16_f32_e32 v34, v40
	v_mov_b32_e32 v41, s52
	v_mov_b32_e32 v150, s52
	v_pack_b32_f16 v37, v34, v37
	v_cvt_f16_f32_e32 v34, v42
	v_pack_b32_f16 v34, v34, v38
	v_cvt_f16_f32_e32 v38, v156
	v_pack_b32_f16 v35, v38, v35
	v_add_co_u32_e32 v38, vcc, s51, v58
	v_addc_co_u32_e32 v39, vcc, v39, v59, vcc
	v_add_co_u32_e32 v38, vcc, v38, v149
	v_addc_co_u32_e32 v39, vcc, 0, v39, vcc
	v_cndmask_b32_e64 v147, v142, v39, s[6:7]
	v_cndmask_b32_e64 v146, v145, v38, s[6:7]
	v_add_co_u32_e32 v38, vcc, s51, v60
	v_mov_b32_e32 v39, s52
	v_addc_co_u32_e32 v39, vcc, v39, v61, vcc
	v_add_co_u32_e32 v38, vcc, v38, v149
	v_addc_co_u32_e32 v39, vcc, 0, v39, vcc
	v_cndmask_b32_e64 v155, v142, v39, s[90:91]
	v_cndmask_b32_e64 v154, v145, v38, s[90:91]
	v_add_co_u32_e32 v38, vcc, s51, v62
	v_mov_b32_e32 v39, s52
	;; [unrolled: 7-line block ×3, first 2 shown]
	v_addc_co_u32_e32 v39, vcc, v39, v65, vcc
	v_add_co_u32_e32 v38, vcc, v38, v149
	v_addc_co_u32_e32 v39, vcc, 0, v39, vcc
	v_add_co_u32_e32 v40, vcc, s51, v66
	;; [unrolled: 2-line block ×7, first 2 shown]
	v_addc_co_u32_e32 v150, vcc, 0, v150, vcc
	v_cndmask_b32_e64 v159, v142, v150, s[18:19]
	v_cndmask_b32_e64 v158, v145, v148, s[18:19]
	v_add_co_u32_e32 v148, vcc, s51, v72
	v_mov_b32_e32 v150, s52
	v_addc_co_u32_e32 v150, vcc, v150, v73, vcc
	v_add_co_u32_e32 v148, vcc, v148, v149
	v_addc_co_u32_e32 v149, vcc, 0, v150, vcc
	v_cndmask_b32_e64 v161, v142, v149, s[20:21]
	v_cndmask_b32_e64 v160, v145, v148, s[20:21]
	flat_load_dwordx4 v[146:149], v[146:147]
	v_cndmask_b32_e64 v39, v142, v39, s[12:13]
	v_cndmask_b32_e64 v38, v145, v38, s[12:13]
	;; [unrolled: 1-line block ×6, first 2 shown]
	s_waitcnt vmcnt(0) lgkmcnt(0)
	ds_write_b128 v152, v[146:149]
	flat_load_dwordx4 v[146:149], v[154:155]
	v_cvt_f32_f16_e32 v154, v47
	v_cvt_f32_f16_sdwa v155, v47 dst_sel:DWORD dst_unused:UNUSED_PAD src0_sel:WORD_1
	s_waitcnt vmcnt(0) lgkmcnt(0)
	ds_write_b128 v209, v[146:149]
	flat_load_dwordx4 v[146:149], v[156:157]
	v_cvt_f32_f16_e32 v156, v45
	v_cvt_f32_f16_sdwa v157, v45 dst_sel:DWORD dst_unused:UNUSED_PAD src0_sel:WORD_1
	s_waitcnt vmcnt(0) lgkmcnt(0)
	ds_write_b128 v205, v[146:149]
	flat_load_dwordx4 v[146:149], v[38:39]
	s_waitcnt vmcnt(0) lgkmcnt(0)
	ds_write_b128 v202, v[146:149]
	flat_load_dwordx4 v[38:41], v[40:41]
	;; [unrolled: 3-line block ×3, first 2 shown]
	v_cvt_f32_f16_e32 v42, v114
	v_cvt_f32_f16_sdwa v43, v114 dst_sel:DWORD dst_unused:UNUSED_PAD src0_sel:WORD_1
	s_waitcnt vmcnt(0) lgkmcnt(0)
	ds_write_b128 v208, v[38:41]
	flat_load_dwordx4 v[38:41], v[158:159]
	s_waitcnt vmcnt(0) lgkmcnt(0)
	ds_write_b128 v220, v[38:41]
	flat_load_dwordx4 v[38:41], v[160:161]
	s_waitcnt vmcnt(0) lgkmcnt(0)
	ds_write_b128 v222, v[38:41]
	v_add_u32_e32 v38, v153, v224
	s_waitcnt lgkmcnt(0)
	s_barrier
	ds_read_u16 v39, v38 offset:528
	ds_read_u16 v142, v242 offset:1056
	v_add_u32_e32 v38, v153, v225
	ds_read_u16 v114, v38
	ds_read_u16 v145, v38 offset:32
	v_cvt_f32_f16_e32 v40, v115
	v_cvt_f32_f16_sdwa v41, v115 dst_sel:DWORD dst_unused:UNUSED_PAD src0_sel:WORD_1
	s_waitcnt lgkmcnt(1)
	v_perm_b32 v115, v114, v142, s46
	ds_read_u16 v114, v169
	ds_read_u16 v142, v169 offset:32
	v_accvgpr_write_b32 a0, v40
	v_accvgpr_write_b32 a1, v41
	;; [unrolled: 1-line block ×3, first 2 shown]
	s_waitcnt lgkmcnt(1)
	v_perm_b32 v114, v39, v114, s46
	v_accvgpr_write_b32 a3, v43
	s_nop 1
	v_mfma_f32_16x16x16f16 a[0:3], v[114:115], v[36:37], a[0:3]
	ds_read_u16 v114, v169 offset:16896
	s_nop 7
	s_nop 1
	v_accvgpr_read_b32 v40, a1
	v_cvt_f16_f32_e32 v41, v40
	v_accvgpr_read_b32 v40, a2
	v_cvt_f16_f32_e32 v42, v40
	v_accvgpr_read_b32 v40, a3
	v_accvgpr_read_b32 v39, a0
	v_cvt_f16_f32_e32 v43, v40
	v_add_u32_e32 v40, v226, v224
	v_cvt_f16_f32_e32 v39, v39
	ds_read_u16 v146, v40 offset:528
	ds_read_u16 v115, v243 offset:1056
	;; [unrolled: 1-line block ×3, first 2 shown]
	v_cvt_f32_f16_e32 v41, v41
	v_cvt_f32_f16_e32 v42, v42
	;; [unrolled: 1-line block ×4, first 2 shown]
	s_waitcnt lgkmcnt(0)
	v_perm_b32 v115, v147, v115, s46
	v_perm_b32 v114, v146, v114, s46
	v_accvgpr_write_b32 a0, v40
	v_accvgpr_write_b32 a1, v41
	;; [unrolled: 1-line block ×4, first 2 shown]
	v_cvt_f32_f16_sdwa v43, v118 dst_sel:DWORD dst_unused:UNUSED_PAD src0_sel:WORD_1
	s_nop 0
	v_mfma_f32_16x16x16f16 a[0:3], v[114:115], v[34:35], a[0:3]
	s_nop 7
	s_nop 2
	v_accvgpr_read_b32 v39, a0
	v_accvgpr_read_b32 v40, a1
	v_cvt_f16_f32_e32 v39, v39
	v_cvt_f16_f32_e32 v40, v40
	v_accvgpr_read_b32 v41, a2
	v_accvgpr_read_b32 v42, a3
	v_cvt_f16_f32_e32 v41, v41
	v_pack_b32_f16 v115, v39, v40
	v_add_u32_e32 v39, v227, v224
	ds_read_u16 v39, v39 offset:528
	ds_read_u16 v146, v244 offset:1056
	v_cvt_f16_f32_e32 v42, v42
	v_cvt_f32_f16_e32 v40, v120
	v_pack_b32_f16 v114, v41, v42
	v_cvt_f32_f16_sdwa v41, v120 dst_sel:DWORD dst_unused:UNUSED_PAD src0_sel:WORD_1
	v_cvt_f32_f16_e32 v42, v118
	s_waitcnt lgkmcnt(0)
	v_perm_b32 v147, v145, v146, s46
	v_perm_b32 v146, v39, v142, s46
	v_accvgpr_write_b32 a0, v40
	v_accvgpr_write_b32 a1, v41
	;; [unrolled: 1-line block ×4, first 2 shown]
	ds_read_u16 v118, v201 offset:16896
	s_nop 0
	v_mfma_f32_16x16x16f16 a[0:3], v[146:147], v[36:37], a[0:3]
	s_nop 7
	s_nop 2
	v_accvgpr_read_b32 v40, a1
	v_cvt_f16_f32_e32 v41, v40
	v_accvgpr_read_b32 v40, a2
	v_cvt_f16_f32_e32 v42, v40
	;; [unrolled: 2-line block ×3, first 2 shown]
	v_add_u32_e32 v40, v184, v224
	v_accvgpr_read_b32 v39, a0
	ds_read_u16 v120, v40 offset:528
	ds_read_u16 v142, v203 offset:1056
	v_add_u32_e32 v40, v227, v225
	v_cvt_f16_f32_e32 v39, v39
	ds_read_u16 v145, v40 offset:16896
	v_cvt_f32_f16_e32 v41, v41
	v_cvt_f32_f16_e32 v42, v42
	;; [unrolled: 1-line block ×4, first 2 shown]
	s_waitcnt lgkmcnt(0)
	v_perm_b32 v147, v145, v142, s46
	v_perm_b32 v146, v120, v118, s46
	v_accvgpr_write_b32 a0, v40
	v_accvgpr_write_b32 a1, v41
	;; [unrolled: 1-line block ×4, first 2 shown]
	v_cvt_f32_f16_sdwa v43, v124 dst_sel:DWORD dst_unused:UNUSED_PAD src0_sel:WORD_1
	s_nop 0
	v_mfma_f32_16x16x16f16 a[0:3], v[146:147], v[34:35], a[0:3]
	s_nop 7
	s_nop 2
	v_accvgpr_read_b32 v39, a0
	v_accvgpr_read_b32 v40, a1
	v_cvt_f16_f32_e32 v39, v39
	v_cvt_f16_f32_e32 v40, v40
	v_accvgpr_read_b32 v41, a2
	v_accvgpr_read_b32 v42, a3
	v_cvt_f16_f32_e32 v41, v41
	v_pack_b32_f16 v120, v39, v40
	v_add_u32_e32 v40, v228, v224
	ds_read_u16 v39, v169 offset:64
	ds_read_u16 v142, v40 offset:528
	;; [unrolled: 1-line block ×4, first 2 shown]
	v_cvt_f16_f32_e32 v42, v42
	v_cvt_f32_f16_e32 v40, v126
	v_pack_b32_f16 v118, v41, v42
	v_cvt_f32_f16_sdwa v41, v126 dst_sel:DWORD dst_unused:UNUSED_PAD src0_sel:WORD_1
	v_cvt_f32_f16_e32 v42, v124
	s_waitcnt lgkmcnt(0)
	v_perm_b32 v147, v146, v145, s46
	v_perm_b32 v146, v142, v39, s46
	v_accvgpr_write_b32 a0, v40
	v_accvgpr_write_b32 a1, v41
	;; [unrolled: 1-line block ×4, first 2 shown]
	ds_read_u16 v124, v207 offset:16896
	s_nop 0
	v_mfma_f32_16x16x16f16 a[0:3], v[146:147], v[36:37], a[0:3]
	s_nop 7
	s_nop 2
	v_accvgpr_read_b32 v40, a1
	v_cvt_f16_f32_e32 v41, v40
	v_accvgpr_read_b32 v40, a2
	v_cvt_f16_f32_e32 v42, v40
	;; [unrolled: 2-line block ×3, first 2 shown]
	v_add_u32_e32 v40, v185, v224
	v_accvgpr_read_b32 v39, a0
	ds_read_u16 v126, v40 offset:528
	ds_read_u16 v142, v216 offset:1056
	v_add_u32_e32 v40, v228, v225
	v_cvt_f16_f32_e32 v39, v39
	ds_read_u16 v145, v40 offset:16896
	v_cvt_f32_f16_e32 v41, v41
	v_cvt_f32_f16_e32 v42, v42
	;; [unrolled: 1-line block ×4, first 2 shown]
	s_waitcnt lgkmcnt(0)
	v_perm_b32 v147, v145, v142, s46
	v_perm_b32 v146, v126, v124, s46
	v_accvgpr_write_b32 a0, v40
	v_accvgpr_write_b32 a1, v41
	;; [unrolled: 1-line block ×4, first 2 shown]
	v_cvt_f32_f16_sdwa v43, v128 dst_sel:DWORD dst_unused:UNUSED_PAD src0_sel:WORD_1
	s_nop 0
	v_mfma_f32_16x16x16f16 a[0:3], v[146:147], v[34:35], a[0:3]
	s_nop 7
	s_nop 2
	v_accvgpr_read_b32 v39, a0
	v_accvgpr_read_b32 v40, a1
	v_cvt_f16_f32_e32 v39, v39
	v_cvt_f16_f32_e32 v40, v40
	v_accvgpr_read_b32 v41, a2
	v_accvgpr_read_b32 v42, a3
	v_cvt_f16_f32_e32 v41, v41
	v_pack_b32_f16 v126, v39, v40
	v_add_u32_e32 v40, v229, v224
	ds_read_u16 v39, v169 offset:96
	ds_read_u16 v142, v40 offset:528
	;; [unrolled: 1-line block ×4, first 2 shown]
	v_cvt_f16_f32_e32 v42, v42
	v_cvt_f32_f16_e32 v40, v129
	v_pack_b32_f16 v124, v41, v42
	v_cvt_f32_f16_sdwa v41, v129 dst_sel:DWORD dst_unused:UNUSED_PAD src0_sel:WORD_1
	v_cvt_f32_f16_e32 v42, v128
	s_waitcnt lgkmcnt(0)
	v_perm_b32 v129, v146, v145, s46
	v_perm_b32 v128, v142, v39, s46
	v_accvgpr_write_b32 a0, v40
	v_accvgpr_write_b32 a1, v41
	;; [unrolled: 1-line block ×4, first 2 shown]
	s_nop 1
	v_mfma_f32_16x16x16f16 a[0:3], v[128:129], v[36:37], a[0:3]
	ds_read_u16 v128, v219 offset:16896
	s_nop 7
	s_nop 1
	v_accvgpr_read_b32 v40, a1
	v_cvt_f16_f32_e32 v41, v40
	v_accvgpr_read_b32 v40, a2
	v_cvt_f16_f32_e32 v42, v40
	;; [unrolled: 2-line block ×3, first 2 shown]
	v_add_u32_e32 v40, v186, v224
	v_accvgpr_read_b32 v39, a0
	ds_read_u16 v142, v40 offset:528
	ds_read_u16 v129, v221 offset:1056
	v_add_u32_e32 v40, v229, v225
	v_cvt_f16_f32_e32 v39, v39
	ds_read_u16 v145, v40 offset:16896
	v_cvt_f32_f16_e32 v41, v41
	v_cvt_f32_f16_e32 v42, v42
	;; [unrolled: 1-line block ×4, first 2 shown]
	s_waitcnt lgkmcnt(0)
	v_perm_b32 v129, v145, v129, s46
	v_perm_b32 v128, v142, v128, s46
	v_accvgpr_write_b32 a0, v40
	v_accvgpr_write_b32 a1, v41
	;; [unrolled: 1-line block ×4, first 2 shown]
	v_cvt_f32_f16_sdwa v43, v123 dst_sel:DWORD dst_unused:UNUSED_PAD src0_sel:WORD_1
	s_nop 0
	v_mfma_f32_16x16x16f16 a[0:3], v[128:129], v[34:35], a[0:3]
	s_nop 7
	s_nop 2
	v_accvgpr_read_b32 v39, a0
	v_accvgpr_read_b32 v40, a1
	v_cvt_f16_f32_e32 v39, v39
	v_cvt_f16_f32_e32 v40, v40
	v_accvgpr_read_b32 v41, a2
	v_accvgpr_read_b32 v42, a3
	v_cvt_f16_f32_e32 v41, v41
	v_pack_b32_f16 v129, v39, v40
	v_add_u32_e32 v40, v230, v224
	ds_read_u16 v39, v169 offset:128
	ds_read_u16 v142, v40 offset:528
	;; [unrolled: 1-line block ×4, first 2 shown]
	v_cvt_f16_f32_e32 v42, v42
	v_cvt_f32_f16_e32 v40, v130
	v_pack_b32_f16 v128, v41, v42
	v_cvt_f32_f16_sdwa v41, v130 dst_sel:DWORD dst_unused:UNUSED_PAD src0_sel:WORD_1
	v_cvt_f32_f16_e32 v42, v123
	s_waitcnt lgkmcnt(0)
	v_perm_b32 v147, v146, v145, s46
	v_perm_b32 v146, v142, v39, s46
	v_accvgpr_write_b32 a0, v40
	v_accvgpr_write_b32 a1, v41
	;; [unrolled: 1-line block ×4, first 2 shown]
	ds_read_u16 v123, v223 offset:16896
	s_nop 0
	v_mfma_f32_16x16x16f16 a[0:3], v[146:147], v[36:37], a[0:3]
	s_nop 7
	s_nop 2
	v_accvgpr_read_b32 v40, a1
	v_cvt_f16_f32_e32 v41, v40
	v_accvgpr_read_b32 v40, a2
	v_cvt_f16_f32_e32 v42, v40
	;; [unrolled: 2-line block ×3, first 2 shown]
	v_add_u32_e32 v40, v187, v224
	ds_read_u16 v130, v40 offset:528
	v_accvgpr_read_b32 v40, a42
	v_accvgpr_read_b32 v39, a0
	ds_read_u16 v142, v40 offset:1056
	v_add_u32_e32 v40, v230, v225
	v_cvt_f16_f32_e32 v39, v39
	ds_read_u16 v145, v40 offset:16896
	v_cvt_f32_f16_e32 v41, v41
	v_cvt_f32_f16_e32 v42, v42
	;; [unrolled: 1-line block ×4, first 2 shown]
	s_waitcnt lgkmcnt(0)
	v_perm_b32 v147, v145, v142, s46
	v_perm_b32 v146, v130, v123, s46
	v_accvgpr_write_b32 a0, v40
	v_accvgpr_write_b32 a1, v41
	;; [unrolled: 1-line block ×4, first 2 shown]
	v_cvt_f32_f16_sdwa v43, v131 dst_sel:DWORD dst_unused:UNUSED_PAD src0_sel:WORD_1
	s_nop 0
	v_mfma_f32_16x16x16f16 a[0:3], v[146:147], v[34:35], a[0:3]
	s_nop 7
	s_nop 2
	v_accvgpr_read_b32 v39, a0
	v_accvgpr_read_b32 v40, a1
	v_cvt_f16_f32_e32 v39, v39
	v_cvt_f16_f32_e32 v40, v40
	v_accvgpr_read_b32 v41, a2
	v_accvgpr_read_b32 v42, a3
	v_cvt_f16_f32_e32 v41, v41
	v_pack_b32_f16 v130, v39, v40
	v_add_u32_e32 v40, v231, v224
	ds_read_u16 v39, v169 offset:160
	ds_read_u16 v142, v40 offset:528
	;; [unrolled: 1-line block ×4, first 2 shown]
	v_cvt_f16_f32_e32 v42, v42
	v_cvt_f32_f16_e32 v40, v132
	v_pack_b32_f16 v123, v41, v42
	v_cvt_f32_f16_sdwa v41, v132 dst_sel:DWORD dst_unused:UNUSED_PAD src0_sel:WORD_1
	v_cvt_f32_f16_e32 v42, v131
	s_waitcnt lgkmcnt(0)
	v_perm_b32 v147, v146, v145, s46
	v_perm_b32 v146, v142, v39, s46
	v_accvgpr_write_b32 a0, v40
	v_accvgpr_write_b32 a1, v41
	;; [unrolled: 1-line block ×4, first 2 shown]
	s_nop 1
	v_mfma_f32_16x16x16f16 a[0:3], v[146:147], v[36:37], a[0:3]
	s_nop 7
	s_nop 2
	v_accvgpr_read_b32 v40, a1
	v_cvt_f16_f32_e32 v41, v40
	v_accvgpr_read_b32 v40, a2
	v_cvt_f16_f32_e32 v42, v40
	;; [unrolled: 2-line block ×3, first 2 shown]
	v_accvgpr_read_b32 v40, a43
	ds_read_u16 v131, v40 offset:16896
	v_add_u32_e32 v40, v204, v224
	ds_read_u16 v132, v40 offset:528
	v_accvgpr_read_b32 v40, a44
	v_accvgpr_read_b32 v39, a0
	ds_read_u16 v142, v40 offset:1056
	v_add_u32_e32 v40, v231, v225
	v_cvt_f16_f32_e32 v39, v39
	ds_read_u16 v145, v40 offset:16896
	v_cvt_f32_f16_e32 v41, v41
	v_cvt_f32_f16_e32 v42, v42
	;; [unrolled: 1-line block ×4, first 2 shown]
	s_waitcnt lgkmcnt(0)
	v_perm_b32 v147, v145, v142, s46
	v_perm_b32 v146, v132, v131, s46
	v_accvgpr_write_b32 a0, v40
	v_accvgpr_write_b32 a1, v41
	;; [unrolled: 1-line block ×4, first 2 shown]
	v_cvt_f32_f16_sdwa v43, v0 dst_sel:DWORD dst_unused:UNUSED_PAD src0_sel:WORD_1
	s_nop 0
	v_mfma_f32_16x16x16f16 a[0:3], v[146:147], v[34:35], a[0:3]
	s_nop 7
	s_nop 2
	v_accvgpr_read_b32 v39, a0
	v_accvgpr_read_b32 v40, a1
	v_cvt_f16_f32_e32 v39, v39
	v_cvt_f16_f32_e32 v40, v40
	v_accvgpr_read_b32 v41, a2
	v_accvgpr_read_b32 v42, a3
	v_cvt_f16_f32_e32 v41, v41
	v_pack_b32_f16 v132, v39, v40
	v_add_u32_e32 v40, v232, v224
	ds_read_u16 v39, v169 offset:192
	ds_read_u16 v142, v40 offset:528
	;; [unrolled: 1-line block ×4, first 2 shown]
	v_cvt_f16_f32_e32 v42, v42
	v_cvt_f32_f16_e32 v40, v133
	v_pack_b32_f16 v131, v41, v42
	v_cvt_f32_f16_sdwa v41, v133 dst_sel:DWORD dst_unused:UNUSED_PAD src0_sel:WORD_1
	v_cvt_f32_f16_e32 v42, v0
	s_waitcnt lgkmcnt(0)
	v_perm_b32 v147, v146, v145, s46
	v_perm_b32 v146, v142, v39, s46
	v_accvgpr_write_b32 a0, v40
	v_accvgpr_write_b32 a1, v41
	;; [unrolled: 1-line block ×4, first 2 shown]
	s_nop 1
	v_mfma_f32_16x16x16f16 a[0:3], v[146:147], v[36:37], a[0:3]
	s_nop 7
	s_nop 2
	v_accvgpr_read_b32 v40, a2
	v_cvt_f16_f32_e32 v42, v40
	v_accvgpr_read_b32 v40, a3
	v_cvt_f16_f32_e32 v43, v40
	v_accvgpr_read_b32 v40, a45
	ds_read_u16 v133, v40 offset:16896
	v_add_u32_e32 v40, v215, v224
	ds_read_u16 v142, v40 offset:528
	v_accvgpr_read_b32 v40, a46
	v_accvgpr_read_b32 v0, a0
	ds_read_u16 v145, v40 offset:1056
	v_add_u32_e32 v40, v232, v225
	v_cvt_f16_f32_e32 v0, v0
	v_accvgpr_read_b32 v39, a1
	ds_read_u16 v146, v40 offset:16896
	v_cvt_f16_f32_e32 v39, v39
	v_cvt_f32_f16_e32 v40, v0
	v_cvt_f32_f16_e32 v42, v42
	;; [unrolled: 1-line block ×4, first 2 shown]
	s_waitcnt lgkmcnt(0)
	v_perm_b32 v147, v146, v145, s46
	v_perm_b32 v146, v142, v133, s46
	v_accvgpr_write_b32 a0, v40
	v_accvgpr_write_b32 a1, v41
	;; [unrolled: 1-line block ×4, first 2 shown]
	v_cvt_f32_f16_e32 v42, v54
	v_cvt_f32_f16_sdwa v43, v54 dst_sel:DWORD dst_unused:UNUSED_PAD src0_sel:WORD_1
	v_mfma_f32_16x16x16f16 a[0:3], v[146:147], v[34:35], a[0:3]
	s_nop 7
	s_nop 2
	v_accvgpr_read_b32 v0, a0
	v_accvgpr_read_b32 v39, a1
	;; [unrolled: 1-line block ×4, first 2 shown]
	v_cvt_f16_f32_e32 v0, v0
	v_cvt_f16_f32_e32 v39, v39
	;; [unrolled: 1-line block ×4, first 2 shown]
	v_pack_b32_f16 v133, v0, v39
	ds_read_u16 v39, v169 offset:224
	v_pack_b32_f16 v0, v40, v41
	v_add_u32_e32 v40, v233, v224
	ds_read_u16 v142, v40 offset:528
	ds_read_u16 v145, v250 offset:1056
	;; [unrolled: 1-line block ×3, first 2 shown]
	v_cvt_f32_f16_e32 v40, v55
	v_cvt_f32_f16_sdwa v41, v55 dst_sel:DWORD dst_unused:UNUSED_PAD src0_sel:WORD_1
	s_waitcnt lgkmcnt(2)
	v_perm_b32 v54, v142, v39, s46
	v_add_u32_e32 v142, v233, v225
	s_waitcnt lgkmcnt(0)
	v_perm_b32 v55, v146, v145, s46
	v_accvgpr_write_b32 a0, v40
	v_accvgpr_write_b32 a1, v41
	;; [unrolled: 1-line block ×4, first 2 shown]
	ds_read_u16 v142, v142 offset:16896
	s_nop 0
	v_mfma_f32_16x16x16f16 a[0:3], v[54:55], v[36:37], a[0:3]
	v_add_u32_e32 v54, v163, v224
	v_accvgpr_read_b32 v55, a48
	ds_read_u16 v54, v54 offset:528
	ds_read_u16 v55, v55 offset:1056
	s_nop 6
	v_accvgpr_read_b32 v42, a3
	v_accvgpr_read_b32 v39, a0
	v_cvt_f16_f32_e32 v43, v42
	v_accvgpr_read_b32 v42, a47
	v_cvt_f16_f32_e32 v39, v39
	v_accvgpr_read_b32 v40, a1
	v_accvgpr_read_b32 v41, a2
	ds_read_u16 v42, v42 offset:16896
	v_cvt_f16_f32_e32 v40, v40
	v_cvt_f16_f32_e32 v41, v41
	v_cvt_f32_f16_e32 v146, v39
	v_cvt_f32_f16_e32 v149, v43
	;; [unrolled: 1-line block ×4, first 2 shown]
	s_waitcnt lgkmcnt(1)
	v_perm_b32 v41, v142, v55, s46
	s_waitcnt lgkmcnt(0)
	v_perm_b32 v40, v54, v42, s46
	v_accvgpr_write_b32 a0, v146
	v_accvgpr_write_b32 a1, v147
	;; [unrolled: 1-line block ×4, first 2 shown]
	v_cvt_f32_f16_sdwa v43, v121 dst_sel:DWORD dst_unused:UNUSED_PAD src0_sel:WORD_1
	s_nop 0
	v_mfma_f32_16x16x16f16 a[0:3], v[40:41], v[34:35], a[0:3]
	s_nop 7
	s_nop 2
	v_accvgpr_read_b32 v39, a0
	v_accvgpr_read_b32 v40, a1
	v_cvt_f16_f32_e32 v39, v39
	v_cvt_f16_f32_e32 v40, v40
	v_accvgpr_read_b32 v41, a2
	v_accvgpr_read_b32 v42, a3
	v_cvt_f16_f32_e32 v41, v41
	v_pack_b32_f16 v55, v39, v40
	v_add_u32_e32 v40, v234, v224
	ds_read_u16 v39, v169 offset:256
	ds_read_u16 v142, v40 offset:528
	;; [unrolled: 1-line block ×4, first 2 shown]
	v_cvt_f16_f32_e32 v42, v42
	v_cvt_f32_f16_e32 v40, v127
	v_pack_b32_f16 v54, v41, v42
	v_cvt_f32_f16_sdwa v41, v127 dst_sel:DWORD dst_unused:UNUSED_PAD src0_sel:WORD_1
	v_cvt_f32_f16_e32 v42, v121
	s_waitcnt lgkmcnt(0)
	v_perm_b32 v147, v146, v145, s46
	v_perm_b32 v146, v142, v39, s46
	v_accvgpr_write_b32 a0, v40
	v_accvgpr_write_b32 a1, v41
	;; [unrolled: 1-line block ×4, first 2 shown]
	s_nop 1
	v_mfma_f32_16x16x16f16 a[0:3], v[146:147], v[36:37], a[0:3]
	s_nop 7
	s_nop 2
	v_accvgpr_read_b32 v40, a1
	v_cvt_f16_f32_e32 v41, v40
	v_accvgpr_read_b32 v40, a2
	v_cvt_f16_f32_e32 v42, v40
	v_accvgpr_read_b32 v40, a3
	v_cvt_f16_f32_e32 v43, v40
	v_accvgpr_read_b32 v40, a49
	ds_read_u16 v121, v40 offset:16896
	v_add_u32_e32 v40, v164, v224
	ds_read_u16 v127, v40 offset:528
	v_accvgpr_read_b32 v40, a50
	v_accvgpr_read_b32 v39, a0
	ds_read_u16 v142, v40 offset:1056
	v_add_u32_e32 v40, v234, v225
	v_cvt_f16_f32_e32 v39, v39
	ds_read_u16 v145, v40 offset:16896
	v_cvt_f32_f16_e32 v41, v41
	v_cvt_f32_f16_e32 v42, v42
	;; [unrolled: 1-line block ×4, first 2 shown]
	s_waitcnt lgkmcnt(0)
	v_perm_b32 v147, v145, v142, s46
	v_perm_b32 v146, v127, v121, s46
	v_accvgpr_write_b32 a0, v40
	v_accvgpr_write_b32 a1, v41
	v_accvgpr_write_b32 a2, v42
	v_accvgpr_write_b32 a3, v43
	v_cvt_f32_f16_sdwa v43, v134 dst_sel:DWORD dst_unused:UNUSED_PAD src0_sel:WORD_1
	s_nop 0
	v_mfma_f32_16x16x16f16 a[0:3], v[146:147], v[34:35], a[0:3]
	s_nop 7
	s_nop 2
	v_accvgpr_read_b32 v39, a0
	v_accvgpr_read_b32 v40, a1
	v_cvt_f16_f32_e32 v39, v39
	v_cvt_f16_f32_e32 v40, v40
	v_accvgpr_read_b32 v41, a2
	v_accvgpr_read_b32 v42, a3
	v_cvt_f16_f32_e32 v41, v41
	v_pack_b32_f16 v127, v39, v40
	v_add_u32_e32 v40, v235, v224
	ds_read_u16 v39, v169 offset:288
	ds_read_u16 v142, v40 offset:528
	;; [unrolled: 1-line block ×4, first 2 shown]
	v_cvt_f16_f32_e32 v42, v42
	v_cvt_f32_f16_e32 v40, v135
	v_pack_b32_f16 v121, v41, v42
	v_cvt_f32_f16_sdwa v41, v135 dst_sel:DWORD dst_unused:UNUSED_PAD src0_sel:WORD_1
	v_cvt_f32_f16_e32 v42, v134
	s_waitcnt lgkmcnt(0)
	v_perm_b32 v135, v146, v145, s46
	v_perm_b32 v134, v142, v39, s46
	v_accvgpr_write_b32 a0, v40
	v_accvgpr_write_b32 a1, v41
	v_accvgpr_write_b32 a2, v42
	v_accvgpr_write_b32 a3, v43
	s_nop 1
	v_mfma_f32_16x16x16f16 a[0:3], v[134:135], v[36:37], a[0:3]
	ds_read_u16 v134, v175 offset:16896
	s_nop 7
	s_nop 1
	v_accvgpr_read_b32 v40, a1
	v_cvt_f16_f32_e32 v41, v40
	v_accvgpr_read_b32 v40, a2
	v_cvt_f16_f32_e32 v42, v40
	;; [unrolled: 2-line block ×3, first 2 shown]
	v_add_u32_e32 v40, v165, v224
	ds_read_u16 v142, v40 offset:528
	v_accvgpr_read_b32 v40, a51
	v_accvgpr_read_b32 v39, a0
	ds_read_u16 v135, v40 offset:1056
	v_add_u32_e32 v40, v235, v225
	v_cvt_f16_f32_e32 v39, v39
	ds_read_u16 v145, v40 offset:16896
	v_cvt_f32_f16_e32 v41, v41
	v_cvt_f32_f16_e32 v42, v42
	v_cvt_f32_f16_e32 v40, v39
	v_cvt_f32_f16_e32 v43, v43
	s_waitcnt lgkmcnt(0)
	v_perm_b32 v135, v145, v135, s46
	v_perm_b32 v134, v142, v134, s46
	v_accvgpr_write_b32 a0, v40
	v_accvgpr_write_b32 a1, v41
	v_accvgpr_write_b32 a2, v42
	v_accvgpr_write_b32 a3, v43
	v_cvt_f32_f16_sdwa v43, v136 dst_sel:DWORD dst_unused:UNUSED_PAD src0_sel:WORD_1
	s_nop 0
	v_mfma_f32_16x16x16f16 a[0:3], v[134:135], v[34:35], a[0:3]
	s_nop 7
	s_nop 2
	v_accvgpr_read_b32 v39, a0
	v_accvgpr_read_b32 v40, a1
	v_cvt_f16_f32_e32 v39, v39
	v_cvt_f16_f32_e32 v40, v40
	v_accvgpr_read_b32 v41, a2
	v_accvgpr_read_b32 v42, a3
	v_cvt_f16_f32_e32 v41, v41
	v_pack_b32_f16 v135, v39, v40
	v_add_u32_e32 v40, v236, v224
	ds_read_u16 v39, v169 offset:320
	ds_read_u16 v142, v40 offset:528
	ds_read_u16 v145, v253 offset:1056
	ds_read_u16 v146, v38 offset:320
	v_cvt_f16_f32_e32 v42, v42
	v_cvt_f32_f16_e32 v40, v137
	v_pack_b32_f16 v134, v41, v42
	v_cvt_f32_f16_sdwa v41, v137 dst_sel:DWORD dst_unused:UNUSED_PAD src0_sel:WORD_1
	v_cvt_f32_f16_e32 v42, v136
	s_waitcnt lgkmcnt(0)
	v_perm_b32 v137, v146, v145, s46
	v_perm_b32 v136, v142, v39, s46
	v_accvgpr_write_b32 a0, v40
	v_accvgpr_write_b32 a1, v41
	v_accvgpr_write_b32 a2, v42
	v_accvgpr_write_b32 a3, v43
	s_nop 1
	v_mfma_f32_16x16x16f16 a[0:3], v[136:137], v[36:37], a[0:3]
	ds_read_u16 v136, v188 offset:16896
	s_nop 7
	s_nop 1
	v_accvgpr_read_b32 v40, a1
	v_cvt_f16_f32_e32 v41, v40
	v_accvgpr_read_b32 v40, a2
	v_cvt_f16_f32_e32 v42, v40
	v_accvgpr_read_b32 v40, a3
	v_cvt_f16_f32_e32 v43, v40
	v_add_u32_e32 v40, v166, v224
	v_accvgpr_read_b32 v39, a0
	ds_read_u16 v142, v40 offset:528
	ds_read_u16 v137, v189 offset:1056
	v_add_u32_e32 v40, v236, v225
	v_cvt_f16_f32_e32 v39, v39
	ds_read_u16 v145, v40 offset:16896
	v_cvt_f32_f16_e32 v41, v41
	v_cvt_f32_f16_e32 v42, v42
	v_cvt_f32_f16_e32 v40, v39
	v_cvt_f32_f16_e32 v43, v43
	s_waitcnt lgkmcnt(0)
	v_perm_b32 v137, v145, v137, s46
	v_perm_b32 v136, v142, v136, s46
	v_accvgpr_write_b32 a0, v40
	v_accvgpr_write_b32 a1, v41
	v_accvgpr_write_b32 a2, v42
	v_accvgpr_write_b32 a3, v43
	v_cvt_f32_f16_sdwa v43, v138 dst_sel:DWORD dst_unused:UNUSED_PAD src0_sel:WORD_1
	s_nop 0
	v_mfma_f32_16x16x16f16 a[0:3], v[136:137], v[34:35], a[0:3]
	s_nop 7
	s_nop 2
	v_accvgpr_read_b32 v39, a0
	v_accvgpr_read_b32 v40, a1
	v_cvt_f16_f32_e32 v39, v39
	v_cvt_f16_f32_e32 v40, v40
	v_accvgpr_read_b32 v41, a2
	v_accvgpr_read_b32 v42, a3
	v_cvt_f16_f32_e32 v41, v41
	v_pack_b32_f16 v137, v39, v40
	v_add_u32_e32 v40, v237, v224
	ds_read_u16 v39, v169 offset:352
	ds_read_u16 v142, v40 offset:528
	ds_read_u16 v145, v214 offset:1056
	ds_read_u16 v146, v38 offset:352
	v_cvt_f16_f32_e32 v42, v42
	v_cvt_f32_f16_e32 v40, v139
	v_pack_b32_f16 v136, v41, v42
	v_cvt_f32_f16_sdwa v41, v139 dst_sel:DWORD dst_unused:UNUSED_PAD src0_sel:WORD_1
	v_cvt_f32_f16_e32 v42, v138
	s_waitcnt lgkmcnt(0)
	v_perm_b32 v139, v146, v145, s46
	v_perm_b32 v138, v142, v39, s46
	v_accvgpr_write_b32 a0, v40
	v_accvgpr_write_b32 a1, v41
	v_accvgpr_write_b32 a2, v42
	v_accvgpr_write_b32 a3, v43
	s_nop 1
	v_mfma_f32_16x16x16f16 a[0:3], v[138:139], v[36:37], a[0:3]
	ds_read_u16 v138, v190 offset:16896
	s_nop 7
	s_nop 1
	v_accvgpr_read_b32 v40, a1
	v_cvt_f16_f32_e32 v41, v40
	v_accvgpr_read_b32 v40, a2
	v_cvt_f16_f32_e32 v42, v40
	v_accvgpr_read_b32 v40, a3
	v_cvt_f16_f32_e32 v43, v40
	v_add_u32_e32 v40, v167, v224
	v_accvgpr_read_b32 v39, a0
	ds_read_u16 v142, v40 offset:528
	;; [unrolled: 59-line block ×3, first 2 shown]
	ds_read_u16 v141, v193 offset:1056
	v_add_u32_e32 v40, v238, v225
	v_cvt_f16_f32_e32 v39, v39
	ds_read_u16 v145, v40 offset:16896
	v_cvt_f32_f16_e32 v41, v41
	v_cvt_f32_f16_e32 v42, v42
	;; [unrolled: 1-line block ×4, first 2 shown]
	s_waitcnt lgkmcnt(0)
	v_perm_b32 v141, v145, v141, s46
	v_perm_b32 v140, v142, v140, s46
	v_accvgpr_write_b32 a0, v40
	v_accvgpr_write_b32 a1, v41
	;; [unrolled: 1-line block ×4, first 2 shown]
	v_cvt_f32_f16_sdwa v43, v93 dst_sel:DWORD dst_unused:UNUSED_PAD src0_sel:WORD_1
	s_nop 0
	v_mfma_f32_16x16x16f16 a[0:3], v[140:141], v[34:35], a[0:3]
	s_nop 7
	s_nop 2
	v_accvgpr_read_b32 v39, a0
	v_accvgpr_read_b32 v40, a1
	v_cvt_f16_f32_e32 v39, v39
	v_cvt_f16_f32_e32 v40, v40
	v_accvgpr_read_b32 v41, a2
	v_accvgpr_read_b32 v42, a3
	v_cvt_f16_f32_e32 v41, v41
	v_pack_b32_f16 v141, v39, v40
	v_add_u32_e32 v40, v239, v224
	ds_read_u16 v39, v169 offset:416
	ds_read_u16 v142, v40 offset:528
	ds_read_u16 v145, v212 offset:1056
	ds_read_u16 v146, v38 offset:416
	v_cvt_f16_f32_e32 v42, v42
	v_cvt_f32_f16_e32 v40, v143
	s_waitcnt lgkmcnt(2)
	v_perm_b32 v142, v142, v39, s46
	v_pack_b32_f16 v140, v41, v42
	v_cvt_f32_f16_sdwa v41, v143 dst_sel:DWORD dst_unused:UNUSED_PAD src0_sel:WORD_1
	v_cvt_f32_f16_e32 v42, v93
	s_waitcnt lgkmcnt(0)
	v_perm_b32 v143, v146, v145, s46
	v_accvgpr_write_b32 a0, v40
	v_accvgpr_write_b32 a1, v41
	;; [unrolled: 1-line block ×4, first 2 shown]
	ds_read_u16 v93, v194 offset:16896
	s_nop 0
	v_mfma_f32_16x16x16f16 a[0:3], v[142:143], v[36:37], a[0:3]
	s_nop 7
	s_nop 2
	v_accvgpr_read_b32 v40, a1
	v_cvt_f16_f32_e32 v41, v40
	v_accvgpr_read_b32 v40, a2
	v_cvt_f16_f32_e32 v42, v40
	v_accvgpr_read_b32 v40, a3
	v_cvt_f16_f32_e32 v43, v40
	v_add_u32_e32 v40, v170, v224
	v_accvgpr_read_b32 v39, a0
	ds_read_u16 v142, v40 offset:528
	ds_read_u16 v143, v195 offset:1056
	v_add_u32_e32 v40, v239, v225
	v_cvt_f16_f32_e32 v39, v39
	ds_read_u16 v145, v40 offset:16896
	v_cvt_f32_f16_e32 v41, v41
	v_cvt_f32_f16_e32 v42, v42
	;; [unrolled: 1-line block ×4, first 2 shown]
	s_waitcnt lgkmcnt(0)
	v_perm_b32 v143, v145, v143, s46
	v_perm_b32 v142, v142, v93, s46
	v_accvgpr_write_b32 a0, v40
	v_accvgpr_write_b32 a1, v41
	v_accvgpr_write_b32 a2, v42
	v_accvgpr_write_b32 a3, v43
	v_cvt_f32_f16_sdwa v43, v48 dst_sel:DWORD dst_unused:UNUSED_PAD src0_sel:WORD_1
	s_nop 0
	v_mfma_f32_16x16x16f16 a[0:3], v[142:143], v[34:35], a[0:3]
	s_nop 7
	s_nop 2
	v_accvgpr_read_b32 v39, a0
	v_accvgpr_read_b32 v40, a1
	v_cvt_f16_f32_e32 v39, v39
	v_cvt_f16_f32_e32 v40, v40
	v_accvgpr_read_b32 v41, a2
	v_accvgpr_read_b32 v42, a3
	v_cvt_f16_f32_e32 v41, v41
	v_pack_b32_f16 v143, v39, v40
	v_add_u32_e32 v40, v240, v224
	ds_read_u16 v39, v169 offset:448
	ds_read_u16 v93, v40 offset:528
	;; [unrolled: 1-line block ×4, first 2 shown]
	v_cvt_f16_f32_e32 v42, v42
	v_cvt_f32_f16_e32 v40, v49
	v_pack_b32_f16 v142, v41, v42
	v_cvt_f32_f16_sdwa v41, v49 dst_sel:DWORD dst_unused:UNUSED_PAD src0_sel:WORD_1
	v_cvt_f32_f16_e32 v42, v48
	s_waitcnt lgkmcnt(0)
	v_perm_b32 v49, v146, v145, s46
	v_perm_b32 v48, v93, v39, s46
	v_accvgpr_write_b32 a0, v40
	v_accvgpr_write_b32 a1, v41
	;; [unrolled: 1-line block ×4, first 2 shown]
	s_nop 1
	v_mfma_f32_16x16x16f16 a[0:3], v[48:49], v[36:37], a[0:3]
	ds_read_u16 v48, v196 offset:16896
	s_nop 7
	s_nop 1
	v_accvgpr_read_b32 v40, a1
	v_cvt_f16_f32_e32 v41, v40
	v_accvgpr_read_b32 v40, a2
	v_cvt_f16_f32_e32 v42, v40
	;; [unrolled: 2-line block ×3, first 2 shown]
	v_add_u32_e32 v40, v171, v224
	v_accvgpr_read_b32 v39, a0
	ds_read_u16 v93, v40 offset:528
	ds_read_u16 v49, v197 offset:1056
	v_add_u32_e32 v40, v240, v225
	v_cvt_f16_f32_e32 v39, v39
	ds_read_u16 v145, v40 offset:16896
	v_cvt_f32_f16_e32 v41, v41
	v_cvt_f32_f16_e32 v42, v42
	;; [unrolled: 1-line block ×4, first 2 shown]
	s_waitcnt lgkmcnt(0)
	v_perm_b32 v49, v145, v49, s46
	v_perm_b32 v48, v93, v48, s46
	v_accvgpr_write_b32 a0, v40
	v_accvgpr_write_b32 a1, v41
	;; [unrolled: 1-line block ×4, first 2 shown]
	v_add_u32_e32 v43, v241, v225
	s_nop 0
	v_mfma_f32_16x16x16f16 a[0:3], v[48:49], v[34:35], a[0:3]
	s_nop 7
	s_nop 2
	v_accvgpr_read_b32 v39, a0
	v_accvgpr_read_b32 v40, a1
	v_cvt_f16_f32_e32 v39, v39
	v_cvt_f16_f32_e32 v40, v40
	v_accvgpr_read_b32 v41, a2
	v_accvgpr_read_b32 v42, a3
	v_cvt_f16_f32_e32 v41, v41
	v_cvt_f16_f32_e32 v42, v42
	v_pack_b32_f16 v146, v39, v40
	v_add_u32_e32 v40, v241, v224
	ds_read_u16 v39, v169 offset:480
	v_pack_b32_f16 v145, v41, v42
	ds_read_u16 v40, v40 offset:528
	ds_read_u16 v41, v210 offset:1056
	;; [unrolled: 1-line block ×3, first 2 shown]
	v_accvgpr_write_b32 a0, v154
	v_accvgpr_write_b32 a1, v155
	s_waitcnt lgkmcnt(2)
	v_perm_b32 v40, v40, v39, s46
	v_accvgpr_write_b32 a2, v156
	s_waitcnt lgkmcnt(0)
	v_perm_b32 v41, v38, v41, s46
	v_accvgpr_write_b32 a3, v157
	s_nop 1
	v_mfma_f32_16x16x16f16 a[0:3], v[40:41], v[36:37], a[0:3]
	v_add_u32_e32 v41, v172, v224
	s_nop 7
	s_nop 1
	v_accvgpr_read_b32 v36, a0
	v_cvt_f16_f32_e32 v37, v36
	v_accvgpr_read_b32 v36, a1
	v_cvt_f16_f32_e32 v38, v36
	v_accvgpr_read_b32 v36, a2
	v_cvt_f16_f32_e32 v39, v36
	v_accvgpr_read_b32 v36, a3
	v_cvt_f16_f32_e32 v40, v36
	ds_read_u16 v36, v198 offset:16896
	ds_read_u16 v41, v41 offset:528
	;; [unrolled: 1-line block ×4, first 2 shown]
	v_cvt_f32_f16_e32 v154, v37
	v_cvt_f32_f16_e32 v155, v38
	v_cvt_f32_f16_e32 v156, v39
	v_cvt_f32_f16_e32 v157, v40
	s_waitcnt lgkmcnt(0)
	v_perm_b32 v37, v43, v42, s46
	v_perm_b32 v36, v41, v36, s46
	v_accvgpr_write_b32 a0, v154
	v_accvgpr_write_b32 a1, v155
	;; [unrolled: 1-line block ×4, first 2 shown]
	s_barrier
	s_nop 0
	v_mfma_f32_16x16x16f16 a[0:3], v[36:37], v[34:35], a[0:3]
	s_nop 7
	s_nop 2
	v_accvgpr_read_b32 v34, a0
	v_accvgpr_read_b32 v35, a1
	;; [unrolled: 1-line block ×4, first 2 shown]
	v_cvt_f16_f32_e32 v34, v34
	v_cvt_f16_f32_e32 v35, v35
	;; [unrolled: 1-line block ×4, first 2 shown]
	v_pack_b32_f16 v147, v34, v35
	v_pack_b32_f16 v148, v36, v37
	s_cbranch_scc0 .LBB30_103
; %bb.99:                               ;   in Loop: Header=BB30_63 Depth=2
	v_mov_b32_e32 v150, v44
	v_mov_b32_e32 v154, v46
	s_andn2_b64 vcc, exec, s[48:49]
	s_ashr_i32 s51, s50, 31
	s_cbranch_vccz .LBB30_58
	s_branch .LBB30_63
.LBB30_100:                             ;   in Loop: Header=BB30_63 Depth=2
                                        ; implicit-def: $vgpr42_vgpr43_vgpr44_vgpr45
                                        ; implicit-def: $vgpr34_vgpr35_vgpr36_vgpr37
	s_branch .LBB30_97
.LBB30_101:                             ;   in Loop: Header=BB30_16 Depth=1
	s_mov_b32 s75, s58
	s_cbranch_execz .LBB30_15
	s_branch .LBB30_240
.LBB30_102:                             ;   in Loop: Header=BB30_16 Depth=1
	v_mov_b32_e32 v44, 0
	v_mov_b32_e32 v46, 0xfeffffff
	v_mov_b32_e32 v115, 0
	v_mov_b32_e32 v118, 0
	v_mov_b32_e32 v120, 0
	v_mov_b32_e32 v124, 0
	v_mov_b32_e32 v126, 0
	v_mov_b32_e32 v128, 0
	v_mov_b32_e32 v129, 0
	v_mov_b32_e32 v123, 0
	v_mov_b32_e32 v130, 0
	v_mov_b32_e32 v131, 0
	v_mov_b32_e32 v132, 0
	v_mov_b32_e32 v0, 0
	v_mov_b32_e32 v133, 0
	v_mov_b32_e32 v54, 0
	v_mov_b32_e32 v55, 0
	v_mov_b32_e32 v121, 0
	v_mov_b32_e32 v127, 0
	v_mov_b32_e32 v134, 0
	v_mov_b32_e32 v135, 0
	v_mov_b32_e32 v136, 0
	v_mov_b32_e32 v137, 0
	v_mov_b32_e32 v138, 0
	v_mov_b32_e32 v139, 0
	v_mov_b32_e32 v140, 0
	v_mov_b32_e32 v141, 0
	v_mov_b32_e32 v142, 0
	v_mov_b32_e32 v143, 0
	v_mov_b32_e32 v145, 0
	v_mov_b32_e32 v146, 0
	v_mov_b32_e32 v148, 0
	v_mov_b32_e32 v147, 0
	s_branch .LBB30_104
.LBB30_103:                             ;   in Loop: Header=BB30_16 Depth=1
	v_accvgpr_read_b32 v98, a22
	v_accvgpr_read_b32 v99, a162
.LBB30_104:                             ;   in Loop: Header=BB30_16 Depth=1
	v_writelane_b32 v255, s92, 41
	v_readlane_b32 s48, v254, 18
	v_writelane_b32 v255, s64, 42
	v_readlane_b32 s48, v254, 4
	v_writelane_b32 v255, s65, 43
	s_lshl_b32 s92, s56, 6
	v_readlane_b32 s49, v254, 5
	s_sub_i32 s80, s48, s92
	v_readlane_b32 s48, v255, 27
	v_readlane_b32 s49, v255, 28
	s_cmp_lg_u64 s[48:49], 0
	s_cselect_b64 s[64:65], -1, 0
	s_ashr_i32 s93, s92, 31
	s_cmp_eq_u64 s[48:49], 0
	s_cbranch_scc1 .LBB30_114
; %bb.105:                              ;   in Loop: Header=BB30_16 Depth=1
	s_lshl_b64 s[48:49], s[92:93], 1
	v_readlane_b32 s50, v255, 27
	v_readlane_b32 s51, v255, 28
	s_add_u32 s52, s50, s48
	s_addc_u32 s53, s51, s49
	v_cmp_le_i32_e32 vcc, s80, v98
                                        ; implicit-def: $sgpr54
	s_and_saveexec_b64 s[48:49], vcc
	s_xor_b64 s[48:49], exec, s[48:49]
	s_cbranch_execz .LBB30_107
; %bb.106:                              ;   in Loop: Header=BB30_16 Depth=1
	v_accvgpr_read_b32 v1, a70
	ds_write_b16 v1, v125 offset:33792
	v_accvgpr_read_b32 v1, a163
	ds_write_b16 v1, v125 offset:33792
	s_mov_b32 s54, 0
                                        ; implicit-def: $vgpr1
                                        ; implicit-def: $vgpr51
                                        ; implicit-def: $vgpr57
                                        ; implicit-def: $vgpr91
.LBB30_107:                             ;   in Loop: Header=BB30_16 Depth=1
	s_or_saveexec_b64 s[50:51], s[48:49]
	v_lshlrev_b32_e32 v34, 1, v98
	v_mov_b32_e32 v35, s53
	v_add_co_u32_e64 v34, s[48:49], s52, v34
	v_addc_co_u32_e64 v35, s[48:49], 0, v35, s[48:49]
	v_mov_b32_e32 v36, s54
	v_mov_b32_e32 v37, s54
	s_xor_b64 exec, exec, s[50:51]
	s_cbranch_execz .LBB30_109
; %bb.108:                              ;   in Loop: Header=BB30_16 Depth=1
	v_readlane_b32 s52, v254, 10
	v_mul_hi_u32 v36, s52, v1
	v_readlane_b32 s53, v254, 11
	v_add_u32_e32 v36, v1, v36
	v_lshrrev_b32_e32 v36, s53, v36
	v_mul_lo_u32 v36, v36, s76
	v_sub_u32_e32 v1, v1, v36
	v_readlane_b32 s54, v255, 17
	v_mad_i64_i32 v[36:37], s[48:49], v1, s54, 0
	v_lshlrev_b64 v[36:37], 1, v[36:37]
	v_add_co_u32_e64 v36, s[48:49], v34, v36
	v_addc_co_u32_e64 v37, s[48:49], v35, v37, s[48:49]
	flat_load_ushort v1, v[36:37]
	v_mul_hi_u32 v36, s52, v51
	v_add_u32_e32 v36, v51, v36
	v_lshrrev_b32_e32 v36, s53, v36
	v_mul_lo_u32 v36, v36, s76
	v_sub_u32_e32 v36, v51, v36
	v_mad_i64_i32 v[36:37], s[48:49], v36, s54, 0
	v_lshlrev_b64 v[36:37], 1, v[36:37]
	v_add_co_u32_e64 v36, s[48:49], v34, v36
	v_addc_co_u32_e64 v37, s[48:49], v35, v37, s[48:49]
	flat_load_ushort v36, v[36:37]
	v_accvgpr_read_b32 v37, a70
	v_readlane_b32 s55, v255, 18
	s_waitcnt vmcnt(0) lgkmcnt(0)
	ds_write_b16 v37, v1 offset:33792
	v_accvgpr_read_b32 v1, a163
	ds_write_b16 v1, v36 offset:33792
	v_mul_hi_u32 v1, s52, v57
	v_add_u32_e32 v1, v57, v1
	v_lshrrev_b32_e32 v1, s53, v1
	v_mul_lo_u32 v1, v1, s76
	v_sub_u32_e32 v1, v57, v1
	v_mad_i64_i32 v[36:37], s[48:49], v1, s54, 0
	v_mul_hi_u32 v1, s52, v91
	v_add_u32_e32 v1, v91, v1
	v_lshrrev_b32_e32 v1, s53, v1
	v_lshlrev_b64 v[36:37], 1, v[36:37]
	v_mul_lo_u32 v1, v1, s76
	v_add_co_u32_e64 v36, s[48:49], v34, v36
	v_sub_u32_e32 v1, v91, v1
	v_addc_co_u32_e64 v37, s[48:49], v35, v37, s[48:49]
	v_mad_i64_i32 v[38:39], s[48:49], v1, s54, 0
	v_lshlrev_b64 v[38:39], 1, v[38:39]
	v_add_co_u32_e64 v38, s[48:49], v34, v38
	v_addc_co_u32_e64 v39, s[48:49], v35, v39, s[48:49]
	flat_load_ushort v36, v[36:37]
	s_nop 0
	flat_load_ushort v37, v[38:39]
.LBB30_109:                             ;   in Loop: Header=BB30_16 Depth=1
	s_or_b64 exec, exec, s[50:51]
	v_accvgpr_read_b32 v1, a164
	s_waitcnt vmcnt(0) lgkmcnt(0)
	ds_write_b16 v1, v36 offset:33792
	v_accvgpr_read_b32 v1, a165
	ds_write_b16 v1, v37 offset:33792
                                        ; implicit-def: $sgpr50
	s_and_saveexec_b64 s[48:49], vcc
	s_xor_b64 s[48:49], exec, s[48:49]
	s_cbranch_execz .LBB30_111
; %bb.110:                              ;   in Loop: Header=BB30_16 Depth=1
	v_accvgpr_read_b32 v1, a166
	ds_write_b16 v1, v125 offset:33792
	v_accvgpr_read_b32 v1, a167
	ds_write_b16 v1, v125 offset:33792
	s_mov_b32 s50, 0
                                        ; implicit-def: $vgpr53
                                        ; implicit-def: $vgpr34
                                        ; implicit-def: $vgpr35
                                        ; implicit-def: $vgpr112
                                        ; implicit-def: $vgpr113
                                        ; implicit-def: $vgpr50
.LBB30_111:                             ;   in Loop: Header=BB30_16 Depth=1
	s_or_saveexec_b64 s[48:49], s[48:49]
	v_mov_b32_e32 v1, s50
	v_mov_b32_e32 v36, s50
	s_xor_b64 exec, exec, s[48:49]
	s_cbranch_execz .LBB30_113
; %bb.112:                              ;   in Loop: Header=BB30_16 Depth=1
	v_readlane_b32 s52, v254, 10
	v_mul_hi_u32 v1, s52, v53
	v_readlane_b32 s53, v254, 11
	v_add_u32_e32 v1, v53, v1
	v_lshrrev_b32_e32 v1, s53, v1
	v_mul_lo_u32 v1, v1, s76
	v_readlane_b32 s50, v255, 17
	v_sub_u32_e32 v1, v53, v1
	v_readlane_b32 s51, v255, 18
	s_mov_b32 s54, s50
	v_mad_i64_i32 v[36:37], s[50:51], v1, s54, 0
	v_lshlrev_b64 v[36:37], 1, v[36:37]
	v_add_co_u32_e32 v36, vcc, v34, v36
	v_addc_co_u32_e32 v37, vcc, v35, v37, vcc
	flat_load_ushort v1, v[36:37]
	v_mul_hi_u32 v36, s52, v112
	v_add_u32_e32 v36, v112, v36
	v_lshrrev_b32_e32 v36, s53, v36
	v_mul_lo_u32 v36, v36, s76
	v_sub_u32_e32 v36, v112, v36
	v_mad_i64_i32 v[36:37], s[50:51], v36, s54, 0
	v_lshlrev_b64 v[36:37], 1, v[36:37]
	v_add_co_u32_e32 v36, vcc, v34, v36
	v_addc_co_u32_e32 v37, vcc, v35, v37, vcc
	flat_load_ushort v36, v[36:37]
	v_accvgpr_read_b32 v37, a166
	s_waitcnt vmcnt(0) lgkmcnt(0)
	ds_write_b16 v37, v1 offset:33792
	v_accvgpr_read_b32 v1, a167
	ds_write_b16 v1, v36 offset:33792
	v_mul_hi_u32 v1, s52, v113
	v_add_u32_e32 v1, v113, v1
	v_lshrrev_b32_e32 v1, s53, v1
	v_mul_lo_u32 v1, v1, s76
	v_sub_u32_e32 v1, v113, v1
	v_mad_i64_i32 v[36:37], s[50:51], v1, s54, 0
	v_lshlrev_b64 v[36:37], 1, v[36:37]
	v_add_co_u32_e32 v36, vcc, v34, v36
	v_addc_co_u32_e32 v37, vcc, v35, v37, vcc
	flat_load_ushort v1, v[36:37]
	v_mul_hi_u32 v36, s52, v50
	v_add_u32_e32 v36, v50, v36
	v_lshrrev_b32_e32 v36, s53, v36
	v_mul_lo_u32 v36, v36, s76
	v_sub_u32_e32 v36, v50, v36
	v_mad_i64_i32 v[36:37], s[50:51], v36, s54, 0
	v_lshlrev_b64 v[36:37], 1, v[36:37]
	v_add_co_u32_e32 v34, vcc, v34, v36
	v_addc_co_u32_e32 v35, vcc, v35, v37, vcc
	flat_load_ushort v36, v[34:35]
.LBB30_113:                             ;   in Loop: Header=BB30_16 Depth=1
	s_or_b64 exec, exec, s[48:49]
	v_accvgpr_read_b32 v34, a168
	s_waitcnt vmcnt(0) lgkmcnt(0)
	ds_write_b16 v34, v1 offset:33792
	v_accvgpr_read_b32 v1, a169
	ds_write_b16 v1, v36 offset:33792
.LBB30_114:                             ;   in Loop: Header=BB30_16 Depth=1
	s_mul_hi_i32 s49, s92, s86
	s_mul_i32 s48, s92, s86
	s_lshl_b64 s[48:49], s[48:49], 2
	s_add_u32 s67, s4, s48
	s_mov_b32 s93, s66
	s_addc_u32 s66, s5, s49
	v_add_co_u32_e32 v34, vcc, s67, v74
	v_mov_b32_e32 v1, s66
	v_addc_co_u32_e32 v35, vcc, v1, v75, vcc
	v_lshlrev_b32_e32 v1, 2, v162
	v_add_co_u32_e32 v34, vcc, v34, v1
	v_cmp_gt_i32_e64 s[48:49], s80, v183
	v_addc_co_u32_e32 v35, vcc, 0, v35, vcc
	v_mov_b32_e32 v38, s95
	v_mov_b32_e32 v39, s94
	buffer_store_dword v125, off, s[0:3], 0
	buffer_store_dword v125, off, s[0:3], 0 offset:4
	buffer_store_dword v125, off, s[0:3], 0 offset:8
	;; [unrolled: 1-line block ×3, first 2 shown]
	v_cndmask_b32_e64 v35, v38, v35, s[48:49]
	v_cndmask_b32_e64 v34, v39, v34, s[48:49]
	flat_load_dwordx4 v[34:37], v[34:35]
	s_waitcnt vmcnt(0) lgkmcnt(0)
	ds_write_b128 v152, v[34:37]
	v_accvgpr_read_b32 v34, a170
	v_cmp_gt_i32_e64 s[50:51], s80, v34
	v_add_co_u32_e32 v34, vcc, s67, v76
	v_mov_b32_e32 v35, s66
	v_addc_co_u32_e32 v35, vcc, v35, v77, vcc
	v_add_co_u32_e32 v34, vcc, v34, v1
	v_addc_co_u32_e32 v35, vcc, 0, v35, vcc
	v_cndmask_b32_e64 v35, v38, v35, s[50:51]
	v_cndmask_b32_e64 v34, v39, v34, s[50:51]
	flat_load_dwordx4 v[34:37], v[34:35]
	s_waitcnt vmcnt(0) lgkmcnt(0)
	ds_write_b128 v209, v[34:37]
	v_accvgpr_read_b32 v34, a171
	v_cmp_gt_i32_e64 s[52:53], s80, v34
	v_add_co_u32_e32 v34, vcc, s67, v78
	v_mov_b32_e32 v35, s66
	v_addc_co_u32_e32 v35, vcc, v35, v79, vcc
	v_add_co_u32_e32 v34, vcc, v34, v1
	v_addc_co_u32_e32 v35, vcc, 0, v35, vcc
	;; [unrolled: 12-line block ×7, first 2 shown]
	v_cndmask_b32_e64 v35, v38, v35, s[62:63]
	v_cndmask_b32_e64 v34, v39, v34, s[62:63]
	flat_load_dwordx4 v[34:37], v[34:35]
	v_add_u32_e32 v38, 0x4000, v217
	s_waitcnt vmcnt(0) lgkmcnt(0)
	ds_write_b128 v222, v[34:37]
	s_waitcnt lgkmcnt(0)
	s_barrier
	ds_read2_b64 v[34:37], v217 offset1:4
	s_waitcnt lgkmcnt(0)
	v_mfma_f32_16x16x16f16 a[0:3], v[34:35], v[30:31], 0
	v_mfma_f32_16x16x16f16 a[0:3], v[36:37], v[32:33], a[0:3]
	ds_read2_b64 v[34:37], v217 offset0:8 offset1:12
	s_waitcnt lgkmcnt(0)
	v_mfma_f32_16x16x16f16 a[0:3], v[34:35], v[26:27], a[0:3]
	v_mfma_f32_16x16x16f16 a[0:3], v[36:37], v[28:29], a[0:3]
	ds_read2_b64 v[34:37], v217 offset0:16 offset1:20
	;; [unrolled: 4-line block ×13, first 2 shown]
	s_waitcnt lgkmcnt(0)
	v_mfma_f32_16x16x16f16 a[4:7], v[14:15], v[10:11], a[4:7]
                                        ; implicit-def: $vgpr14
	v_mfma_f32_16x16x16f16 a[4:7], v[16:17], v[12:13], a[4:7]
	ds_read2_b64 v[10:13], v38 offset0:112 offset1:116
	s_waitcnt lgkmcnt(0)
	v_mfma_f32_16x16x16f16 a[4:7], v[10:11], v[6:7], a[4:7]
	v_mfma_f32_16x16x16f16 a[4:7], v[12:13], v[8:9], a[4:7]
	ds_read2_b64 v[6:9], v38 offset0:120 offset1:124
	v_accvgpr_read_b32 v13, a0
	v_cmp_nlt_f32_e64 s[66:67], |v13|, s9
	s_waitcnt lgkmcnt(0)
	s_barrier
	v_mfma_f32_16x16x16f16 a[4:7], v[6:7], v[2:3], a[4:7]
	v_mfma_f32_16x16x16f16 a[4:7], v[8:9], v[4:5], a[4:7]
	s_and_saveexec_b64 s[68:69], s[66:67]
	s_xor_b64 s[66:67], exec, s[68:69]
	s_cbranch_execz .LBB30_116
; %bb.115:                              ;   in Loop: Header=BB30_16 Depth=1
	v_add_f32_e64 v2, |v13|, |v13|
	v_mul_f32_e32 v3, 0x3fb8aa3b, v2
	v_rndne_f32_e32 v4, v3
	v_sub_f32_e32 v5, v3, v4
	v_fma_f32 v3, v2, s88, -v3
	v_fmac_f32_e32 v3, 0x32a5705f, v2
	v_add_f32_e32 v3, v5, v3
	v_cvt_i32_f32_e32 v4, v4
	v_exp_f32_e32 v3, v3
	v_cmp_ngt_f32_e32 vcc, s89, v2
	v_ldexp_f32 v3, v3, v4
	v_cndmask_b32_e32 v3, 0, v3, vcc
	v_cmp_nlt_f32_e32 vcc, s85, v2
	v_cndmask_b32_e32 v2, v144, v3, vcc
	v_add_f32_e32 v2, 1.0, v2
	v_rcp_f32_e32 v2, v2
	v_fma_f32 v14, v2, -2.0, 1.0
.LBB30_116:                             ;   in Loop: Header=BB30_16 Depth=1
	s_andn2_saveexec_b64 s[66:67], s[66:67]
; %bb.117:                              ;   in Loop: Header=BB30_16 Depth=1
	v_mul_f32_e32 v2, v13, v13
	v_mov_b32_e32 v3, 0x3ca908c9
	v_fmac_f32_e32 v3, 0xbbbac73d, v2
	v_fma_f32 v3, v2, v3, v218
	v_fma_f32 v3, v2, v3, v119
	;; [unrolled: 1-line block ×3, first 2 shown]
	v_mul_f32_e64 v3, |v13|, v3
	v_fma_f32 v14, v2, v3, |v13|
; %bb.118:                              ;   in Loop: Header=BB30_16 Depth=1
	s_or_b64 exec, exec, s[66:67]
	v_accvgpr_read_b32 v5, a3
	v_accvgpr_read_b32 v3, a1
	;; [unrolled: 1-line block ×4, first 2 shown]
	v_cmp_nlt_f32_e64 s[66:67], |v3|, s9
                                        ; implicit-def: $vgpr2
	s_and_saveexec_b64 s[68:69], s[66:67]
	s_xor_b64 s[66:67], exec, s[68:69]
	s_cbranch_execz .LBB30_120
; %bb.119:                              ;   in Loop: Header=BB30_16 Depth=1
	v_add_f32_e64 v2, |v3|, |v3|
	v_mul_f32_e32 v6, 0x3fb8aa3b, v2
	v_rndne_f32_e32 v7, v6
	v_sub_f32_e32 v8, v6, v7
	v_fma_f32 v6, v2, s88, -v6
	v_fmac_f32_e32 v6, 0x32a5705f, v2
	v_add_f32_e32 v6, v8, v6
	v_cvt_i32_f32_e32 v7, v7
	v_exp_f32_e32 v6, v6
	v_cmp_ngt_f32_e32 vcc, s89, v2
	v_ldexp_f32 v6, v6, v7
	v_cndmask_b32_e32 v6, 0, v6, vcc
	v_cmp_nlt_f32_e32 vcc, s85, v2
	v_cndmask_b32_e32 v2, v144, v6, vcc
	v_add_f32_e32 v2, 1.0, v2
	v_rcp_f32_e32 v2, v2
	v_fma_f32 v2, v2, -2.0, 1.0
.LBB30_120:                             ;   in Loop: Header=BB30_16 Depth=1
	s_andn2_saveexec_b64 s[66:67], s[66:67]
; %bb.121:                              ;   in Loop: Header=BB30_16 Depth=1
	v_mul_f32_e32 v2, v3, v3
	v_mov_b32_e32 v6, 0x3ca908c9
	v_fmac_f32_e32 v6, 0xbbbac73d, v2
	v_fma_f32 v6, v2, v6, v218
	v_fma_f32 v6, v2, v6, v119
	;; [unrolled: 1-line block ×3, first 2 shown]
	v_mul_f32_e64 v6, |v3|, v6
	v_fma_f32 v2, v2, v6, |v3|
; %bb.122:                              ;   in Loop: Header=BB30_16 Depth=1
	s_or_b64 exec, exec, s[66:67]
	v_cmp_nlt_f32_e64 s[66:67], |v4|, s9
                                        ; implicit-def: $vgpr16
	s_and_saveexec_b64 s[68:69], s[66:67]
	s_xor_b64 s[66:67], exec, s[68:69]
	s_cbranch_execz .LBB30_124
; %bb.123:                              ;   in Loop: Header=BB30_16 Depth=1
	v_add_f32_e64 v6, |v4|, |v4|
	v_mul_f32_e32 v7, 0x3fb8aa3b, v6
	v_rndne_f32_e32 v8, v7
	v_sub_f32_e32 v9, v7, v8
	v_fma_f32 v7, v6, s88, -v7
	v_fmac_f32_e32 v7, 0x32a5705f, v6
	v_add_f32_e32 v7, v9, v7
	v_cvt_i32_f32_e32 v8, v8
	v_exp_f32_e32 v7, v7
	v_cmp_ngt_f32_e32 vcc, s89, v6
	v_ldexp_f32 v7, v7, v8
	v_cndmask_b32_e32 v7, 0, v7, vcc
	v_cmp_nlt_f32_e32 vcc, s85, v6
	v_cndmask_b32_e32 v6, v144, v7, vcc
	v_add_f32_e32 v6, 1.0, v6
	v_rcp_f32_e32 v6, v6
	v_fma_f32 v16, v6, -2.0, 1.0
.LBB30_124:                             ;   in Loop: Header=BB30_16 Depth=1
	s_andn2_saveexec_b64 s[66:67], s[66:67]
; %bb.125:                              ;   in Loop: Header=BB30_16 Depth=1
	v_mul_f32_e32 v6, v4, v4
	v_mov_b32_e32 v7, 0x3ca908c9
	v_fmac_f32_e32 v7, 0xbbbac73d, v6
	v_fma_f32 v7, v6, v7, v218
	v_fma_f32 v7, v6, v7, v119
	;; [unrolled: 1-line block ×3, first 2 shown]
	v_mul_f32_e64 v7, |v4|, v7
	v_fma_f32 v16, v6, v7, |v4|
; %bb.126:                              ;   in Loop: Header=BB30_16 Depth=1
	s_or_b64 exec, exec, s[66:67]
	v_cmp_nlt_f32_e64 s[66:67], |v5|, s9
                                        ; implicit-def: $vgpr17
	s_and_saveexec_b64 s[68:69], s[66:67]
	s_xor_b64 s[66:67], exec, s[68:69]
	s_cbranch_execz .LBB30_128
; %bb.127:                              ;   in Loop: Header=BB30_16 Depth=1
	v_add_f32_e64 v6, |v5|, |v5|
	v_mul_f32_e32 v7, 0x3fb8aa3b, v6
	v_rndne_f32_e32 v8, v7
	v_sub_f32_e32 v9, v7, v8
	v_fma_f32 v7, v6, s88, -v7
	v_fmac_f32_e32 v7, 0x32a5705f, v6
	v_add_f32_e32 v7, v9, v7
	v_cvt_i32_f32_e32 v8, v8
	v_exp_f32_e32 v7, v7
	v_cmp_ngt_f32_e32 vcc, s89, v6
	v_ldexp_f32 v7, v7, v8
	v_cndmask_b32_e32 v7, 0, v7, vcc
	v_cmp_nlt_f32_e32 vcc, s85, v6
	v_cndmask_b32_e32 v6, v144, v7, vcc
	v_add_f32_e32 v6, 1.0, v6
	v_rcp_f32_e32 v6, v6
	v_fma_f32 v17, v6, -2.0, 1.0
.LBB30_128:                             ;   in Loop: Header=BB30_16 Depth=1
	s_andn2_saveexec_b64 s[66:67], s[66:67]
; %bb.129:                              ;   in Loop: Header=BB30_16 Depth=1
	v_mul_f32_e32 v6, v5, v5
	v_mov_b32_e32 v7, 0x3ca908c9
	v_fmac_f32_e32 v7, 0xbbbac73d, v6
	v_fma_f32 v7, v6, v7, v218
	v_fma_f32 v7, v6, v7, v119
	;; [unrolled: 1-line block ×3, first 2 shown]
	v_mul_f32_e64 v7, |v5|, v7
	v_fma_f32 v17, v6, v7, |v5|
; %bb.130:                              ;   in Loop: Header=BB30_16 Depth=1
	s_or_b64 exec, exec, s[66:67]
	v_accvgpr_read_b32 v9, a7
	v_accvgpr_read_b32 v6, a4
	;; [unrolled: 1-line block ×4, first 2 shown]
	v_cmp_nlt_f32_e64 s[66:67], |v6|, s9
                                        ; implicit-def: $vgpr10
	s_and_saveexec_b64 s[68:69], s[66:67]
	s_xor_b64 s[66:67], exec, s[68:69]
	s_cbranch_execz .LBB30_132
; %bb.131:                              ;   in Loop: Header=BB30_16 Depth=1
	v_add_f32_e64 v10, |v6|, |v6|
	v_mul_f32_e32 v11, 0x3fb8aa3b, v10
	v_rndne_f32_e32 v12, v11
	v_sub_f32_e32 v15, v11, v12
	v_fma_f32 v11, v10, s88, -v11
	v_fmac_f32_e32 v11, 0x32a5705f, v10
	v_add_f32_e32 v11, v15, v11
	v_cvt_i32_f32_e32 v12, v12
	v_exp_f32_e32 v11, v11
	v_cmp_ngt_f32_e32 vcc, s89, v10
	v_ldexp_f32 v11, v11, v12
	v_cndmask_b32_e32 v11, 0, v11, vcc
	v_cmp_nlt_f32_e32 vcc, s85, v10
	v_cndmask_b32_e32 v10, v144, v11, vcc
	v_add_f32_e32 v10, 1.0, v10
	v_rcp_f32_e32 v10, v10
	v_fma_f32 v10, v10, -2.0, 1.0
.LBB30_132:                             ;   in Loop: Header=BB30_16 Depth=1
	s_andn2_saveexec_b64 s[66:67], s[66:67]
; %bb.133:                              ;   in Loop: Header=BB30_16 Depth=1
	v_mul_f32_e32 v10, v6, v6
	v_mov_b32_e32 v11, 0x3ca908c9
	v_fmac_f32_e32 v11, 0xbbbac73d, v10
	v_fma_f32 v11, v10, v11, v218
	v_fma_f32 v11, v10, v11, v119
	;; [unrolled: 1-line block ×3, first 2 shown]
	v_mul_f32_e64 v11, |v6|, v11
	v_fma_f32 v10, v10, v11, |v6|
; %bb.134:                              ;   in Loop: Header=BB30_16 Depth=1
	s_or_b64 exec, exec, s[66:67]
	v_cmp_nlt_f32_e64 s[66:67], |v7|, s9
                                        ; implicit-def: $vgpr11
	s_and_saveexec_b64 s[68:69], s[66:67]
	s_xor_b64 s[66:67], exec, s[68:69]
	s_cbranch_execz .LBB30_136
; %bb.135:                              ;   in Loop: Header=BB30_16 Depth=1
	v_add_f32_e64 v11, |v7|, |v7|
	v_mul_f32_e32 v12, 0x3fb8aa3b, v11
	v_rndne_f32_e32 v15, v12
	v_sub_f32_e32 v18, v12, v15
	v_fma_f32 v12, v11, s88, -v12
	v_fmac_f32_e32 v12, 0x32a5705f, v11
	v_add_f32_e32 v12, v18, v12
	v_cvt_i32_f32_e32 v15, v15
	v_exp_f32_e32 v12, v12
	v_cmp_ngt_f32_e32 vcc, s89, v11
	v_ldexp_f32 v12, v12, v15
	v_cndmask_b32_e32 v12, 0, v12, vcc
	v_cmp_nlt_f32_e32 vcc, s85, v11
	v_cndmask_b32_e32 v11, v144, v12, vcc
	v_add_f32_e32 v11, 1.0, v11
	v_rcp_f32_e32 v11, v11
	v_fma_f32 v11, v11, -2.0, 1.0
.LBB30_136:                             ;   in Loop: Header=BB30_16 Depth=1
	s_andn2_saveexec_b64 s[66:67], s[66:67]
; %bb.137:                              ;   in Loop: Header=BB30_16 Depth=1
	v_mul_f32_e32 v11, v7, v7
	v_mov_b32_e32 v12, 0x3ca908c9
	v_fmac_f32_e32 v12, 0xbbbac73d, v11
	v_fma_f32 v12, v11, v12, v218
	v_fma_f32 v12, v11, v12, v119
	;; [unrolled: 1-line block ×3, first 2 shown]
	v_mul_f32_e64 v12, |v7|, v12
	v_fma_f32 v11, v11, v12, |v7|
; %bb.138:                              ;   in Loop: Header=BB30_16 Depth=1
	s_or_b64 exec, exec, s[66:67]
	v_cmp_nlt_f32_e64 s[66:67], |v8|, s9
                                        ; implicit-def: $vgpr12
	s_and_saveexec_b64 s[68:69], s[66:67]
	s_xor_b64 s[66:67], exec, s[68:69]
	s_cbranch_execz .LBB30_140
; %bb.139:                              ;   in Loop: Header=BB30_16 Depth=1
	v_add_f32_e64 v12, |v8|, |v8|
	v_mul_f32_e32 v15, 0x3fb8aa3b, v12
	v_rndne_f32_e32 v18, v15
	v_sub_f32_e32 v19, v15, v18
	v_fma_f32 v15, v12, s88, -v15
	v_fmac_f32_e32 v15, 0x32a5705f, v12
	v_add_f32_e32 v15, v19, v15
	v_cvt_i32_f32_e32 v18, v18
	v_exp_f32_e32 v15, v15
	v_cmp_ngt_f32_e32 vcc, s89, v12
	v_ldexp_f32 v15, v15, v18
	v_cndmask_b32_e32 v15, 0, v15, vcc
	v_cmp_nlt_f32_e32 vcc, s85, v12
	v_cndmask_b32_e32 v12, v144, v15, vcc
	v_add_f32_e32 v12, 1.0, v12
	v_rcp_f32_e32 v12, v12
	v_fma_f32 v12, v12, -2.0, 1.0
.LBB30_140:                             ;   in Loop: Header=BB30_16 Depth=1
	s_andn2_saveexec_b64 s[66:67], s[66:67]
; %bb.141:                              ;   in Loop: Header=BB30_16 Depth=1
	v_mul_f32_e32 v12, v8, v8
	v_mov_b32_e32 v15, 0x3ca908c9
	v_fmac_f32_e32 v15, 0xbbbac73d, v12
	v_fma_f32 v15, v12, v15, v218
	v_fma_f32 v15, v12, v15, v119
	v_fma_f32 v15, v12, v15, v151
	v_mul_f32_e64 v15, |v8|, v15
	v_fma_f32 v12, v12, v15, |v8|
; %bb.142:                              ;   in Loop: Header=BB30_16 Depth=1
	s_or_b64 exec, exec, s[66:67]
	v_cmp_nlt_f32_e64 s[66:67], |v9|, s9
                                        ; implicit-def: $vgpr18
	s_and_saveexec_b64 s[68:69], s[66:67]
	s_xor_b64 s[66:67], exec, s[68:69]
	s_cbranch_execz .LBB30_144
; %bb.143:                              ;   in Loop: Header=BB30_16 Depth=1
	v_add_f32_e64 v15, |v9|, |v9|
	v_mul_f32_e32 v18, 0x3fb8aa3b, v15
	v_rndne_f32_e32 v19, v18
	v_sub_f32_e32 v20, v18, v19
	v_fma_f32 v18, v15, s88, -v18
	v_fmac_f32_e32 v18, 0x32a5705f, v15
	v_add_f32_e32 v18, v20, v18
	v_cvt_i32_f32_e32 v19, v19
	v_exp_f32_e32 v18, v18
	v_cmp_ngt_f32_e32 vcc, s89, v15
	v_ldexp_f32 v18, v18, v19
	v_cndmask_b32_e32 v18, 0, v18, vcc
	v_cmp_nlt_f32_e32 vcc, s85, v15
	v_cndmask_b32_e32 v15, v144, v18, vcc
	v_add_f32_e32 v15, 1.0, v15
	v_rcp_f32_e32 v15, v15
	v_fma_f32 v18, v15, -2.0, 1.0
.LBB30_144:                             ;   in Loop: Header=BB30_16 Depth=1
	s_andn2_saveexec_b64 s[66:67], s[66:67]
; %bb.145:                              ;   in Loop: Header=BB30_16 Depth=1
	v_mul_f32_e32 v15, v9, v9
	v_mov_b32_e32 v18, 0x3ca908c9
	v_fmac_f32_e32 v18, 0xbbbac73d, v15
	v_fma_f32 v18, v15, v18, v218
	v_fma_f32 v18, v15, v18, v119
	;; [unrolled: 1-line block ×3, first 2 shown]
	v_mul_f32_e64 v18, |v9|, v18
	v_fma_f32 v18, v15, v18, |v9|
; %bb.146:                              ;   in Loop: Header=BB30_16 Depth=1
	s_or_b64 exec, exec, s[66:67]
	v_bfi_b32 v6, s8, v10, v6
	v_bfi_b32 v2, s8, v2, v3
	v_mul_f32_e32 v10, s97, v6
	v_bfi_b32 v6, s8, v11, v7
	v_mul_f32_e32 v15, s97, v2
	;; [unrolled: 2-line block ×7, first 2 shown]
	v_mul_f32_e32 v13, s97, v2
	s_and_b64 vcc, exec, s[64:65]
	s_cbranch_vccz .LBB30_453
; %bb.147:                              ;   in Loop: Header=BB30_16 Depth=1
	v_accvgpr_read_b32 v2, a72
	v_add_u32_e32 v2, 0x8400, v2
	v_accvgpr_read_b32 v4, a74
	ds_read2_b32 v[2:3], v2 offset1:1
	ds_read_b32 v6, v4 offset:33792
	v_accvgpr_read_b32 v4, a76
	ds_read_b32 v7, v4 offset:33792
	s_waitcnt lgkmcnt(2)
	v_cvt_f32_f16_e32 v4, v2
	v_cvt_f32_f16_sdwa v5, v2 dst_sel:DWORD dst_unused:UNUSED_PAD src0_sel:WORD_1
	v_cvt_f32_f16_e32 v2, v3
	v_cvt_f32_f16_sdwa v3, v3 dst_sel:DWORD dst_unused:UNUSED_PAD src0_sel:WORD_1
	s_waitcnt lgkmcnt(1)
	v_cvt_f32_f16_sdwa v19, v6 dst_sel:DWORD dst_unused:UNUSED_PAD src0_sel:WORD_1
	s_waitcnt lgkmcnt(0)
	v_cvt_f32_f16_sdwa v21, v7 dst_sel:DWORD dst_unused:UNUSED_PAD src0_sel:WORD_1
	v_cvt_f32_f16_e32 v20, v7
	v_cvt_f32_f16_e32 v18, v6
	v_pk_fma_f32 v[8:9], v[92:93], v[2:3], v[16:17] op_sel_hi:[0,1,1]
	v_pk_fma_f32 v[6:7], v[92:93], v[4:5], v[14:15] op_sel_hi:[0,1,1]
	;; [unrolled: 1-line block ×4, first 2 shown]
	s_cbranch_execnz .LBB30_149
.LBB30_148:                             ;   in Loop: Header=BB30_16 Depth=1
	v_pk_mov_b32 v[2:3], v[10:11], v[10:11] op_sel:[0,1]
	v_pk_mov_b32 v[6:7], v[14:15], v[14:15] op_sel:[0,1]
	;; [unrolled: 1-line block ×4, first 2 shown]
.LBB30_149:                             ;   in Loop: Header=BB30_16 Depth=1
	v_accvgpr_read_b32 v10, a71
	v_cmp_gt_u32_e64 s[76:77], s80, v10
	v_add_f32_e32 v10, 0x40051340, v6
	v_max_f32_e32 v11, v46, v46
	v_max_f32_e32 v10, v11, v10
	v_cndmask_b32_e64 v10, v46, v10, s[76:77]
	v_accvgpr_read_b32 v11, a178
	v_cmp_gt_u32_e64 s[78:79], s80, v11
	v_add_f32_e32 v11, 0x40051340, v7
	v_max_f32_e32 v12, v10, v10
	v_max_f32_e32 v11, v12, v11
	v_cndmask_b32_e64 v10, v10, v11, s[78:79]
	;; [unrolled: 6-line block ×7, first 2 shown]
	v_accvgpr_read_b32 v11, a182
	v_cmp_gt_u32_e32 vcc, s80, v11
	v_add_f32_e32 v11, 0x40051340, v5
	v_max_f32_e32 v12, v10, v10
	v_max_f32_e32 v11, v12, v11
	v_cndmask_b32_e32 v10, v10, v11, vcc
	v_and_b32_e32 v11, 64, v99
	v_add_u32_e32 v12, 64, v11
	v_xor_b32_e32 v11, 32, v99
	v_cmp_lt_i32_e64 s[80:81], v11, v12
	v_cndmask_b32_e64 v11, v99, v11, s[80:81]
	v_lshlrev_b32_e32 v11, 2, v11
	ds_bpermute_b32 v13, v11, v10
	v_max_f32_e32 v10, v10, v10
	v_cndmask_b32_e64 v8, v8, v8, s[78:79]
	v_cndmask_b32_e64 v9, v9, v9, s[78:79]
	;; [unrolled: 1-line block ×3, first 2 shown]
	s_waitcnt lgkmcnt(0)
	v_max_f32_e32 v13, v13, v13
	v_max_f32_e32 v10, v10, v13
	v_xor_b32_e32 v13, 16, v99
	v_cmp_lt_i32_e64 s[80:81], v13, v12
	v_cndmask_b32_e64 v12, v99, v13, s[80:81]
	v_lshlrev_b32_e32 v37, 2, v12
	ds_bpermute_b32 v12, v37, v10
	v_cndmask_b32_e64 v5, v5, v5, s[68:69]
	v_cndmask_b32_e64 v4, v4, v4, s[68:69]
	v_mov_b32_e32 v50, s94
	buffer_store_dword v125, off, s[0:3], 0
	buffer_store_dword v125, off, s[0:3], 0 offset:4
	buffer_store_dword v125, off, s[0:3], 0 offset:8
	;; [unrolled: 1-line block ×3, first 2 shown]
	s_waitcnt lgkmcnt(0)
	v_max_f32_e32 v12, v12, v12
	v_max_f32_e32 v10, v10, v12
	v_sub_f32_e32 v6, v6, v10
	v_mul_f32_e32 v12, 0x3fb8aa3b, v6
	v_fma_f32 v13, v6, s88, -v12
	v_rndne_f32_e32 v14, v12
	v_fmac_f32_e32 v13, 0x32a5705f, v6
	v_sub_f32_e32 v12, v12, v14
	v_add_f32_e32 v12, v12, v13
	v_exp_f32_e32 v12, v12
	v_cvt_i32_f32_e32 v13, v14
	v_cmp_ngt_f32_e64 s[80:81], s89, v6
	v_sub_f32_e32 v7, v7, v10
	v_sub_f32_e32 v8, v8, v10
	v_ldexp_f32 v12, v12, v13
	v_cndmask_b32_e64 v12, 0, v12, s[80:81]
	v_cmp_nlt_f32_e64 s[80:81], s85, v6
	v_cndmask_b32_e64 v6, v144, v12, s[80:81]
	v_mul_f32_e32 v12, 0x3fb8aa3b, v7
	v_fma_f32 v13, v7, s88, -v12
	v_rndne_f32_e32 v14, v12
	v_fmac_f32_e32 v13, 0x32a5705f, v7
	v_sub_f32_e32 v12, v12, v14
	v_add_f32_e32 v12, v12, v13
	v_exp_f32_e32 v12, v12
	v_cvt_i32_f32_e32 v13, v14
	v_cndmask_b32_e64 v6, 0, v6, s[76:77]
	v_cmp_ngt_f32_e64 s[76:77], s89, v7
	v_sub_f32_e32 v2, v2, v10
	v_ldexp_f32 v12, v12, v13
	v_cndmask_b32_e64 v12, 0, v12, s[76:77]
	v_cmp_nlt_f32_e64 s[76:77], s85, v7
	v_cndmask_b32_e64 v12, v144, v12, s[76:77]
	v_mov_b32_e32 v7, s45
	v_add_f32_e32 v13, v12, v6
	v_cndmask_b32_e64 v14, v7, v12, s[78:79]
	v_mul_f32_e32 v12, 0x3fb8aa3b, v8
	v_cndmask_b32_e64 v7, v6, v13, s[78:79]
	v_fma_f32 v13, v8, s88, -v12
	v_rndne_f32_e32 v15, v12
	v_fmac_f32_e32 v13, 0x32a5705f, v8
	v_sub_f32_e32 v12, v12, v15
	v_add_f32_e32 v12, v12, v13
	v_exp_f32_e32 v12, v12
	v_cvt_i32_f32_e32 v13, v15
	v_cmp_ngt_f32_e64 s[76:77], s89, v8
	v_sub_f32_e32 v3, v3, v10
	s_mov_b32 s81, 0xc1a00000
	v_ldexp_f32 v12, v12, v13
	v_cndmask_b32_e64 v12, 0, v12, s[76:77]
	v_cmp_nlt_f32_e64 s[76:77], s85, v8
	v_cndmask_b32_e64 v12, v144, v12, s[76:77]
	v_add_f32_e32 v13, v7, v12
	v_mov_b32_e32 v8, s45
	v_cndmask_b32_e64 v8, v8, v12, s[72:73]
	v_cndmask_b32_e64 v12, v7, v13, s[72:73]
	v_sub_f32_e32 v7, v9, v10
	v_mul_f32_e32 v9, 0x3fb8aa3b, v7
	v_fma_f32 v13, v7, s88, -v9
	v_rndne_f32_e32 v15, v9
	v_fmac_f32_e32 v13, 0x32a5705f, v7
	v_sub_f32_e32 v9, v9, v15
	v_add_f32_e32 v9, v9, v13
	v_exp_f32_e32 v9, v9
	v_cvt_i32_f32_e32 v13, v15
	v_cmp_ngt_f32_e64 s[72:73], s89, v7
	v_ldexp_f32 v9, v9, v13
	v_cndmask_b32_e64 v9, 0, v9, s[72:73]
	v_cmp_nlt_f32_e64 s[72:73], s85, v7
	v_cndmask_b32_e64 v9, v144, v9, s[72:73]
	v_add_f32_e32 v13, v12, v9
	v_mov_b32_e32 v7, s45
	v_cndmask_b32_e64 v7, v7, v9, s[70:71]
	v_cndmask_b32_e64 v9, v12, v13, s[70:71]
	v_mul_f32_e32 v12, 0x3fb8aa3b, v2
	v_fma_f32 v13, v2, s88, -v12
	v_rndne_f32_e32 v15, v12
	v_fmac_f32_e32 v13, 0x32a5705f, v2
	v_sub_f32_e32 v12, v12, v15
	v_add_f32_e32 v12, v12, v13
	v_exp_f32_e32 v12, v12
	v_cvt_i32_f32_e32 v13, v15
	v_cmp_ngt_f32_e64 s[70:71], s89, v2
	v_ldexp_f32 v12, v12, v13
	v_cndmask_b32_e64 v12, 0, v12, s[70:71]
	v_cmp_nlt_f32_e64 s[70:71], s85, v2
	v_cndmask_b32_e64 v12, v144, v12, s[70:71]
	v_add_f32_e32 v13, v12, v9
	v_mov_b32_e32 v2, s45
	v_cndmask_b32_e64 v40, v2, v12, s[68:69]
	v_cndmask_b32_e64 v2, v9, v13, s[68:69]
	;; [unrolled: 17-line block ×3, first 2 shown]
	v_sub_f32_e32 v2, v4, v10
	v_mul_f32_e32 v4, 0x3fb8aa3b, v2
	v_fma_f32 v12, v2, s88, -v4
	v_rndne_f32_e32 v13, v4
	v_fmac_f32_e32 v12, 0x32a5705f, v2
	v_sub_f32_e32 v4, v4, v13
	v_add_f32_e32 v4, v4, v12
	v_exp_f32_e32 v4, v4
	v_cvt_i32_f32_e32 v12, v13
	v_cmp_ngt_f32_e64 s[66:67], s89, v2
	v_ldexp_f32 v4, v4, v12
	v_cndmask_b32_e64 v4, 0, v4, s[66:67]
	v_cmp_nlt_f32_e64 s[66:67], s85, v2
	v_cndmask_b32_e64 v4, v144, v4, s[66:67]
	v_add_f32_e32 v12, v4, v3
	v_mov_b32_e32 v2, s45
	v_cndmask_b32_e64 v4, v2, v4, s[64:65]
	v_cndmask_b32_e64 v2, v3, v12, s[64:65]
	v_sub_f32_e32 v3, v5, v10
	v_mul_f32_e32 v5, 0x3fb8aa3b, v3
	v_fma_f32 v12, v3, s88, -v5
	v_rndne_f32_e32 v13, v5
	v_fmac_f32_e32 v12, 0x32a5705f, v3
	v_sub_f32_e32 v5, v5, v13
	v_add_f32_e32 v5, v5, v12
	v_exp_f32_e32 v5, v5
	v_cvt_i32_f32_e32 v12, v13
	v_cmp_ngt_f32_e64 s[64:65], s89, v3
	v_cvt_f16_f32_e32 v4, v4
	v_ldexp_f32 v5, v5, v12
	v_cndmask_b32_e64 v5, 0, v5, s[64:65]
	v_cmp_nlt_f32_e64 s[64:65], s85, v3
	v_cndmask_b32_e64 v5, v144, v5, s[64:65]
	v_add_f32_e32 v12, v5, v2
	v_mov_b32_e32 v3, s45
	v_cndmask_b32_e32 v38, v2, v12, vcc
	v_sub_f32_e32 v2, v46, v10
	v_cndmask_b32_e32 v3, v3, v5, vcc
	v_mul_f32_e32 v5, 0x3fb8aa3b, v2
	v_fma_f32 v12, v2, s88, -v5
	v_rndne_f32_e32 v13, v5
	v_fmac_f32_e32 v12, 0x32a5705f, v2
	v_sub_f32_e32 v5, v5, v13
	v_add_f32_e32 v5, v5, v12
	v_exp_f32_e32 v5, v5
	v_cvt_i32_f32_e32 v12, v13
	v_cmp_ngt_f32_e32 vcc, s89, v2
	v_cvt_f16_f32_e32 v3, v3
	s_mul_hi_i32 s65, s92, s82
	v_ldexp_f32 v5, v5, v12
	v_cndmask_b32_e32 v5, 0, v5, vcc
	v_cmp_nlt_f32_e32 vcc, s85, v2
	v_cndmask_b32_e32 v5, v144, v5, vcc
	v_cmp_le_f32_e32 vcc, s81, v2
	v_cndmask_b32_e32 v2, 0, v5, vcc
	v_fmac_f32_e32 v38, v44, v2
	v_cvt_f16_f32_e32 v2, v2
	v_cvt_f16_f32_e32 v5, v14
	s_mul_i32 s64, s92, s82
	s_lshl_b64 s[64:65], s[64:65], 2
	v_pk_mul_f16 v47, v2, v115 op_sel_hi:[0,1]
	v_pk_mul_f16 v46, v2, v114 op_sel_hi:[0,1]
	;; [unrolled: 1-line block ×32, first 2 shown]
	v_cvt_f16_f32_e32 v2, v6
	s_add_u32 s64, s33, s64
	s_addc_u32 s65, s84, s65
	v_pack_b32_f16 v3, v4, v3
	v_pack_b32_f16 v14, v2, v5
	v_cvt_f16_f32_e32 v2, v8
	v_cvt_f16_f32_e32 v5, v7
	v_add_co_u32_e32 v4, vcc, s64, v58
	v_mov_b32_e32 v7, s65
	v_pack_b32_f16 v15, v2, v5
	v_cvt_f16_f32_e32 v2, v40
	v_cvt_f16_f32_e32 v5, v9
	v_mov_b32_e32 v40, s95
	v_mov_b32_e32 v9, s65
	;; [unrolled: 1-line block ×3, first 2 shown]
	v_pack_b32_f16 v2, v2, v5
	v_mov_b32_e32 v5, s65
	v_addc_co_u32_e32 v5, vcc, v5, v59, vcc
	v_add_co_u32_e32 v4, vcc, v4, v1
	v_addc_co_u32_e32 v5, vcc, 0, v5, vcc
	v_cndmask_b32_e64 v49, v40, v5, s[48:49]
	v_cndmask_b32_e64 v48, v50, v4, s[48:49]
	v_add_co_u32_e32 v4, vcc, s64, v60
	v_mov_b32_e32 v5, s65
	v_addc_co_u32_e32 v5, vcc, v5, v61, vcc
	v_add_co_u32_e32 v4, vcc, v4, v1
	v_addc_co_u32_e32 v5, vcc, 0, v5, vcc
	v_cndmask_b32_e64 v53, v40, v5, s[50:51]
	v_cndmask_b32_e64 v52, v50, v4, s[50:51]
	v_add_co_u32_e32 v4, vcc, s64, v62
	;; [unrolled: 7-line block ×3, first 2 shown]
	v_mov_b32_e32 v5, s65
	v_addc_co_u32_e32 v5, vcc, v5, v65, vcc
	v_add_co_u32_e32 v4, vcc, v4, v1
	v_addc_co_u32_e32 v5, vcc, 0, v5, vcc
	v_add_co_u32_e32 v6, vcc, s64, v66
	;; [unrolled: 2-line block ×7, first 2 shown]
	v_addc_co_u32_e32 v57, vcc, 0, v57, vcc
	v_cndmask_b32_e64 v95, v40, v57, s[60:61]
	v_cndmask_b32_e64 v94, v50, v51, s[60:61]
	v_add_co_u32_e32 v51, vcc, s64, v72
	v_mov_b32_e32 v57, s65
	v_addc_co_u32_e32 v57, vcc, v57, v73, vcc
	v_add_co_u32_e32 v1, vcc, v51, v1
	v_addc_co_u32_e32 v51, vcc, 0, v57, vcc
	v_cndmask_b32_e64 v4, v50, v4, s[54:55]
	v_cndmask_b32_e64 v6, v50, v6, s[56:57]
	;; [unrolled: 1-line block ×5, first 2 shown]
	flat_load_dwordx4 v[48:51], v[48:49]
	v_cndmask_b32_e64 v5, v40, v5, s[54:55]
	v_cndmask_b32_e64 v7, v40, v7, s[56:57]
	v_cndmask_b32_e64 v9, v40, v9, s[58:59]
	v_add_u32_e32 v1, v153, v224
	v_add_u32_e32 v40, v153, v225
	v_readlane_b32 s64, v255, 42
	v_readlane_b32 s65, v255, 43
	v_readlane_b32 s50, v255, 9
	s_cmp_eq_u64 s[64:65], 0
	v_readlane_b32 s51, v255, 10
	s_cselect_b64 s[48:49], -1, 0
	s_xor_b64 s[50:51], s[50:51], -1
	s_or_b64 s[48:49], s[50:51], s[48:49]
	s_waitcnt vmcnt(0) lgkmcnt(0)
	ds_write_b128 v152, v[48:51]
	flat_load_dwordx4 v[48:51], v[52:53]
	s_waitcnt vmcnt(0) lgkmcnt(0)
	ds_write_b128 v209, v[48:51]
	flat_load_dwordx4 v[48:51], v[54:55]
	;; [unrolled: 3-line block ×7, first 2 shown]
	s_waitcnt vmcnt(0) lgkmcnt(0)
	ds_write_b128 v222, v[4:7]
	s_waitcnt lgkmcnt(0)
	s_barrier
	ds_read_u16 v1, v1 offset:528
	ds_read_u16 v8, v242 offset:1056
	v_cvt_f32_f16_e32 v6, v46
	v_cvt_f32_f16_sdwa v7, v46 dst_sel:DWORD dst_unused:UNUSED_PAD src0_sel:WORD_1
	ds_read_u16 v9, v40
	ds_read_u16 v46, v40 offset:32
	v_cvt_f32_f16_e32 v4, v47
	v_cvt_f32_f16_sdwa v5, v47 dst_sel:DWORD dst_unused:UNUSED_PAD src0_sel:WORD_1
	s_waitcnt lgkmcnt(1)
	v_perm_b32 v9, v9, v8, s46
	ds_read_u16 v8, v169
	ds_read_u16 v47, v169 offset:32
	v_accvgpr_write_b32 a0, v4
	v_accvgpr_write_b32 a1, v5
	;; [unrolled: 1-line block ×3, first 2 shown]
	s_waitcnt lgkmcnt(1)
	v_perm_b32 v8, v1, v8, s46
	v_accvgpr_write_b32 a3, v7
	s_nop 1
	v_mfma_f32_16x16x16f16 a[0:3], v[8:9], v[14:15], a[0:3]
	ds_read_u16 v8, v169 offset:16896
	s_nop 7
	s_nop 1
	v_accvgpr_read_b32 v4, a1
	v_cvt_f16_f32_e32 v5, v4
	v_accvgpr_read_b32 v4, a2
	v_cvt_f16_f32_e32 v6, v4
	v_accvgpr_read_b32 v4, a3
	v_accvgpr_read_b32 v1, a0
	v_cvt_f16_f32_e32 v7, v4
	v_add_u32_e32 v4, v226, v224
	v_cvt_f16_f32_e32 v1, v1
	ds_read_u16 v48, v4 offset:528
	ds_read_u16 v9, v243 offset:1056
	;; [unrolled: 1-line block ×3, first 2 shown]
	v_cvt_f32_f16_e32 v5, v5
	v_cvt_f32_f16_e32 v6, v6
	;; [unrolled: 1-line block ×4, first 2 shown]
	s_waitcnt lgkmcnt(0)
	v_perm_b32 v9, v49, v9, s46
	v_perm_b32 v8, v48, v8, s46
	v_accvgpr_write_b32 a0, v4
	v_accvgpr_write_b32 a1, v5
	;; [unrolled: 1-line block ×4, first 2 shown]
	v_cvt_f32_f16_sdwa v7, v45 dst_sel:DWORD dst_unused:UNUSED_PAD src0_sel:WORD_1
	s_nop 0
	v_mfma_f32_16x16x16f16 a[0:3], v[8:9], v[2:3], a[0:3]
	v_cvt_f32_f16_e32 v8, v44
	v_cvt_f32_f16_sdwa v9, v44 dst_sel:DWORD dst_unused:UNUSED_PAD src0_sel:WORD_1
	s_nop 7
	s_nop 0
	v_accvgpr_read_b32 v1, a0
	v_accvgpr_read_b32 v4, a1
	;; [unrolled: 1-line block ×4, first 2 shown]
	v_cvt_f16_f32_e32 v1, v1
	v_cvt_f16_f32_e32 v4, v4
	;; [unrolled: 1-line block ×4, first 2 shown]
	v_pack_b32_f16 v4, v1, v4
	v_pack_b32_f16 v1, v5, v6
	v_add_u32_e32 v5, v227, v224
	ds_read_u16 v5, v5 offset:528
	ds_read_u16 v48, v244 offset:1056
	v_cvt_f32_f16_e32 v6, v45
	s_waitcnt lgkmcnt(1)
	v_perm_b32 v44, v5, v47, s46
	s_waitcnt lgkmcnt(0)
	v_perm_b32 v45, v46, v48, s46
	v_accvgpr_write_b32 a0, v6
	v_accvgpr_write_b32 a1, v7
	;; [unrolled: 1-line block ×4, first 2 shown]
	s_nop 1
	v_mfma_f32_16x16x16f16 a[0:3], v[44:45], v[14:15], a[0:3]
	ds_read_u16 v44, v201 offset:16896
	s_nop 7
	s_nop 1
	v_accvgpr_read_b32 v6, a1
	v_cvt_f16_f32_e32 v7, v6
	v_accvgpr_read_b32 v6, a2
	v_cvt_f16_f32_e32 v8, v6
	;; [unrolled: 2-line block ×3, first 2 shown]
	v_add_u32_e32 v6, v184, v224
	v_accvgpr_read_b32 v5, a0
	ds_read_u16 v46, v6 offset:528
	ds_read_u16 v45, v203 offset:1056
	v_add_u32_e32 v6, v227, v225
	v_cvt_f16_f32_e32 v5, v5
	ds_read_u16 v47, v6 offset:16896
	v_cvt_f32_f16_e32 v7, v7
	v_cvt_f32_f16_e32 v8, v8
	;; [unrolled: 1-line block ×4, first 2 shown]
	s_waitcnt lgkmcnt(0)
	v_perm_b32 v45, v47, v45, s46
	v_perm_b32 v44, v46, v44, s46
	v_accvgpr_write_b32 a0, v6
	v_accvgpr_write_b32 a1, v7
	;; [unrolled: 1-line block ×4, first 2 shown]
	v_cvt_f32_f16_e32 v46, v42
	v_cvt_f32_f16_sdwa v47, v42 dst_sel:DWORD dst_unused:UNUSED_PAD src0_sel:WORD_1
	v_mfma_f32_16x16x16f16 a[0:3], v[44:45], v[2:3], a[0:3]
	v_cvt_f32_f16_e32 v44, v43
	v_cvt_f32_f16_sdwa v45, v43 dst_sel:DWORD dst_unused:UNUSED_PAD src0_sel:WORD_1
	s_nop 7
	s_nop 0
	v_accvgpr_read_b32 v5, a0
	v_accvgpr_read_b32 v6, a1
	;; [unrolled: 1-line block ×4, first 2 shown]
	v_cvt_f16_f32_e32 v5, v5
	v_cvt_f16_f32_e32 v6, v6
	;; [unrolled: 1-line block ×4, first 2 shown]
	v_accvgpr_write_b32 a0, v44
	v_pack_b32_f16 v6, v5, v6
	v_accvgpr_write_b32 a1, v45
	v_pack_b32_f16 v5, v7, v8
	v_add_u32_e32 v8, v228, v224
	ds_read_u16 v7, v169 offset:64
	ds_read_u16 v8, v8 offset:528
	;; [unrolled: 1-line block ×4, first 2 shown]
	v_accvgpr_write_b32 a2, v46
	v_accvgpr_write_b32 a3, v47
	ds_read_u16 v46, v207 offset:16896
	s_waitcnt lgkmcnt(3)
	v_perm_b32 v8, v8, v7, s46
	s_waitcnt lgkmcnt(1)
	v_perm_b32 v9, v48, v9, s46
	s_nop 1
	v_mfma_f32_16x16x16f16 a[0:3], v[8:9], v[14:15], a[0:3]
	s_nop 7
	s_nop 2
	v_accvgpr_read_b32 v42, a3
	v_cvt_f16_f32_e32 v45, v42
	v_add_u32_e32 v42, v185, v224
	v_accvgpr_read_b32 v7, a0
	ds_read_u16 v47, v42 offset:528
	ds_read_u16 v48, v216 offset:1056
	v_add_u32_e32 v42, v228, v225
	v_cvt_f16_f32_e32 v7, v7
	v_accvgpr_read_b32 v8, a1
	v_accvgpr_read_b32 v9, a2
	ds_read_u16 v49, v42 offset:16896
	v_cvt_f16_f32_e32 v8, v8
	v_cvt_f16_f32_e32 v9, v9
	v_cvt_f32_f16_e32 v42, v7
	v_cvt_f32_f16_e32 v45, v45
	v_cvt_f32_f16_e32 v43, v8
	v_cvt_f32_f16_e32 v44, v9
	s_waitcnt lgkmcnt(0)
	v_perm_b32 v9, v49, v48, s46
	v_perm_b32 v8, v47, v46, s46
	v_accvgpr_write_b32 a0, v42
	v_accvgpr_write_b32 a1, v43
	;; [unrolled: 1-line block ×4, first 2 shown]
	v_cvt_f32_f16_sdwa v43, v41 dst_sel:DWORD dst_unused:UNUSED_PAD src0_sel:WORD_1
	v_cvt_f32_f16_e32 v44, v12
	v_mfma_f32_16x16x16f16 a[0:3], v[8:9], v[2:3], a[0:3]
	v_cvt_f32_f16_sdwa v45, v12 dst_sel:DWORD dst_unused:UNUSED_PAD src0_sel:WORD_1
	s_nop 7
	s_nop 1
	v_accvgpr_read_b32 v7, a0
	v_accvgpr_read_b32 v8, a1
	;; [unrolled: 1-line block ×4, first 2 shown]
	v_cvt_f16_f32_e32 v7, v7
	v_cvt_f16_f32_e32 v8, v8
	;; [unrolled: 1-line block ×4, first 2 shown]
	v_pack_b32_f16 v8, v7, v8
	v_pack_b32_f16 v7, v9, v42
	v_add_u32_e32 v42, v229, v224
	ds_read_u16 v9, v169 offset:96
	ds_read_u16 v46, v42 offset:528
	;; [unrolled: 1-line block ×4, first 2 shown]
	v_cvt_f32_f16_e32 v42, v41
	s_waitcnt lgkmcnt(2)
	v_perm_b32 v46, v46, v9, s46
	s_waitcnt lgkmcnt(0)
	v_perm_b32 v47, v48, v47, s46
	v_accvgpr_write_b32 a0, v42
	v_accvgpr_write_b32 a1, v43
	;; [unrolled: 1-line block ×4, first 2 shown]
	s_nop 1
	v_mfma_f32_16x16x16f16 a[0:3], v[46:47], v[14:15], a[0:3]
	ds_read_u16 v46, v219 offset:16896
	s_nop 7
	s_nop 1
	v_accvgpr_read_b32 v42, a3
	v_cvt_f16_f32_e32 v45, v42
	v_add_u32_e32 v42, v186, v224
	v_accvgpr_read_b32 v9, a0
	ds_read_u16 v48, v42 offset:528
	ds_read_u16 v47, v221 offset:1056
	v_add_u32_e32 v42, v229, v225
	v_cvt_f16_f32_e32 v9, v9
	v_accvgpr_read_b32 v12, a1
	v_accvgpr_read_b32 v41, a2
	ds_read_u16 v49, v42 offset:16896
	v_cvt_f16_f32_e32 v12, v12
	v_cvt_f16_f32_e32 v41, v41
	v_cvt_f32_f16_e32 v42, v9
	v_cvt_f32_f16_e32 v45, v45
	;; [unrolled: 1-line block ×4, first 2 shown]
	s_waitcnt lgkmcnt(0)
	v_perm_b32 v47, v49, v47, s46
	v_perm_b32 v46, v48, v46, s46
	v_accvgpr_write_b32 a0, v42
	v_accvgpr_write_b32 a1, v43
	v_accvgpr_write_b32 a2, v44
	v_accvgpr_write_b32 a3, v45
	v_cvt_f32_f16_sdwa v43, v16 dst_sel:DWORD dst_unused:UNUSED_PAD src0_sel:WORD_1
	v_cvt_f32_f16_e32 v44, v13
	v_mfma_f32_16x16x16f16 a[0:3], v[46:47], v[2:3], a[0:3]
	v_cvt_f32_f16_sdwa v45, v13 dst_sel:DWORD dst_unused:UNUSED_PAD src0_sel:WORD_1
	s_nop 7
	s_nop 1
	v_accvgpr_read_b32 v9, a0
	v_accvgpr_read_b32 v12, a1
	;; [unrolled: 1-line block ×4, first 2 shown]
	v_cvt_f16_f32_e32 v9, v9
	v_cvt_f16_f32_e32 v12, v12
	;; [unrolled: 1-line block ×4, first 2 shown]
	v_pack_b32_f16 v12, v9, v12
	v_pack_b32_f16 v9, v41, v42
	v_add_u32_e32 v42, v230, v224
	ds_read_u16 v41, v169 offset:128
	ds_read_u16 v46, v42 offset:528
	;; [unrolled: 1-line block ×4, first 2 shown]
	v_cvt_f32_f16_e32 v42, v16
	s_waitcnt lgkmcnt(2)
	v_perm_b32 v46, v46, v41, s46
	s_waitcnt lgkmcnt(0)
	v_perm_b32 v47, v48, v47, s46
	v_accvgpr_write_b32 a0, v42
	v_accvgpr_write_b32 a1, v43
	;; [unrolled: 1-line block ×4, first 2 shown]
	s_nop 1
	v_mfma_f32_16x16x16f16 a[0:3], v[46:47], v[14:15], a[0:3]
	ds_read_u16 v46, v223 offset:16896
	s_nop 7
	s_nop 1
	v_accvgpr_read_b32 v42, a3
	v_cvt_f16_f32_e32 v45, v42
	v_add_u32_e32 v42, v187, v224
	ds_read_u16 v48, v42 offset:528
	v_accvgpr_read_b32 v42, a42
	v_accvgpr_read_b32 v13, a0
	ds_read_u16 v47, v42 offset:1056
	v_add_u32_e32 v42, v230, v225
	v_cvt_f16_f32_e32 v13, v13
	v_accvgpr_read_b32 v16, a1
	v_accvgpr_read_b32 v41, a2
	ds_read_u16 v49, v42 offset:16896
	v_cvt_f16_f32_e32 v16, v16
	v_cvt_f16_f32_e32 v41, v41
	v_cvt_f32_f16_e32 v42, v13
	v_cvt_f32_f16_e32 v45, v45
	v_cvt_f32_f16_e32 v43, v16
	v_cvt_f32_f16_e32 v44, v41
	s_waitcnt lgkmcnt(0)
	v_perm_b32 v47, v49, v47, s46
	v_perm_b32 v46, v48, v46, s46
	v_accvgpr_write_b32 a0, v42
	v_accvgpr_write_b32 a1, v43
	;; [unrolled: 1-line block ×4, first 2 shown]
	v_cvt_f32_f16_sdwa v43, v18 dst_sel:DWORD dst_unused:UNUSED_PAD src0_sel:WORD_1
	v_cvt_f32_f16_e32 v44, v17
	v_mfma_f32_16x16x16f16 a[0:3], v[46:47], v[2:3], a[0:3]
	v_cvt_f32_f16_sdwa v45, v17 dst_sel:DWORD dst_unused:UNUSED_PAD src0_sel:WORD_1
	s_nop 7
	s_nop 1
	v_accvgpr_read_b32 v13, a0
	v_accvgpr_read_b32 v16, a1
	;; [unrolled: 1-line block ×4, first 2 shown]
	v_cvt_f16_f32_e32 v13, v13
	v_cvt_f16_f32_e32 v16, v16
	;; [unrolled: 1-line block ×4, first 2 shown]
	v_pack_b32_f16 v16, v13, v16
	v_pack_b32_f16 v13, v41, v42
	v_add_u32_e32 v42, v231, v224
	ds_read_u16 v41, v169 offset:160
	ds_read_u16 v46, v42 offset:528
	;; [unrolled: 1-line block ×4, first 2 shown]
	v_cvt_f32_f16_e32 v42, v18
	s_waitcnt lgkmcnt(2)
	v_perm_b32 v46, v46, v41, s46
	s_waitcnt lgkmcnt(0)
	v_perm_b32 v47, v48, v47, s46
	v_accvgpr_write_b32 a0, v42
	v_accvgpr_write_b32 a1, v43
	;; [unrolled: 1-line block ×4, first 2 shown]
	s_nop 1
	v_mfma_f32_16x16x16f16 a[0:3], v[46:47], v[14:15], a[0:3]
	s_nop 7
	s_nop 2
	v_accvgpr_read_b32 v42, a3
	v_cvt_f16_f32_e32 v45, v42
	v_accvgpr_read_b32 v42, a43
	ds_read_u16 v46, v42 offset:16896
	v_add_u32_e32 v42, v204, v224
	ds_read_u16 v48, v42 offset:528
	v_accvgpr_read_b32 v42, a44
	v_accvgpr_read_b32 v17, a0
	ds_read_u16 v47, v42 offset:1056
	v_add_u32_e32 v42, v231, v225
	v_cvt_f16_f32_e32 v17, v17
	v_accvgpr_read_b32 v18, a1
	v_accvgpr_read_b32 v41, a2
	ds_read_u16 v49, v42 offset:16896
	v_cvt_f16_f32_e32 v18, v18
	v_cvt_f16_f32_e32 v41, v41
	v_cvt_f32_f16_e32 v42, v17
	v_cvt_f32_f16_e32 v45, v45
	;; [unrolled: 1-line block ×4, first 2 shown]
	s_waitcnt lgkmcnt(0)
	v_perm_b32 v47, v49, v47, s46
	v_perm_b32 v46, v48, v46, s46
	v_accvgpr_write_b32 a0, v42
	v_accvgpr_write_b32 a1, v43
	;; [unrolled: 1-line block ×4, first 2 shown]
	v_cvt_f32_f16_sdwa v43, v20 dst_sel:DWORD dst_unused:UNUSED_PAD src0_sel:WORD_1
	v_cvt_f32_f16_e32 v44, v19
	v_mfma_f32_16x16x16f16 a[0:3], v[46:47], v[2:3], a[0:3]
	v_cvt_f32_f16_sdwa v45, v19 dst_sel:DWORD dst_unused:UNUSED_PAD src0_sel:WORD_1
	s_nop 7
	s_nop 1
	v_accvgpr_read_b32 v17, a0
	v_accvgpr_read_b32 v18, a1
	;; [unrolled: 1-line block ×4, first 2 shown]
	v_cvt_f16_f32_e32 v17, v17
	v_cvt_f16_f32_e32 v18, v18
	;; [unrolled: 1-line block ×4, first 2 shown]
	v_pack_b32_f16 v18, v17, v18
	v_pack_b32_f16 v17, v41, v42
	v_add_u32_e32 v42, v232, v224
	ds_read_u16 v41, v169 offset:192
	ds_read_u16 v46, v42 offset:528
	;; [unrolled: 1-line block ×4, first 2 shown]
	v_cvt_f32_f16_e32 v42, v20
	s_waitcnt lgkmcnt(2)
	v_perm_b32 v46, v46, v41, s46
	s_waitcnt lgkmcnt(0)
	v_perm_b32 v47, v48, v47, s46
	v_accvgpr_write_b32 a0, v42
	v_accvgpr_write_b32 a1, v43
	;; [unrolled: 1-line block ×4, first 2 shown]
	s_nop 1
	v_mfma_f32_16x16x16f16 a[0:3], v[46:47], v[14:15], a[0:3]
	s_nop 7
	s_nop 2
	v_accvgpr_read_b32 v42, a3
	v_cvt_f16_f32_e32 v45, v42
	v_accvgpr_read_b32 v42, a45
	ds_read_u16 v46, v42 offset:16896
	v_add_u32_e32 v42, v215, v224
	ds_read_u16 v48, v42 offset:528
	v_accvgpr_read_b32 v42, a46
	v_accvgpr_read_b32 v19, a0
	ds_read_u16 v47, v42 offset:1056
	v_add_u32_e32 v42, v232, v225
	v_cvt_f16_f32_e32 v19, v19
	v_accvgpr_read_b32 v20, a1
	v_accvgpr_read_b32 v41, a2
	ds_read_u16 v49, v42 offset:16896
	v_cvt_f16_f32_e32 v20, v20
	v_cvt_f16_f32_e32 v41, v41
	v_cvt_f32_f16_e32 v42, v19
	v_cvt_f32_f16_e32 v45, v45
	;; [unrolled: 1-line block ×4, first 2 shown]
	s_waitcnt lgkmcnt(0)
	v_perm_b32 v47, v49, v47, s46
	v_perm_b32 v46, v48, v46, s46
	v_accvgpr_write_b32 a0, v42
	v_accvgpr_write_b32 a1, v43
	;; [unrolled: 1-line block ×4, first 2 shown]
	v_cvt_f32_f16_sdwa v43, v22 dst_sel:DWORD dst_unused:UNUSED_PAD src0_sel:WORD_1
	v_cvt_f32_f16_e32 v44, v21
	v_mfma_f32_16x16x16f16 a[0:3], v[46:47], v[2:3], a[0:3]
	v_cvt_f32_f16_sdwa v45, v21 dst_sel:DWORD dst_unused:UNUSED_PAD src0_sel:WORD_1
	s_nop 7
	s_nop 1
	v_accvgpr_read_b32 v19, a0
	v_accvgpr_read_b32 v20, a1
	;; [unrolled: 1-line block ×4, first 2 shown]
	v_cvt_f16_f32_e32 v19, v19
	v_cvt_f16_f32_e32 v20, v20
	;; [unrolled: 1-line block ×4, first 2 shown]
	v_pack_b32_f16 v20, v19, v20
	v_pack_b32_f16 v19, v41, v42
	v_add_u32_e32 v42, v233, v224
	ds_read_u16 v41, v169 offset:224
	ds_read_u16 v46, v42 offset:528
	;; [unrolled: 1-line block ×4, first 2 shown]
	v_cvt_f32_f16_e32 v42, v22
	s_waitcnt lgkmcnt(2)
	v_perm_b32 v46, v46, v41, s46
	s_waitcnt lgkmcnt(0)
	v_perm_b32 v47, v48, v47, s46
	v_accvgpr_write_b32 a0, v42
	v_accvgpr_write_b32 a1, v43
	;; [unrolled: 1-line block ×4, first 2 shown]
	v_add_u32_e32 v44, v163, v224
	v_accvgpr_read_b32 v45, a48
	v_mfma_f32_16x16x16f16 a[0:3], v[46:47], v[14:15], a[0:3]
	v_add_u32_e32 v46, v233, v225
	ds_read_u16 v44, v44 offset:528
	ds_read_u16 v45, v45 offset:1056
	;; [unrolled: 1-line block ×3, first 2 shown]
	s_nop 6
	v_accvgpr_read_b32 v42, a3
	v_accvgpr_read_b32 v21, a0
	v_cvt_f16_f32_e32 v43, v42
	v_accvgpr_read_b32 v42, a47
	v_cvt_f16_f32_e32 v21, v21
	v_accvgpr_read_b32 v22, a1
	v_accvgpr_read_b32 v41, a2
	ds_read_u16 v42, v42 offset:16896
	v_cvt_f16_f32_e32 v22, v22
	v_cvt_f16_f32_e32 v41, v41
	v_cvt_f32_f16_e32 v46, v21
	v_cvt_f32_f16_e32 v49, v43
	;; [unrolled: 1-line block ×4, first 2 shown]
	s_waitcnt lgkmcnt(1)
	v_perm_b32 v43, v50, v45, s46
	s_waitcnt lgkmcnt(0)
	v_perm_b32 v42, v44, v42, s46
	v_accvgpr_write_b32 a0, v46
	v_accvgpr_write_b32 a1, v47
	;; [unrolled: 1-line block ×4, first 2 shown]
	v_cvt_f32_f16_e32 v44, v23
	v_cvt_f32_f16_sdwa v45, v23 dst_sel:DWORD dst_unused:UNUSED_PAD src0_sel:WORD_1
	v_mfma_f32_16x16x16f16 a[0:3], v[42:43], v[2:3], a[0:3]
	v_cvt_f32_f16_sdwa v43, v24 dst_sel:DWORD dst_unused:UNUSED_PAD src0_sel:WORD_1
	s_nop 7
	s_nop 1
	v_accvgpr_read_b32 v21, a0
	v_accvgpr_read_b32 v22, a1
	;; [unrolled: 1-line block ×4, first 2 shown]
	v_cvt_f16_f32_e32 v21, v21
	v_cvt_f16_f32_e32 v22, v22
	;; [unrolled: 1-line block ×4, first 2 shown]
	v_pack_b32_f16 v22, v21, v22
	v_pack_b32_f16 v21, v41, v42
	v_add_u32_e32 v42, v234, v224
	ds_read_u16 v41, v169 offset:256
	ds_read_u16 v46, v42 offset:528
	;; [unrolled: 1-line block ×4, first 2 shown]
	v_cvt_f32_f16_e32 v42, v24
	s_waitcnt lgkmcnt(2)
	v_perm_b32 v46, v46, v41, s46
	s_waitcnt lgkmcnt(0)
	v_perm_b32 v47, v48, v47, s46
	v_accvgpr_write_b32 a0, v42
	v_accvgpr_write_b32 a1, v43
	;; [unrolled: 1-line block ×4, first 2 shown]
	s_nop 1
	v_mfma_f32_16x16x16f16 a[0:3], v[46:47], v[14:15], a[0:3]
	s_nop 7
	s_nop 2
	v_accvgpr_read_b32 v42, a3
	v_cvt_f16_f32_e32 v45, v42
	v_accvgpr_read_b32 v42, a49
	ds_read_u16 v46, v42 offset:16896
	v_add_u32_e32 v42, v164, v224
	ds_read_u16 v48, v42 offset:528
	v_accvgpr_read_b32 v42, a50
	v_accvgpr_read_b32 v23, a0
	ds_read_u16 v47, v42 offset:1056
	v_add_u32_e32 v42, v234, v225
	v_cvt_f16_f32_e32 v23, v23
	v_accvgpr_read_b32 v24, a1
	v_accvgpr_read_b32 v41, a2
	ds_read_u16 v49, v42 offset:16896
	v_cvt_f16_f32_e32 v24, v24
	v_cvt_f16_f32_e32 v41, v41
	v_cvt_f32_f16_e32 v42, v23
	v_cvt_f32_f16_e32 v45, v45
	;; [unrolled: 1-line block ×4, first 2 shown]
	s_waitcnt lgkmcnt(0)
	v_perm_b32 v47, v49, v47, s46
	v_perm_b32 v46, v48, v46, s46
	v_accvgpr_write_b32 a0, v42
	v_accvgpr_write_b32 a1, v43
	;; [unrolled: 1-line block ×4, first 2 shown]
	v_cvt_f32_f16_sdwa v43, v26 dst_sel:DWORD dst_unused:UNUSED_PAD src0_sel:WORD_1
	v_cvt_f32_f16_e32 v44, v25
	v_mfma_f32_16x16x16f16 a[0:3], v[46:47], v[2:3], a[0:3]
	v_cvt_f32_f16_sdwa v45, v25 dst_sel:DWORD dst_unused:UNUSED_PAD src0_sel:WORD_1
	s_nop 7
	s_nop 1
	v_accvgpr_read_b32 v23, a0
	v_accvgpr_read_b32 v24, a1
	;; [unrolled: 1-line block ×4, first 2 shown]
	v_cvt_f16_f32_e32 v23, v23
	v_cvt_f16_f32_e32 v24, v24
	;; [unrolled: 1-line block ×4, first 2 shown]
	v_pack_b32_f16 v24, v23, v24
	v_pack_b32_f16 v23, v41, v42
	v_add_u32_e32 v42, v235, v224
	ds_read_u16 v41, v169 offset:288
	ds_read_u16 v46, v42 offset:528
	;; [unrolled: 1-line block ×4, first 2 shown]
	v_cvt_f32_f16_e32 v42, v26
	s_waitcnt lgkmcnt(2)
	v_perm_b32 v46, v46, v41, s46
	s_waitcnt lgkmcnt(0)
	v_perm_b32 v47, v48, v47, s46
	v_accvgpr_write_b32 a0, v42
	v_accvgpr_write_b32 a1, v43
	;; [unrolled: 1-line block ×4, first 2 shown]
	s_nop 1
	v_mfma_f32_16x16x16f16 a[0:3], v[46:47], v[14:15], a[0:3]
	ds_read_u16 v46, v175 offset:16896
	s_nop 7
	s_nop 1
	v_accvgpr_read_b32 v42, a3
	v_cvt_f16_f32_e32 v45, v42
	v_add_u32_e32 v42, v165, v224
	ds_read_u16 v48, v42 offset:528
	v_accvgpr_read_b32 v42, a51
	v_accvgpr_read_b32 v25, a0
	ds_read_u16 v47, v42 offset:1056
	v_add_u32_e32 v42, v235, v225
	v_cvt_f16_f32_e32 v25, v25
	v_accvgpr_read_b32 v26, a1
	v_accvgpr_read_b32 v41, a2
	ds_read_u16 v49, v42 offset:16896
	v_cvt_f16_f32_e32 v26, v26
	v_cvt_f16_f32_e32 v41, v41
	v_cvt_f32_f16_e32 v42, v25
	v_cvt_f32_f16_e32 v45, v45
	v_cvt_f32_f16_e32 v43, v26
	v_cvt_f32_f16_e32 v44, v41
	s_waitcnt lgkmcnt(0)
	v_perm_b32 v47, v49, v47, s46
	v_perm_b32 v46, v48, v46, s46
	v_accvgpr_write_b32 a0, v42
	v_accvgpr_write_b32 a1, v43
	v_accvgpr_write_b32 a2, v44
	v_accvgpr_write_b32 a3, v45
	v_cvt_f32_f16_sdwa v43, v28 dst_sel:DWORD dst_unused:UNUSED_PAD src0_sel:WORD_1
	v_cvt_f32_f16_e32 v44, v27
	v_mfma_f32_16x16x16f16 a[0:3], v[46:47], v[2:3], a[0:3]
	v_cvt_f32_f16_sdwa v45, v27 dst_sel:DWORD dst_unused:UNUSED_PAD src0_sel:WORD_1
	s_nop 7
	s_nop 1
	v_accvgpr_read_b32 v25, a0
	v_accvgpr_read_b32 v26, a1
	v_accvgpr_read_b32 v41, a2
	v_accvgpr_read_b32 v42, a3
	v_cvt_f16_f32_e32 v25, v25
	v_cvt_f16_f32_e32 v26, v26
	v_cvt_f16_f32_e32 v41, v41
	v_cvt_f16_f32_e32 v42, v42
	v_pack_b32_f16 v26, v25, v26
	v_pack_b32_f16 v25, v41, v42
	v_add_u32_e32 v42, v236, v224
	ds_read_u16 v41, v169 offset:320
	ds_read_u16 v46, v42 offset:528
	ds_read_u16 v47, v253 offset:1056
	ds_read_u16 v48, v40 offset:320
	v_cvt_f32_f16_e32 v42, v28
	s_waitcnt lgkmcnt(2)
	v_perm_b32 v46, v46, v41, s46
	s_waitcnt lgkmcnt(0)
	v_perm_b32 v47, v48, v47, s46
	v_accvgpr_write_b32 a0, v42
	v_accvgpr_write_b32 a1, v43
	v_accvgpr_write_b32 a2, v44
	v_accvgpr_write_b32 a3, v45
	s_nop 1
	v_mfma_f32_16x16x16f16 a[0:3], v[46:47], v[14:15], a[0:3]
	ds_read_u16 v46, v188 offset:16896
	s_nop 7
	s_nop 1
	v_accvgpr_read_b32 v42, a3
	v_cvt_f16_f32_e32 v45, v42
	v_add_u32_e32 v42, v166, v224
	v_accvgpr_read_b32 v27, a0
	ds_read_u16 v48, v42 offset:528
	ds_read_u16 v47, v189 offset:1056
	v_add_u32_e32 v42, v236, v225
	v_cvt_f16_f32_e32 v27, v27
	v_accvgpr_read_b32 v28, a1
	v_accvgpr_read_b32 v41, a2
	ds_read_u16 v49, v42 offset:16896
	v_cvt_f16_f32_e32 v28, v28
	v_cvt_f16_f32_e32 v41, v41
	v_cvt_f32_f16_e32 v42, v27
	v_cvt_f32_f16_e32 v45, v45
	v_cvt_f32_f16_e32 v43, v28
	v_cvt_f32_f16_e32 v44, v41
	s_waitcnt lgkmcnt(0)
	v_perm_b32 v47, v49, v47, s46
	v_perm_b32 v46, v48, v46, s46
	v_accvgpr_write_b32 a0, v42
	v_accvgpr_write_b32 a1, v43
	v_accvgpr_write_b32 a2, v44
	v_accvgpr_write_b32 a3, v45
	v_cvt_f32_f16_sdwa v43, v30 dst_sel:DWORD dst_unused:UNUSED_PAD src0_sel:WORD_1
	v_cvt_f32_f16_e32 v44, v29
	v_mfma_f32_16x16x16f16 a[0:3], v[46:47], v[2:3], a[0:3]
	v_cvt_f32_f16_sdwa v45, v29 dst_sel:DWORD dst_unused:UNUSED_PAD src0_sel:WORD_1
	s_nop 7
	s_nop 1
	v_accvgpr_read_b32 v27, a0
	v_accvgpr_read_b32 v28, a1
	v_accvgpr_read_b32 v41, a2
	v_accvgpr_read_b32 v42, a3
	v_cvt_f16_f32_e32 v27, v27
	v_cvt_f16_f32_e32 v28, v28
	v_cvt_f16_f32_e32 v41, v41
	v_cvt_f16_f32_e32 v42, v42
	v_pack_b32_f16 v28, v27, v28
	v_pack_b32_f16 v27, v41, v42
	v_add_u32_e32 v42, v237, v224
	ds_read_u16 v41, v169 offset:352
	ds_read_u16 v46, v42 offset:528
	ds_read_u16 v47, v214 offset:1056
	ds_read_u16 v48, v40 offset:352
	v_cvt_f32_f16_e32 v42, v30
	s_waitcnt lgkmcnt(2)
	v_perm_b32 v46, v46, v41, s46
	s_waitcnt lgkmcnt(0)
	v_perm_b32 v47, v48, v47, s46
	v_accvgpr_write_b32 a0, v42
	v_accvgpr_write_b32 a1, v43
	v_accvgpr_write_b32 a2, v44
	v_accvgpr_write_b32 a3, v45
	s_nop 1
	v_mfma_f32_16x16x16f16 a[0:3], v[46:47], v[14:15], a[0:3]
	ds_read_u16 v46, v190 offset:16896
	s_nop 7
	s_nop 1
	v_accvgpr_read_b32 v42, a3
	v_cvt_f16_f32_e32 v45, v42
	v_add_u32_e32 v42, v167, v224
	v_accvgpr_read_b32 v29, a0
	ds_read_u16 v48, v42 offset:528
	;; [unrolled: 59-line block ×5, first 2 shown]
	ds_read_u16 v47, v197 offset:1056
	v_add_u32_e32 v42, v240, v225
	v_cvt_f16_f32_e32 v35, v35
	v_accvgpr_read_b32 v36, a1
	v_accvgpr_read_b32 v41, a2
	ds_read_u16 v49, v42 offset:16896
	v_cvt_f16_f32_e32 v36, v36
	v_cvt_f16_f32_e32 v41, v41
	v_cvt_f32_f16_e32 v42, v35
	v_cvt_f32_f16_e32 v45, v45
	;; [unrolled: 1-line block ×4, first 2 shown]
	s_waitcnt lgkmcnt(0)
	v_perm_b32 v47, v49, v47, s46
	v_perm_b32 v46, v48, v46, s46
	v_accvgpr_write_b32 a0, v42
	v_accvgpr_write_b32 a1, v43
	;; [unrolled: 1-line block ×4, first 2 shown]
	v_cvt_f32_f16_e32 v44, v39
	v_cvt_f32_f16_sdwa v45, v39 dst_sel:DWORD dst_unused:UNUSED_PAD src0_sel:WORD_1
	v_mfma_f32_16x16x16f16 a[0:3], v[46:47], v[2:3], a[0:3]
	v_cvt_f32_f16_e32 v46, v0
	v_cvt_f32_f16_sdwa v47, v0 dst_sel:DWORD dst_unused:UNUSED_PAD src0_sel:WORD_1
	s_nop 7
	s_nop 0
	v_accvgpr_read_b32 v35, a0
	v_accvgpr_read_b32 v36, a1
	;; [unrolled: 1-line block ×4, first 2 shown]
	v_cvt_f16_f32_e32 v35, v35
	v_cvt_f16_f32_e32 v36, v36
	;; [unrolled: 1-line block ×4, first 2 shown]
	v_accvgpr_write_b32 a0, v44
	v_pack_b32_f16 v36, v35, v36
	v_accvgpr_write_b32 a1, v45
	v_pack_b32_f16 v35, v41, v42
	v_add_u32_e32 v42, v241, v224
	ds_read_u16 v41, v169 offset:480
	ds_read_u16 v42, v42 offset:528
	;; [unrolled: 1-line block ×4, first 2 shown]
	v_accvgpr_write_b32 a2, v46
	v_accvgpr_write_b32 a3, v47
	s_waitcnt lgkmcnt(2)
	v_perm_b32 v42, v42, v41, s46
	s_waitcnt lgkmcnt(0)
	v_perm_b32 v43, v40, v43, s46
	v_add_u32_e32 v41, v172, v224
	s_nop 0
	v_mfma_f32_16x16x16f16 a[0:3], v[42:43], v[14:15], a[0:3]
	v_add_u32_e32 v42, v241, v225
	s_nop 7
	s_nop 1
	v_accvgpr_read_b32 v0, a0
	v_cvt_f16_f32_e32 v14, v0
	v_accvgpr_read_b32 v0, a1
	v_cvt_f16_f32_e32 v15, v0
	;; [unrolled: 2-line block ×4, first 2 shown]
	ds_read_u16 v0, v198 offset:16896
	ds_read_u16 v41, v41 offset:528
	;; [unrolled: 1-line block ×4, first 2 shown]
	v_cvt_f32_f16_e32 v42, v14
	v_cvt_f32_f16_e32 v43, v15
	v_cvt_f32_f16_e32 v44, v39
	v_cvt_f32_f16_e32 v45, v40
	s_waitcnt lgkmcnt(0)
	v_perm_b32 v15, v47, v46, s46
	v_perm_b32 v14, v41, v0, s46
	v_accvgpr_write_b32 a0, v42
	v_accvgpr_write_b32 a1, v43
	;; [unrolled: 1-line block ×4, first 2 shown]
	s_barrier
	s_nop 0
	v_mfma_f32_16x16x16f16 a[0:3], v[14:15], v[2:3], a[0:3]
	s_nop 7
	s_nop 2
	v_accvgpr_read_b32 v0, a0
	v_accvgpr_read_b32 v2, a1
	v_cvt_f16_f32_e32 v0, v0
	v_cvt_f16_f32_e32 v2, v2
	v_accvgpr_read_b32 v3, a2
	v_accvgpr_read_b32 v14, a3
	v_cvt_f16_f32_e32 v3, v3
	v_pack_b32_f16 v2, v0, v2
	ds_bpermute_b32 v0, v11, v38
	v_cvt_f16_f32_e32 v14, v14
	s_waitcnt lgkmcnt(0)
	v_add_f32_e32 v0, v38, v0
	ds_bpermute_b32 v11, v37, v0
	v_pack_b32_f16 v3, v3, v14
	s_waitcnt lgkmcnt(0)
	v_add_f32_e32 v11, v0, v11
	s_and_saveexec_b64 s[50:51], s[48:49]
	s_xor_b64 s[48:49], exec, s[50:51]
	s_or_saveexec_b64 s[48:49], s[48:49]
	v_readlane_b32 s50, v255, 39
	v_readlane_b32 s76, v255, 21
	s_mov_b32 s80, s50
	v_readlane_b32 s92, v255, 41
	s_mov_b32 s66, s93
	v_readlane_b32 s77, v255, 22
	v_readlane_b32 s78, v255, 23
	;; [unrolled: 1-line block ×4, first 2 shown]
	s_xor_b64 exec, exec, s[48:49]
	s_cbranch_execz .LBB30_151
; %bb.150:                              ;   in Loop: Header=BB30_16 Depth=1
	global_load_dword v0, v125, s[64:65]
	v_max_f32_e32 v15, v10, v10
	s_waitcnt vmcnt(0)
	v_max_f32_e32 v14, v0, v0
	v_max_f32_e32 v14, v15, v14
	v_sub_f32_e32 v10, v10, v14
	v_mul_f32_e32 v15, 0x3fb8aa3b, v10
	v_fma_f32 v38, v10, s88, -v15
	v_rndne_f32_e32 v39, v15
	v_fmac_f32_e32 v38, 0x32a5705f, v10
	v_sub_f32_e32 v15, v15, v39
	v_add_f32_e32 v15, v15, v38
	v_exp_f32_e32 v15, v15
	v_cvt_i32_f32_e32 v38, v39
	v_cmp_ngt_f32_e32 vcc, s89, v10
	v_sub_f32_e32 v0, v0, v14
	v_ldexp_f32 v15, v15, v38
	v_cndmask_b32_e32 v15, 0, v15, vcc
	v_cmp_nlt_f32_e32 vcc, s85, v10
	v_cndmask_b32_e32 v15, v144, v15, vcc
	v_cmp_le_f32_e32 vcc, s81, v10
	v_cndmask_b32_e32 v10, 0, v15, vcc
	v_cvt_f16_f32_e32 v15, v10
	v_cmp_ngt_f32_e32 vcc, s89, v0
	v_pk_mul_f16 v4, v15, v4 op_sel_hi:[0,1]
	v_pk_mul_f16 v1, v15, v1 op_sel_hi:[0,1]
	;; [unrolled: 1-line block ×32, first 2 shown]
	v_mul_f32_e32 v15, 0x3fb8aa3b, v0
	v_fma_f32 v38, v0, s88, -v15
	v_rndne_f32_e32 v39, v15
	v_fmac_f32_e32 v38, 0x32a5705f, v0
	v_sub_f32_e32 v15, v15, v39
	v_add_f32_e32 v15, v15, v38
	v_exp_f32_e32 v15, v15
	v_cvt_i32_f32_e32 v38, v39
	v_ldexp_f32 v15, v15, v38
	v_cndmask_b32_e32 v15, 0, v15, vcc
	v_cmp_nlt_f32_e32 vcc, s85, v0
	v_cndmask_b32_e32 v15, v144, v15, vcc
	v_fmac_f32_e32 v15, v11, v10
	v_pk_mov_b32 v[10:11], v[14:15], v[14:15] op_sel:[0,1]
.LBB30_151:                             ;   in Loop: Header=BB30_16 Depth=1
	s_or_b64 exec, exec, s[48:49]
	s_mov_b64 s[48:49], exec
	v_readlane_b32 s50, v255, 13
	v_readlane_b32 s51, v255, 14
	s_and_b64 s[50:51], s[48:49], s[50:51]
	s_mov_b64 exec, s[50:51]
	s_cbranch_execz .LBB30_153
; %bb.152:                              ;   in Loop: Header=BB30_16 Depth=1
	v_accvgpr_read_b32 v0, a77
	v_add_u32_e32 v0, 0, v0
	ds_write2_b32 v0, v10, v11 offset0:128 offset1:129
.LBB30_153:                             ;   in Loop: Header=BB30_16 Depth=1
	s_or_b64 exec, exec, s[48:49]
	s_waitcnt lgkmcnt(0)
	s_barrier
	s_mov_b64 s[48:49], exec
	v_readlane_b32 s50, v255, 11
	v_readlane_b32 s51, v255, 12
	s_and_b64 s[50:51], s[48:49], s[50:51]
	s_xor_b64 s[48:49], s[50:51], s[48:49]
	s_mov_b64 exec, s[50:51]
	s_cbranch_execz .LBB30_155
; %bb.154:                              ;   in Loop: Header=BB30_16 Depth=1
	s_barrier
	s_waitcnt lgkmcnt(0)
                                        ; implicit-def: $vgpr37
.LBB30_155:                             ;   in Loop: Header=BB30_16 Depth=1
	s_andn2_saveexec_b64 s[48:49], s[48:49]
	s_cbranch_execz .LBB30_161
; %bb.156:                              ;   in Loop: Header=BB30_16 Depth=1
	v_accvgpr_read_b32 v0, a78
	v_add_u32_e32 v0, 0, v0
	ds_read_b64 v[38:39], v0 offset:512
	s_waitcnt lgkmcnt(0)
	s_barrier
	ds_bpermute_b32 v10, v37, v38
	v_max_f32_e32 v11, v38, v38
	s_waitcnt lgkmcnt(0)
	v_max_f32_e32 v10, v10, v10
	v_max_f32_e32 v10, v11, v10
	v_sub_f32_e32 v11, v38, v10
	v_mul_f32_e32 v14, 0x3fb8aa3b, v11
	v_fma_f32 v15, v11, s88, -v14
	v_rndne_f32_e32 v38, v14
	v_fmac_f32_e32 v15, 0x32a5705f, v11
	v_sub_f32_e32 v14, v14, v38
	v_add_f32_e32 v14, v14, v15
	v_cvt_i32_f32_e32 v38, v38
	v_exp_f32_e32 v14, v14
	v_cmp_ngt_f32_e32 vcc, s89, v11
	v_ldexp_f32 v14, v14, v38
	v_cndmask_b32_e32 v14, 0, v14, vcc
	v_cmp_nlt_f32_e32 vcc, s85, v11
	v_cndmask_b32_e32 v14, v144, v14, vcc
	v_mul_f32_e32 v11, v39, v14
	ds_bpermute_b32 v15, v37, v11
	s_waitcnt lgkmcnt(0)
	v_fmac_f32_e32 v15, v39, v14
	s_mov_b64 s[50:51], exec
	v_readlane_b32 s52, v255, 15
	v_readlane_b32 s53, v255, 16
	s_and_b64 s[52:53], s[50:51], s[52:53]
	s_mov_b64 exec, s[52:53]
	s_cbranch_execz .LBB30_158
; %bb.157:                              ;   in Loop: Header=BB30_16 Depth=1
	ds_write_b64 v0, v[14:15] offset:512
.LBB30_158:                             ;   in Loop: Header=BB30_16 Depth=1
	s_or_b64 exec, exec, s[50:51]
	s_mov_b64 s[50:51], exec
	v_readlane_b32 s52, v255, 13
	v_readlane_b32 s53, v255, 14
	s_and_b64 s[52:53], s[50:51], s[52:53]
	s_mov_b64 exec, s[52:53]
	s_cbranch_execz .LBB30_160
; %bb.159:                              ;   in Loop: Header=BB30_16 Depth=1
	v_mov_b32_e32 v11, v15
	v_accvgpr_read_b32 v14, a52
	v_accvgpr_read_b32 v15, a53
	global_store_dwordx2 v[14:15], v[10:11], off
.LBB30_160:                             ;   in Loop: Header=BB30_16 Depth=1
	s_or_b64 exec, exec, s[50:51]
.LBB30_161:                             ;   in Loop: Header=BB30_16 Depth=1
	s_or_b64 exec, exec, s[48:49]
	v_accvgpr_read_b32 v0, a79
	ds_write2_b32 v0, v4, v1 offset1:1
	ds_write2_b32 v0, v6, v5 offset0:8 offset1:9
	ds_write2_b32 v0, v8, v7 offset0:16 offset1:17
	;; [unrolled: 1-line block ×15, first 2 shown]
	s_waitcnt lgkmcnt(0)
	s_barrier
	s_mov_b64 s[48:49], exec
	v_readlane_b32 s50, v255, 9
	v_readlane_b32 s51, v255, 10
	s_and_b64 s[50:51], s[48:49], s[50:51]
	s_mov_b64 exec, s[50:51]
	s_cbranch_execz .LBB30_239
; %bb.162:                              ;   in Loop: Header=BB30_16 Depth=1
	v_accvgpr_read_b32 v0, a54
	v_add_u32_e32 v0, s44, v0
	v_cmp_gt_i32_e32 vcc, s76, v0
	v_mov_b32_e32 v1, 0x47
	s_and_saveexec_b64 s[50:51], vcc
	s_cbranch_execz .LBB30_164
; %bb.163:                              ;   in Loop: Header=BB30_16 Depth=1
	v_accvgpr_read_b32 v1, a83
	v_add_u32_e32 v1, 0, v1
	ds_read2st64_b32 v[2:3], v1 offset0:2 offset1:35
	v_accvgpr_read_b32 v1, a82
	v_readlane_b32 s52, v254, 61
	ds_read2st64_b32 v[4:5], v1 offset1:1
	ds_read_b32 v8, v1 offset:8448
	v_mad_u64_u32 v[0:1], s[52:53], s52, v0, v[98:99]
	v_ashrrev_i32_e32 v1, 31, v0
	v_lshlrev_b64 v[0:1], 3, v[0:1]
	v_readlane_b32 s52, v255, 29
	v_add_co_u32_e32 v0, vcc, s52, v0
	v_readlane_b32 s52, v255, 30
	v_mov_b32_e32 v6, s52
	v_addc_co_u32_e32 v1, vcc, v6, v1, vcc
	s_waitcnt lgkmcnt(1)
	v_cvt_f32_f16_sdwa v7, v4 dst_sel:DWORD dst_unused:UNUSED_PAD src0_sel:WORD_1
	v_cvt_f32_f16_e32 v6, v4
	s_waitcnt lgkmcnt(0)
	v_cvt_f32_f16_sdwa v9, v8 dst_sel:DWORD dst_unused:UNUSED_PAD src0_sel:WORD_1
	v_cvt_f32_f16_e32 v8, v8
	v_mov_b32_e32 v4, v3
	v_pk_fma_f32 v[6:7], v[2:3], v[6:7], 0 op_sel_hi:[0,1,0]
	v_accvgpr_read_b32 v3, a84
	v_pk_fma_f32 v[6:7], v[4:5], v[8:9], v[6:7] op_sel_hi:[0,1,1]
	ds_read_b32 v8, v3 offset:8448
	global_store_dwordx2 v[0:1], v[6:7], off
	v_cvt_f32_f16_sdwa v7, v5 dst_sel:DWORD dst_unused:UNUSED_PAD src0_sel:WORD_1
	v_cvt_f32_f16_e32 v6, v5
	v_pk_fma_f32 v[2:3], v[2:3], v[6:7], 0 op_sel_hi:[0,1,0]
	s_waitcnt lgkmcnt(0)
	v_cvt_f32_f16_sdwa v7, v8 dst_sel:DWORD dst_unused:UNUSED_PAD src0_sel:WORD_1
	v_cvt_f32_f16_e32 v6, v8
	v_pk_fma_f32 v[2:3], v[4:5], v[6:7], v[2:3] op_sel_hi:[0,1,1]
	global_store_dwordx2 v[0:1], v[2:3], off offset:512
	v_mov_b32_e32 v1, 0
.LBB30_164:                             ;   in Loop: Header=BB30_16 Depth=1
	s_or_b64 exec, exec, s[50:51]
	s_movk_i32 s50, 0x47
	v_cmp_gt_i32_e32 vcc, s50, v1
	s_mov_b64 s[50:51], -1
	s_and_saveexec_b64 s[52:53], vcc
; %bb.165:                              ;   in Loop: Header=BB30_16 Depth=1
	v_cmp_eq_u32_e32 vcc, 0, v1
	s_orn2_b64 s[50:51], vcc, exec
; %bb.166:                              ;   in Loop: Header=BB30_16 Depth=1
	s_or_b64 exec, exec, s[52:53]
	s_and_b64 exec, exec, s[50:51]
	s_cbranch_execz .LBB30_239
; %bb.167:                              ;   in Loop: Header=BB30_16 Depth=1
	v_accvgpr_read_b32 v0, a55
	v_add_u32_e32 v0, s44, v0
	v_cmp_gt_i32_e32 vcc, s76, v0
	v_mov_b32_e32 v1, 0x47
	s_and_saveexec_b64 s[50:51], vcc
	s_cbranch_execz .LBB30_169
; %bb.168:                              ;   in Loop: Header=BB30_16 Depth=1
	v_accvgpr_read_b32 v1, a86
	v_add_u32_e32 v1, 0, v1
	ds_read2st64_b32 v[2:3], v1 offset0:2 offset1:35
	v_accvgpr_read_b32 v1, a85
	v_readlane_b32 s52, v254, 61
	ds_read2st64_b32 v[4:5], v1 offset1:1
	ds_read_b32 v8, v1 offset:8448
	v_mad_u64_u32 v[0:1], s[52:53], s52, v0, v[98:99]
	v_ashrrev_i32_e32 v1, 31, v0
	v_lshlrev_b64 v[0:1], 3, v[0:1]
	v_readlane_b32 s52, v255, 29
	v_add_co_u32_e32 v0, vcc, s52, v0
	v_readlane_b32 s52, v255, 30
	v_mov_b32_e32 v6, s52
	v_addc_co_u32_e32 v1, vcc, v6, v1, vcc
	s_waitcnt lgkmcnt(1)
	v_cvt_f32_f16_sdwa v7, v4 dst_sel:DWORD dst_unused:UNUSED_PAD src0_sel:WORD_1
	v_cvt_f32_f16_e32 v6, v4
	s_waitcnt lgkmcnt(0)
	v_cvt_f32_f16_sdwa v9, v8 dst_sel:DWORD dst_unused:UNUSED_PAD src0_sel:WORD_1
	v_cvt_f32_f16_e32 v8, v8
	v_mov_b32_e32 v4, v3
	v_pk_fma_f32 v[6:7], v[2:3], v[6:7], 0 op_sel_hi:[0,1,0]
	v_accvgpr_read_b32 v3, a87
	v_pk_fma_f32 v[6:7], v[4:5], v[8:9], v[6:7] op_sel_hi:[0,1,1]
	ds_read_b32 v8, v3 offset:8448
	global_store_dwordx2 v[0:1], v[6:7], off
	v_cvt_f32_f16_sdwa v7, v5 dst_sel:DWORD dst_unused:UNUSED_PAD src0_sel:WORD_1
	v_cvt_f32_f16_e32 v6, v5
	v_pk_fma_f32 v[2:3], v[2:3], v[6:7], 0 op_sel_hi:[0,1,0]
	s_waitcnt lgkmcnt(0)
	v_cvt_f32_f16_sdwa v7, v8 dst_sel:DWORD dst_unused:UNUSED_PAD src0_sel:WORD_1
	v_cvt_f32_f16_e32 v6, v8
	v_pk_fma_f32 v[2:3], v[4:5], v[6:7], v[2:3] op_sel_hi:[0,1,1]
	global_store_dwordx2 v[0:1], v[2:3], off offset:512
	v_mov_b32_e32 v1, 0
.LBB30_169:                             ;   in Loop: Header=BB30_16 Depth=1
	s_or_b64 exec, exec, s[50:51]
	s_movk_i32 s50, 0x47
	v_cmp_gt_i32_e32 vcc, s50, v1
	s_mov_b64 s[50:51], -1
	s_and_saveexec_b64 s[52:53], vcc
; %bb.170:                              ;   in Loop: Header=BB30_16 Depth=1
	v_cmp_eq_u32_e32 vcc, 0, v1
	s_orn2_b64 s[50:51], vcc, exec
; %bb.171:                              ;   in Loop: Header=BB30_16 Depth=1
	s_or_b64 exec, exec, s[52:53]
	s_and_b64 exec, exec, s[50:51]
	;; [unrolled: 57-line block ×15, first 2 shown]
	s_cbranch_execz .LBB30_239
; %bb.237:                              ;   in Loop: Header=BB30_16 Depth=1
	v_accvgpr_read_b32 v0, a68
	v_add_u32_e32 v0, s44, v0
	v_cmp_gt_i32_e32 vcc, s76, v0
	s_and_b64 exec, exec, vcc
	s_cbranch_execz .LBB30_239
; %bb.238:                              ;   in Loop: Header=BB30_16 Depth=1
	v_accvgpr_read_b32 v1, a127
	v_add_u32_e32 v1, 0, v1
	ds_read2st64_b32 v[2:3], v1 offset0:2 offset1:35
	v_accvgpr_read_b32 v1, a128
	v_readlane_b32 s44, v254, 61
	ds_read2st64_b32 v[4:5], v1 offset1:1
	ds_read_b32 v8, v1 offset:8448
	v_mad_u64_u32 v[0:1], s[50:51], s44, v0, v[98:99]
	v_ashrrev_i32_e32 v1, 31, v0
	v_lshlrev_b64 v[0:1], 3, v[0:1]
	v_readlane_b32 s44, v255, 29
	v_add_co_u32_e32 v0, vcc, s44, v0
	v_readlane_b32 s44, v255, 30
	v_mov_b32_e32 v6, s44
	v_addc_co_u32_e32 v1, vcc, v6, v1, vcc
	s_waitcnt lgkmcnt(1)
	v_cvt_f32_f16_sdwa v7, v4 dst_sel:DWORD dst_unused:UNUSED_PAD src0_sel:WORD_1
	v_cvt_f32_f16_e32 v6, v4
	s_waitcnt lgkmcnt(0)
	v_cvt_f32_f16_sdwa v9, v8 dst_sel:DWORD dst_unused:UNUSED_PAD src0_sel:WORD_1
	v_cvt_f32_f16_e32 v8, v8
	v_mov_b32_e32 v4, v3
	v_pk_fma_f32 v[6:7], v[2:3], v[6:7], 0 op_sel_hi:[0,1,0]
	v_accvgpr_read_b32 v3, a129
	v_pk_fma_f32 v[6:7], v[4:5], v[8:9], v[6:7] op_sel_hi:[0,1,1]
	ds_read_b32 v8, v3 offset:8448
	global_store_dwordx2 v[0:1], v[6:7], off
	v_cvt_f32_f16_sdwa v7, v5 dst_sel:DWORD dst_unused:UNUSED_PAD src0_sel:WORD_1
	v_cvt_f32_f16_e32 v6, v5
	v_pk_fma_f32 v[2:3], v[2:3], v[6:7], 0 op_sel_hi:[0,1,0]
	s_waitcnt lgkmcnt(0)
	v_cvt_f32_f16_sdwa v7, v8 dst_sel:DWORD dst_unused:UNUSED_PAD src0_sel:WORD_1
	v_cvt_f32_f16_e32 v6, v8
	v_pk_fma_f32 v[2:3], v[4:5], v[6:7], v[2:3] op_sel_hi:[0,1,1]
	global_store_dwordx2 v[0:1], v[2:3], off offset:512
.LBB30_239:                             ;   in Loop: Header=BB30_16 Depth=1
	s_or_b64 exec, exec, s[48:49]
	s_barrier
	s_branch .LBB30_15
.LBB30_240:                             ;   in Loop: Header=BB30_16 Depth=1
	s_mov_b32 s52, s92
	s_lshl_b32 s92, s75, 5
	v_add_u32_e32 v145, s92, v173
	v_cmp_le_i32_e32 vcc, s76, v145
	s_and_saveexec_b64 s[48:49], vcc
	s_xor_b64 s[48:49], exec, s[48:49]
	s_cbranch_execz .LBB30_242
; %bb.241:                              ;   in Loop: Header=BB30_16 Depth=1
	v_accvgpr_read_b32 v0, a80
	ds_write2st64_b32 v0, v125, v125 offset1:1
.LBB30_242:                             ;   in Loop: Header=BB30_16 Depth=1
	s_andn2_saveexec_b64 s[48:49], s[48:49]
	s_cbranch_execz .LBB30_244
; %bb.243:                              ;   in Loop: Header=BB30_16 Depth=1
	v_readlane_b32 s44, v254, 18
	v_mad_u64_u32 v[0:1], s[50:51], v145, s44, v[98:99]
	v_ashrrev_i32_e32 v1, 31, v0
	v_lshlrev_b64 v[0:1], 3, v[0:1]
	v_add_co_u32_e32 v0, vcc, s74, v0
	v_mov_b32_e32 v2, s66
	v_addc_co_u32_e32 v1, vcc, v2, v1, vcc
	global_load_dwordx2 v[2:3], v[0:1], off
	s_waitcnt vmcnt(0)
	v_cvt_f16_f32_e32 v2, v2
	global_load_dwordx2 v[0:1], v[0:1], off offset:512
	v_cvt_f16_f32_e32 v3, v3
	v_pack_b32_f16 v2, v2, v3
	v_pk_mul_f16 v2, v174, v2
	s_waitcnt vmcnt(0)
	v_cvt_f16_f32_e32 v0, v0
	v_cvt_f16_f32_e32 v1, v1
	v_pack_b32_f16 v0, v0, v1
	v_pk_mul_f16 v0, v174, v0
	v_accvgpr_read_b32 v1, a80
	ds_write2st64_b32 v1, v2, v0 offset1:1
.LBB30_244:                             ;   in Loop: Header=BB30_16 Depth=1
	s_or_b64 exec, exec, s[48:49]
	v_add_u32_e32 v146, s92, v182
	v_cmp_le_i32_e32 vcc, s76, v146
	s_and_saveexec_b64 s[48:49], vcc
	s_xor_b64 s[48:49], exec, s[48:49]
	s_cbranch_execz .LBB30_246
; %bb.245:                              ;   in Loop: Header=BB30_16 Depth=1
	v_accvgpr_read_b32 v0, a177
	ds_write2st64_b32 v0, v125, v125 offset1:1
.LBB30_246:                             ;   in Loop: Header=BB30_16 Depth=1
	s_andn2_saveexec_b64 s[48:49], s[48:49]
	s_cbranch_execz .LBB30_248
; %bb.247:                              ;   in Loop: Header=BB30_16 Depth=1
	v_readlane_b32 s44, v254, 18
	v_mad_u64_u32 v[0:1], s[50:51], v146, s44, v[98:99]
	v_ashrrev_i32_e32 v1, 31, v0
	v_lshlrev_b64 v[0:1], 3, v[0:1]
	v_add_co_u32_e32 v0, vcc, s74, v0
	v_mov_b32_e32 v2, s66
	v_addc_co_u32_e32 v1, vcc, v2, v1, vcc
	global_load_dwordx2 v[2:3], v[0:1], off
	s_waitcnt vmcnt(0)
	v_cvt_f16_f32_e32 v2, v2
	global_load_dwordx2 v[0:1], v[0:1], off offset:512
	v_cvt_f16_f32_e32 v3, v3
	v_pack_b32_f16 v2, v2, v3
	v_pk_mul_f16 v2, v174, v2
	s_waitcnt vmcnt(0)
	v_cvt_f16_f32_e32 v0, v0
	v_cvt_f16_f32_e32 v1, v1
	v_pack_b32_f16 v0, v0, v1
	v_pk_mul_f16 v0, v174, v0
	v_accvgpr_read_b32 v1, a177
	ds_write2st64_b32 v1, v2, v0 offset1:1
.LBB30_248:                             ;   in Loop: Header=BB30_16 Depth=1
	s_or_b64 exec, exec, s[48:49]
	v_add_u32_e32 v148, s92, v181
	v_cmp_le_i32_e32 vcc, s76, v148
	s_and_saveexec_b64 s[48:49], vcc
	s_xor_b64 s[48:49], exec, s[48:49]
	s_cbranch_execz .LBB30_250
; %bb.249:                              ;   in Loop: Header=BB30_16 Depth=1
	v_accvgpr_read_b32 v0, a177
	v_add_u32_e32 v0, 64, v0
	ds_write2st64_b32 v0, v125, v125 offset0:8 offset1:9
.LBB30_250:                             ;   in Loop: Header=BB30_16 Depth=1
	s_andn2_saveexec_b64 s[48:49], s[48:49]
	s_cbranch_execz .LBB30_252
; %bb.251:                              ;   in Loop: Header=BB30_16 Depth=1
	v_readlane_b32 s44, v254, 18
	v_mad_u64_u32 v[0:1], s[50:51], v148, s44, v[98:99]
	v_ashrrev_i32_e32 v1, 31, v0
	v_lshlrev_b64 v[0:1], 3, v[0:1]
	v_add_co_u32_e32 v0, vcc, s74, v0
	v_mov_b32_e32 v2, s66
	v_addc_co_u32_e32 v1, vcc, v2, v1, vcc
	global_load_dwordx2 v[2:3], v[0:1], off
	s_waitcnt vmcnt(0)
	v_cvt_f16_f32_e32 v2, v2
	global_load_dwordx2 v[0:1], v[0:1], off offset:512
	v_cvt_f16_f32_e32 v3, v3
	v_pack_b32_f16 v2, v2, v3
	v_pk_mul_f16 v2, v174, v2
	s_waitcnt vmcnt(0)
	v_cvt_f16_f32_e32 v0, v0
	v_cvt_f16_f32_e32 v1, v1
	v_pack_b32_f16 v0, v0, v1
	v_accvgpr_read_b32 v1, a177
	v_pk_mul_f16 v0, v174, v0
	v_add_u32_e32 v1, 64, v1
	ds_write2st64_b32 v1, v2, v0 offset0:8 offset1:9
.LBB30_252:                             ;   in Loop: Header=BB30_16 Depth=1
	s_or_b64 exec, exec, s[48:49]
	v_add_u32_e32 v149, s92, v180
	v_cmp_le_i32_e32 vcc, s76, v149
	s_and_saveexec_b64 s[48:49], vcc
	s_xor_b64 s[48:49], exec, s[48:49]
	s_cbranch_execz .LBB30_254
; %bb.253:                              ;   in Loop: Header=BB30_16 Depth=1
	v_accvgpr_read_b32 v0, a177
	v_add_u32_e32 v0, 0x80, v0
	ds_write2st64_b32 v0, v125, v125 offset0:16 offset1:17
.LBB30_254:                             ;   in Loop: Header=BB30_16 Depth=1
	s_andn2_saveexec_b64 s[48:49], s[48:49]
	s_cbranch_execz .LBB30_256
; %bb.255:                              ;   in Loop: Header=BB30_16 Depth=1
	v_readlane_b32 s44, v254, 18
	v_mad_u64_u32 v[0:1], s[50:51], v149, s44, v[98:99]
	v_ashrrev_i32_e32 v1, 31, v0
	v_lshlrev_b64 v[0:1], 3, v[0:1]
	v_add_co_u32_e32 v0, vcc, s74, v0
	v_mov_b32_e32 v2, s66
	v_addc_co_u32_e32 v1, vcc, v2, v1, vcc
	global_load_dwordx2 v[2:3], v[0:1], off
	s_waitcnt vmcnt(0)
	v_cvt_f16_f32_e32 v2, v2
	global_load_dwordx2 v[0:1], v[0:1], off offset:512
	v_cvt_f16_f32_e32 v3, v3
	v_pack_b32_f16 v2, v2, v3
	v_pk_mul_f16 v2, v174, v2
	s_waitcnt vmcnt(0)
	v_cvt_f16_f32_e32 v0, v0
	v_cvt_f16_f32_e32 v1, v1
	v_pack_b32_f16 v0, v0, v1
	v_accvgpr_read_b32 v1, a177
	v_pk_mul_f16 v0, v174, v0
	v_add_u32_e32 v1, 0x80, v1
	ds_write2st64_b32 v1, v2, v0 offset0:16 offset1:17
.LBB30_256:                             ;   in Loop: Header=BB30_16 Depth=1
	;; [unrolled: 37-line block ×3, first 2 shown]
	s_or_b64 exec, exec, s[48:49]
	v_add_u32_e32 v150, s92, v178
	v_cmp_le_i32_e32 vcc, s76, v150
	s_and_saveexec_b64 s[48:49], vcc
	s_xor_b64 s[48:49], exec, s[48:49]
	s_cbranch_execz .LBB30_262
; %bb.261:                              ;   in Loop: Header=BB30_16 Depth=1
	v_accvgpr_read_b32 v0, a177
	ds_write2st64_b32 v0, v125, v125 offset0:33 offset1:34
.LBB30_262:                             ;   in Loop: Header=BB30_16 Depth=1
	s_andn2_saveexec_b64 s[48:49], s[48:49]
	s_cbranch_execz .LBB30_264
; %bb.263:                              ;   in Loop: Header=BB30_16 Depth=1
	v_readlane_b32 s44, v254, 18
	v_mad_u64_u32 v[0:1], s[50:51], v150, s44, v[98:99]
	v_ashrrev_i32_e32 v1, 31, v0
	v_lshlrev_b64 v[0:1], 3, v[0:1]
	v_add_co_u32_e32 v0, vcc, s74, v0
	v_mov_b32_e32 v2, s66
	v_addc_co_u32_e32 v1, vcc, v2, v1, vcc
	global_load_dwordx2 v[2:3], v[0:1], off
	s_waitcnt vmcnt(0)
	v_cvt_f16_f32_e32 v2, v2
	global_load_dwordx2 v[0:1], v[0:1], off offset:512
	v_cvt_f16_f32_e32 v3, v3
	v_pack_b32_f16 v2, v2, v3
	v_pk_mul_f16 v2, v174, v2
	s_waitcnt vmcnt(0)
	v_cvt_f16_f32_e32 v0, v0
	v_cvt_f16_f32_e32 v1, v1
	v_pack_b32_f16 v0, v0, v1
	v_pk_mul_f16 v0, v174, v0
	v_accvgpr_read_b32 v1, a177
	ds_write2st64_b32 v1, v2, v0 offset0:33 offset1:34
.LBB30_264:                             ;   in Loop: Header=BB30_16 Depth=1
	s_or_b64 exec, exec, s[48:49]
	v_add_u32_e32 v50, s92, v177
	v_cmp_le_i32_e32 vcc, s76, v50
	s_and_saveexec_b64 s[48:49], vcc
	s_xor_b64 s[48:49], exec, s[48:49]
	s_cbranch_execz .LBB30_266
; %bb.265:                              ;   in Loop: Header=BB30_16 Depth=1
	v_accvgpr_read_b32 v0, a177
	v_add_u32_e32 v0, 64, v0
	ds_write2st64_b32 v0, v125, v125 offset0:41 offset1:42
.LBB30_266:                             ;   in Loop: Header=BB30_16 Depth=1
	s_andn2_saveexec_b64 s[48:49], s[48:49]
	s_cbranch_execz .LBB30_268
; %bb.267:                              ;   in Loop: Header=BB30_16 Depth=1
	v_readlane_b32 s44, v254, 18
	v_mad_u64_u32 v[0:1], s[50:51], v50, s44, v[98:99]
	v_ashrrev_i32_e32 v1, 31, v0
	v_lshlrev_b64 v[0:1], 3, v[0:1]
	v_add_co_u32_e32 v0, vcc, s74, v0
	v_mov_b32_e32 v2, s66
	v_addc_co_u32_e32 v1, vcc, v2, v1, vcc
	global_load_dwordx2 v[2:3], v[0:1], off
	s_waitcnt vmcnt(0)
	v_cvt_f16_f32_e32 v2, v2
	global_load_dwordx2 v[0:1], v[0:1], off offset:512
	v_cvt_f16_f32_e32 v3, v3
	v_pack_b32_f16 v2, v2, v3
	v_pk_mul_f16 v2, v174, v2
	s_waitcnt vmcnt(0)
	v_cvt_f16_f32_e32 v0, v0
	v_cvt_f16_f32_e32 v1, v1
	v_pack_b32_f16 v0, v0, v1
	v_accvgpr_read_b32 v1, a177
	v_pk_mul_f16 v0, v174, v0
	v_add_u32_e32 v1, 64, v1
	ds_write2st64_b32 v1, v2, v0 offset0:41 offset1:42
.LBB30_268:                             ;   in Loop: Header=BB30_16 Depth=1
	s_or_b64 exec, exec, s[48:49]
	v_add_u32_e32 v206, s92, v176
	v_cmp_le_i32_e32 vcc, s76, v206
	s_and_saveexec_b64 s[48:49], vcc
	s_xor_b64 s[48:49], exec, s[48:49]
	s_cbranch_execz .LBB30_270
; %bb.269:                              ;   in Loop: Header=BB30_16 Depth=1
	v_accvgpr_read_b32 v0, a177
	v_add_u32_e32 v0, 0x80, v0
	ds_write2st64_b32 v0, v125, v125 offset0:49 offset1:50
.LBB30_270:                             ;   in Loop: Header=BB30_16 Depth=1
	s_andn2_saveexec_b64 s[48:49], s[48:49]
	s_cbranch_execz .LBB30_272
; %bb.271:                              ;   in Loop: Header=BB30_16 Depth=1
	v_readlane_b32 s44, v254, 18
	v_mad_u64_u32 v[0:1], s[50:51], v206, s44, v[98:99]
	v_ashrrev_i32_e32 v1, 31, v0
	v_lshlrev_b64 v[0:1], 3, v[0:1]
	v_add_co_u32_e32 v0, vcc, s74, v0
	v_mov_b32_e32 v2, s66
	v_addc_co_u32_e32 v1, vcc, v2, v1, vcc
	global_load_dwordx2 v[2:3], v[0:1], off
	s_waitcnt vmcnt(0)
	v_cvt_f16_f32_e32 v2, v2
	global_load_dwordx2 v[0:1], v[0:1], off offset:512
	v_cvt_f16_f32_e32 v3, v3
	v_pack_b32_f16 v2, v2, v3
	v_pk_mul_f16 v2, v174, v2
	s_waitcnt vmcnt(0)
	v_cvt_f16_f32_e32 v0, v0
	v_cvt_f16_f32_e32 v1, v1
	v_pack_b32_f16 v0, v0, v1
	v_accvgpr_read_b32 v1, a177
	v_pk_mul_f16 v0, v174, v0
	v_add_u32_e32 v1, 0x80, v1
	ds_write2st64_b32 v1, v2, v0 offset0:49 offset1:50
.LBB30_272:                             ;   in Loop: Header=BB30_16 Depth=1
	s_or_b64 exec, exec, s[48:49]
	v_accvgpr_read_b32 v0, a69
	s_waitcnt lgkmcnt(0)
	s_barrier
	ds_read2_b64 v[30:33], v0 offset1:4
	ds_read2_b64 v[26:29], v0 offset0:8 offset1:12
	ds_read2_b64 v[22:25], v0 offset0:16 offset1:20
	;; [unrolled: 1-line block ×7, first 2 shown]
	v_accvgpr_write_b32 a41, v223
	v_accvgpr_write_b32 a40, v221
	;; [unrolled: 1-line block ×17, first 2 shown]
	s_mov_b32 s44, 0
	s_cmp_lt_i32 s52, 2
	v_mov_b32_e32 v52, 0
	s_waitcnt lgkmcnt(0)
	s_barrier
	s_cbranch_scc1 .LBB30_318
; %bb.273:                              ;   in Loop: Header=BB30_16 Depth=1
	v_readlane_b32 s50, v254, 10
	v_mul_hi_u32 v1, s50, v146
	v_readlane_b32 s51, v254, 11
	v_add_u32_e32 v1, v146, v1
	v_lshrrev_b32_e32 v1, s51, v1
	v_mul_lo_u32 v1, v1, s76
	v_sub_u32_e32 v36, v146, v1
	v_mul_hi_u32 v1, s50, v148
	v_add_u32_e32 v1, v148, v1
	v_lshrrev_b32_e32 v1, s51, v1
	v_mul_lo_u32 v1, v1, s76
	v_sub_u32_e32 v37, v148, v1
	v_mul_hi_u32 v1, s50, v149
	;; [unrolled: 5-line block ×6, first 2 shown]
	v_add_u32_e32 v1, v206, v1
	v_lshrrev_b32_e32 v1, s51, v1
	v_mul_lo_u32 v1, v1, s76
	v_sub_u32_e32 v42, v206, v1
	v_and_b32_e32 v1, 64, v99
	v_add_u32_e32 v1, 64, v1
	v_xor_b32_e32 v34, 32, v99
	s_add_i32 s44, s52, -1
	v_readlane_b32 s52, v255, 27
	v_mul_hi_u32 v0, s50, v145
	v_cmp_lt_i32_e32 vcc, v34, v1
	v_readlane_b32 s53, v255, 28
	v_add_u32_e32 v0, v145, v0
	v_cndmask_b32_e32 v34, v99, v34, vcc
	v_accvgpr_write_b32 a23, v204
	s_cmp_lg_u64 s[52:53], 0
	v_lshrrev_b32_e32 v0, s51, v0
	v_lshlrev_b32_e32 v204, 2, v34
	v_xor_b32_e32 v34, 16, v99
	v_readlane_b32 s50, v255, 31
	v_readlane_b32 s51, v255, 33
	s_cselect_b64 s[48:49], -1, 0
	v_cmp_lt_i32_e32 vcc, v34, v1
	s_add_u32 s50, s50, s51
	v_readlane_b32 s51, v255, 32
	v_readlane_b32 s54, v255, 34
	v_cndmask_b32_e32 v1, v99, v34, vcc
	s_addc_u32 s51, s51, s54
	v_accvgpr_read_b32 v34, a130
	v_accvgpr_write_b32 a25, v215
	v_lshlrev_b32_e32 v215, 2, v1
	v_mov_b32_e32 v1, s51
	v_add_co_u32_e32 v96, vcc, s50, v34
	v_accvgpr_read_b32 v34, a131
	v_addc_co_u32_e32 v1, vcc, v34, v1, vcc
	v_accvgpr_read_b32 v35, a132
	v_mov_b32_e32 v34, s51
	v_add_co_u32_e32 v98, vcc, s50, v35
	v_accvgpr_read_b32 v35, a133
	v_addc_co_u32_e32 v51, vcc, v35, v34, vcc
	v_accvgpr_read_b32 v35, a134
	v_add_co_u32_e32 v100, vcc, s50, v35
	v_accvgpr_read_b32 v35, a135
	v_addc_co_u32_e32 v53, vcc, v35, v34, vcc
	v_accvgpr_read_b32 v35, a136
	;; [unrolled: 4-line block ×6, first 2 shown]
	v_add_co_u32_e32 v110, vcc, s50, v35
	v_readlane_b32 s50, v255, 35
	v_readlane_b32 s51, v255, 37
	v_accvgpr_read_b32 v35, a145
	s_add_u32 s50, s50, s51
	v_readlane_b32 s51, v255, 36
	v_readlane_b32 s54, v255, 38
	v_addc_co_u32_e32 v101, vcc, v35, v34, vcc
	s_addc_u32 s51, s51, s54
	v_accvgpr_read_b32 v35, a146
	v_mov_b32_e32 v34, s51
	v_add_co_u32_e32 v112, vcc, s50, v35
	v_accvgpr_read_b32 v35, a147
	v_addc_co_u32_e32 v103, vcc, v35, v34, vcc
	v_accvgpr_read_b32 v35, a148
	v_add_co_u32_e32 v114, vcc, s50, v35
	v_accvgpr_read_b32 v35, a149
	v_addc_co_u32_e32 v105, vcc, v35, v34, vcc
	v_accvgpr_read_b32 v35, a150
	;; [unrolled: 4-line block ×7, first 2 shown]
	v_mul_lo_u32 v0, v0, s76
	v_add_co_u32_e32 v126, vcc, s50, v35
	v_accvgpr_read_b32 v35, a161
	v_readlane_b32 s50, v255, 19
	v_sub_u32_e32 v0, v145, v0
	v_addc_co_u32_e32 v117, vcc, v35, v34, vcc
	v_pk_mov_b32 v[34:35], s[52:53], s[52:53] op_sel:[0,1]
	v_readlane_b32 s51, v255, 20
	s_mov_b32 s52, s50
	v_accvgpr_write_b32 a21, v183
	v_accvgpr_write_b32 a20, v182
	;; [unrolled: 1-line block ×9, first 2 shown]
	v_mov_b32_e32 v171, 0
	v_mov_b32_e32 v94, v92
	;; [unrolled: 1-line block ×3, first 2 shown]
	v_mad_i64_i32 v[128:129], s[50:51], s52, v38, v[34:35]
	v_mad_i64_i32 v[130:131], s[50:51], s52, v37, v[34:35]
	;; [unrolled: 1-line block ×8, first 2 shown]
	v_mov_b32_e32 v173, 0
	v_mov_b32_e32 v174, 0xfeffffff
	s_mov_b32 s52, s44
	v_mov_b32_e32 v172, 0
	v_mov_b32_e32 v170, 0
	;; [unrolled: 1-line block ×31, first 2 shown]
	s_andn2_b64 vcc, exec, s[48:49]
	s_cbranch_vccnz .LBB30_279
.LBB30_274:                             ;   in Loop: Header=BB30_16 Depth=1
                                        ; implicit-def: $sgpr53
	s_mov_b64 s[50:51], exec
	v_readlane_b32 s54, v254, 59
	v_readlane_b32 s55, v254, 60
	s_and_b64 s[54:55], s[50:51], s[54:55]
	s_xor_b64 s[50:51], s[54:55], s[50:51]
	s_mov_b64 exec, s[54:55]
	s_cbranch_execz .LBB30_276
; %bb.275:                              ;   in Loop: Header=BB30_16 Depth=1
	v_accvgpr_read_b32 v34, a70
	ds_write_b16 v34, v125 offset:33792
	v_accvgpr_read_b32 v34, a163
	ds_write_b16 v34, v125 offset:33792
	;; [unrolled: 2-line block ×4, first 2 shown]
	s_mov_b32 s53, 0
.LBB30_276:                             ;   in Loop: Header=BB30_16 Depth=1
	s_or_saveexec_b64 s[50:51], s[50:51]
	v_mov_b32_e32 v34, s53
	v_mov_b32_e32 v35, s53
	;; [unrolled: 1-line block ×4, first 2 shown]
	s_xor_b64 exec, exec, s[50:51]
	s_cbranch_execz .LBB30_278
; %bb.277:                              ;   in Loop: Header=BB30_16 Depth=1
	v_add_co_u32_e32 v34, vcc, v134, v56
	v_addc_co_u32_e32 v35, vcc, 0, v135, vcc
	flat_load_ushort v36, v[34:35]
	v_add_co_u32_e32 v34, vcc, v132, v56
	v_addc_co_u32_e32 v35, vcc, 0, v133, vcc
	flat_load_ushort v37, v[34:35]
	;; [unrolled: 3-line block ×4, first 2 shown]
	v_accvgpr_read_b32 v35, a70
	s_waitcnt vmcnt(0) lgkmcnt(0)
	ds_write_b16 v35, v36 offset:33792
	v_accvgpr_read_b32 v35, a163
	ds_write_b16 v35, v37 offset:33792
	v_accvgpr_read_b32 v35, a164
	;; [unrolled: 2-line block ×3, first 2 shown]
	ds_write_b16 v35, v34 offset:33792
	v_add_co_u32_e32 v34, vcc, v142, v56
	v_addc_co_u32_e32 v35, vcc, 0, v143, vcc
	v_add_co_u32_e32 v36, vcc, v140, v56
	v_addc_co_u32_e32 v37, vcc, 0, v141, vcc
	flat_load_ushort v34, v[34:35]
	s_nop 0
	flat_load_ushort v35, v[36:37]
	v_add_co_u32_e32 v36, vcc, v138, v56
	v_addc_co_u32_e32 v37, vcc, 0, v139, vcc
	v_add_co_u32_e32 v38, vcc, v136, v56
	v_addc_co_u32_e32 v39, vcc, 0, v137, vcc
	flat_load_ushort v36, v[36:37]
	s_nop 0
	flat_load_ushort v37, v[38:39]
.LBB30_278:                             ;   in Loop: Header=BB30_16 Depth=1
	s_or_b64 exec, exec, s[50:51]
	v_accvgpr_read_b32 v38, a166
	s_waitcnt vmcnt(0) lgkmcnt(0)
	ds_write_b16 v38, v34 offset:33792
	v_accvgpr_read_b32 v34, a167
	ds_write_b16 v34, v35 offset:33792
	v_accvgpr_read_b32 v34, a168
	ds_write_b16 v34, v36 offset:33792
	v_accvgpr_read_b32 v34, a169
	ds_write_b16 v34, v37 offset:33792
.LBB30_279:                             ;   Parent Loop BB30_16 Depth=1
                                        ; =>  This Inner Loop Header: Depth=2
	v_add_co_u32_e32 v34, vcc, v112, v90
	v_addc_co_u32_e32 v35, vcc, 0, v103, vcc
	v_mov_b32_e32 v38, s95
	v_mov_b32_e32 v39, s94
	buffer_store_dword v125, off, s[0:3], 0
	buffer_store_dword v125, off, s[0:3], 0 offset:4
	buffer_store_dword v125, off, s[0:3], 0 offset:8
	;; [unrolled: 1-line block ×3, first 2 shown]
	v_cndmask_b32_e64 v35, v38, v35, s[6:7]
	v_cndmask_b32_e64 v34, v39, v34, s[6:7]
	flat_load_dwordx4 v[34:37], v[34:35]
                                        ; implicit-def: $vgpr43
	s_waitcnt vmcnt(0) lgkmcnt(0)
	ds_write_b128 v152, v[34:37]
	v_add_co_u32_e32 v34, vcc, v114, v90
	v_addc_co_u32_e32 v35, vcc, 0, v105, vcc
	v_cndmask_b32_e64 v35, v38, v35, s[90:91]
	v_cndmask_b32_e64 v34, v39, v34, s[90:91]
	flat_load_dwordx4 v[34:37], v[34:35]
	s_waitcnt vmcnt(0) lgkmcnt(0)
	ds_write_b128 v209, v[34:37]
	v_add_co_u32_e32 v34, vcc, v116, v90
	v_addc_co_u32_e32 v35, vcc, 0, v107, vcc
	v_cndmask_b32_e64 v35, v38, v35, s[10:11]
	v_cndmask_b32_e64 v34, v39, v34, s[10:11]
	flat_load_dwordx4 v[34:37], v[34:35]
	;; [unrolled: 7-line block ×7, first 2 shown]
	v_add_u32_e32 v38, 0x4000, v217
	s_waitcnt vmcnt(0) lgkmcnt(0)
	ds_write_b128 v222, v[34:37]
	s_waitcnt lgkmcnt(0)
	s_barrier
	ds_read2_b64 v[34:37], v217 offset1:4
	s_waitcnt lgkmcnt(0)
	v_mfma_f32_16x16x16f16 a[0:3], v[34:35], v[30:31], 0
	v_mfma_f32_16x16x16f16 a[0:3], v[36:37], v[32:33], a[0:3]
	ds_read2_b64 v[34:37], v217 offset0:8 offset1:12
	s_waitcnt lgkmcnt(0)
	v_mfma_f32_16x16x16f16 a[0:3], v[34:35], v[26:27], a[0:3]
	v_mfma_f32_16x16x16f16 a[0:3], v[36:37], v[28:29], a[0:3]
	ds_read2_b64 v[34:37], v217 offset0:16 offset1:20
	;; [unrolled: 4-line block ×8, first 2 shown]
	s_waitcnt lgkmcnt(0)
	v_mfma_f32_16x16x16f16 a[4:7], v[34:35], v[30:31], 0
	s_nop 7
	v_accvgpr_read_b32 v42, a0
	v_cmp_nlt_f32_e64 s[50:51], |v42|, s9
	v_mfma_f32_16x16x16f16 a[4:7], v[36:37], v[32:33], a[4:7]
	ds_read2_b64 v[34:37], v38 offset0:72 offset1:76
	s_waitcnt lgkmcnt(0)
	v_mfma_f32_16x16x16f16 a[4:7], v[34:35], v[26:27], a[4:7]
	v_mfma_f32_16x16x16f16 a[4:7], v[36:37], v[28:29], a[4:7]
	ds_read2_b64 v[34:37], v38 offset0:80 offset1:84
	s_waitcnt lgkmcnt(0)
	v_mfma_f32_16x16x16f16 a[4:7], v[34:35], v[22:23], a[4:7]
	;; [unrolled: 4-line block ×6, first 2 shown]
	v_mfma_f32_16x16x16f16 a[4:7], v[36:37], v[8:9], a[4:7]
	ds_read2_b64 v[34:37], v38 offset0:120 offset1:124
	s_waitcnt lgkmcnt(0)
	s_barrier
	v_mfma_f32_16x16x16f16 a[4:7], v[34:35], v[2:3], a[4:7]
	v_mfma_f32_16x16x16f16 a[4:7], v[36:37], v[4:5], a[4:7]
	s_and_saveexec_b64 s[54:55], s[50:51]
	s_xor_b64 s[50:51], exec, s[54:55]
	s_cbranch_execz .LBB30_281
; %bb.280:                              ;   in Loop: Header=BB30_279 Depth=2
	v_add_f32_e64 v34, |v42|, |v42|
	v_mul_f32_e32 v35, 0x3fb8aa3b, v34
	v_rndne_f32_e32 v36, v35
	v_sub_f32_e32 v37, v35, v36
	v_fma_f32 v35, v34, s88, -v35
	v_fmac_f32_e32 v35, 0x32a5705f, v34
	v_add_f32_e32 v35, v37, v35
	v_cvt_i32_f32_e32 v36, v36
	v_exp_f32_e32 v35, v35
	v_cmp_ngt_f32_e32 vcc, s89, v34
	v_ldexp_f32 v35, v35, v36
	v_cndmask_b32_e32 v35, 0, v35, vcc
	v_cmp_nlt_f32_e32 vcc, s85, v34
	v_cndmask_b32_e32 v34, v144, v35, vcc
	v_add_f32_e32 v34, 1.0, v34
	v_rcp_f32_e32 v34, v34
	v_fma_f32 v43, v34, -2.0, 1.0
.LBB30_281:                             ;   in Loop: Header=BB30_279 Depth=2
	s_andn2_saveexec_b64 s[50:51], s[50:51]
; %bb.282:                              ;   in Loop: Header=BB30_279 Depth=2
	v_mul_f32_e32 v34, v42, v42
	v_mov_b32_e32 v35, 0x3ca908c9
	v_fmac_f32_e32 v35, 0xbbbac73d, v34
	v_fma_f32 v35, v34, v35, v218
	v_fma_f32 v35, v34, v35, v119
	;; [unrolled: 1-line block ×3, first 2 shown]
	v_mul_f32_e64 v35, |v42|, v35
	v_fma_f32 v43, v34, v35, |v42|
; %bb.283:                              ;   in Loop: Header=BB30_279 Depth=2
	s_or_b64 exec, exec, s[50:51]
	v_accvgpr_read_b32 v37, a3
	v_accvgpr_read_b32 v35, a1
	;; [unrolled: 1-line block ×4, first 2 shown]
	v_cmp_nlt_f32_e64 s[50:51], |v35|, s9
                                        ; implicit-def: $vgpr34
	s_and_saveexec_b64 s[54:55], s[50:51]
	s_xor_b64 s[50:51], exec, s[54:55]
	s_cbranch_execz .LBB30_285
; %bb.284:                              ;   in Loop: Header=BB30_279 Depth=2
	v_add_f32_e64 v34, |v35|, |v35|
	v_mul_f32_e32 v38, 0x3fb8aa3b, v34
	v_rndne_f32_e32 v39, v38
	v_sub_f32_e32 v40, v38, v39
	v_fma_f32 v38, v34, s88, -v38
	v_fmac_f32_e32 v38, 0x32a5705f, v34
	v_add_f32_e32 v38, v40, v38
	v_cvt_i32_f32_e32 v39, v39
	v_exp_f32_e32 v38, v38
	v_cmp_ngt_f32_e32 vcc, s89, v34
	v_ldexp_f32 v38, v38, v39
	v_cndmask_b32_e32 v38, 0, v38, vcc
	v_cmp_nlt_f32_e32 vcc, s85, v34
	v_cndmask_b32_e32 v34, v144, v38, vcc
	v_add_f32_e32 v34, 1.0, v34
	v_rcp_f32_e32 v34, v34
	v_fma_f32 v34, v34, -2.0, 1.0
.LBB30_285:                             ;   in Loop: Header=BB30_279 Depth=2
	s_andn2_saveexec_b64 s[50:51], s[50:51]
; %bb.286:                              ;   in Loop: Header=BB30_279 Depth=2
	v_mul_f32_e32 v34, v35, v35
	v_mov_b32_e32 v38, 0x3ca908c9
	v_fmac_f32_e32 v38, 0xbbbac73d, v34
	v_fma_f32 v38, v34, v38, v218
	v_fma_f32 v38, v34, v38, v119
	;; [unrolled: 1-line block ×3, first 2 shown]
	v_mul_f32_e64 v38, |v35|, v38
	v_fma_f32 v34, v34, v38, |v35|
; %bb.287:                              ;   in Loop: Header=BB30_279 Depth=2
	s_or_b64 exec, exec, s[50:51]
	v_cmp_nlt_f32_e64 s[50:51], |v36|, s9
                                        ; implicit-def: $vgpr44
	s_and_saveexec_b64 s[54:55], s[50:51]
	s_xor_b64 s[50:51], exec, s[54:55]
	s_cbranch_execz .LBB30_289
; %bb.288:                              ;   in Loop: Header=BB30_279 Depth=2
	v_add_f32_e64 v38, |v36|, |v36|
	v_mul_f32_e32 v39, 0x3fb8aa3b, v38
	v_rndne_f32_e32 v40, v39
	v_sub_f32_e32 v41, v39, v40
	v_fma_f32 v39, v38, s88, -v39
	v_fmac_f32_e32 v39, 0x32a5705f, v38
	v_add_f32_e32 v39, v41, v39
	v_cvt_i32_f32_e32 v40, v40
	v_exp_f32_e32 v39, v39
	v_cmp_ngt_f32_e32 vcc, s89, v38
	v_ldexp_f32 v39, v39, v40
	v_cndmask_b32_e32 v39, 0, v39, vcc
	v_cmp_nlt_f32_e32 vcc, s85, v38
	v_cndmask_b32_e32 v38, v144, v39, vcc
	v_add_f32_e32 v38, 1.0, v38
	v_rcp_f32_e32 v38, v38
	v_fma_f32 v44, v38, -2.0, 1.0
.LBB30_289:                             ;   in Loop: Header=BB30_279 Depth=2
	s_andn2_saveexec_b64 s[50:51], s[50:51]
; %bb.290:                              ;   in Loop: Header=BB30_279 Depth=2
	v_mul_f32_e32 v38, v36, v36
	v_mov_b32_e32 v39, 0x3ca908c9
	v_fmac_f32_e32 v39, 0xbbbac73d, v38
	v_fma_f32 v39, v38, v39, v218
	v_fma_f32 v39, v38, v39, v119
	;; [unrolled: 1-line block ×3, first 2 shown]
	v_mul_f32_e64 v39, |v36|, v39
	v_fma_f32 v44, v38, v39, |v36|
; %bb.291:                              ;   in Loop: Header=BB30_279 Depth=2
	s_or_b64 exec, exec, s[50:51]
	v_cmp_nlt_f32_e64 s[50:51], |v37|, s9
                                        ; implicit-def: $vgpr45
	s_and_saveexec_b64 s[54:55], s[50:51]
	s_xor_b64 s[50:51], exec, s[54:55]
	s_cbranch_execz .LBB30_293
; %bb.292:                              ;   in Loop: Header=BB30_279 Depth=2
	v_add_f32_e64 v38, |v37|, |v37|
	v_mul_f32_e32 v39, 0x3fb8aa3b, v38
	v_rndne_f32_e32 v40, v39
	v_sub_f32_e32 v41, v39, v40
	v_fma_f32 v39, v38, s88, -v39
	v_fmac_f32_e32 v39, 0x32a5705f, v38
	v_add_f32_e32 v39, v41, v39
	v_cvt_i32_f32_e32 v40, v40
	v_exp_f32_e32 v39, v39
	v_cmp_ngt_f32_e32 vcc, s89, v38
	v_ldexp_f32 v39, v39, v40
	v_cndmask_b32_e32 v39, 0, v39, vcc
	v_cmp_nlt_f32_e32 vcc, s85, v38
	v_cndmask_b32_e32 v38, v144, v39, vcc
	v_add_f32_e32 v38, 1.0, v38
	v_rcp_f32_e32 v38, v38
	v_fma_f32 v45, v38, -2.0, 1.0
.LBB30_293:                             ;   in Loop: Header=BB30_279 Depth=2
	s_andn2_saveexec_b64 s[50:51], s[50:51]
; %bb.294:                              ;   in Loop: Header=BB30_279 Depth=2
	v_mul_f32_e32 v38, v37, v37
	v_mov_b32_e32 v39, 0x3ca908c9
	v_fmac_f32_e32 v39, 0xbbbac73d, v38
	v_fma_f32 v39, v38, v39, v218
	v_fma_f32 v39, v38, v39, v119
	v_fma_f32 v39, v38, v39, v151
	v_mul_f32_e64 v39, |v37|, v39
	v_fma_f32 v45, v38, v39, |v37|
; %bb.295:                              ;   in Loop: Header=BB30_279 Depth=2
	s_or_b64 exec, exec, s[50:51]
	v_accvgpr_read_b32 v41, a7
	v_accvgpr_read_b32 v38, a4
	v_accvgpr_read_b32 v40, a6
	v_accvgpr_read_b32 v39, a5
	v_cmp_nlt_f32_e64 s[50:51], |v38|, s9
                                        ; implicit-def: $vgpr46
	s_and_saveexec_b64 s[54:55], s[50:51]
	s_xor_b64 s[50:51], exec, s[54:55]
	s_cbranch_execz .LBB30_297
; %bb.296:                              ;   in Loop: Header=BB30_279 Depth=2
	v_add_f32_e64 v46, |v38|, |v38|
	v_mul_f32_e32 v47, 0x3fb8aa3b, v46
	v_rndne_f32_e32 v48, v47
	v_sub_f32_e32 v49, v47, v48
	v_fma_f32 v47, v46, s88, -v47
	v_fmac_f32_e32 v47, 0x32a5705f, v46
	v_add_f32_e32 v47, v49, v47
	v_cvt_i32_f32_e32 v48, v48
	v_exp_f32_e32 v47, v47
	v_cmp_ngt_f32_e32 vcc, s89, v46
	v_ldexp_f32 v47, v47, v48
	v_cndmask_b32_e32 v47, 0, v47, vcc
	v_cmp_nlt_f32_e32 vcc, s85, v46
	v_cndmask_b32_e32 v46, v144, v47, vcc
	v_add_f32_e32 v46, 1.0, v46
	v_rcp_f32_e32 v46, v46
	v_fma_f32 v46, v46, -2.0, 1.0
.LBB30_297:                             ;   in Loop: Header=BB30_279 Depth=2
	s_andn2_saveexec_b64 s[50:51], s[50:51]
; %bb.298:                              ;   in Loop: Header=BB30_279 Depth=2
	v_mul_f32_e32 v46, v38, v38
	v_mov_b32_e32 v47, 0x3ca908c9
	v_fmac_f32_e32 v47, 0xbbbac73d, v46
	v_fma_f32 v47, v46, v47, v218
	v_fma_f32 v47, v46, v47, v119
	;; [unrolled: 1-line block ×3, first 2 shown]
	v_mul_f32_e64 v47, |v38|, v47
	v_fma_f32 v46, v46, v47, |v38|
; %bb.299:                              ;   in Loop: Header=BB30_279 Depth=2
	s_or_b64 exec, exec, s[50:51]
	v_cmp_nlt_f32_e64 s[50:51], |v39|, s9
                                        ; implicit-def: $vgpr47
	s_and_saveexec_b64 s[54:55], s[50:51]
	s_xor_b64 s[50:51], exec, s[54:55]
	s_cbranch_execz .LBB30_301
; %bb.300:                              ;   in Loop: Header=BB30_279 Depth=2
	v_add_f32_e64 v47, |v39|, |v39|
	v_mul_f32_e32 v48, 0x3fb8aa3b, v47
	v_rndne_f32_e32 v49, v48
	v_sub_f32_e32 v93, v48, v49
	v_fma_f32 v48, v47, s88, -v48
	v_fmac_f32_e32 v48, 0x32a5705f, v47
	v_add_f32_e32 v48, v93, v48
	v_cvt_i32_f32_e32 v49, v49
	v_exp_f32_e32 v48, v48
	v_cmp_ngt_f32_e32 vcc, s89, v47
	v_ldexp_f32 v48, v48, v49
	v_cndmask_b32_e32 v48, 0, v48, vcc
	v_cmp_nlt_f32_e32 vcc, s85, v47
	v_cndmask_b32_e32 v47, v144, v48, vcc
	v_add_f32_e32 v47, 1.0, v47
	v_rcp_f32_e32 v47, v47
	v_fma_f32 v47, v47, -2.0, 1.0
.LBB30_301:                             ;   in Loop: Header=BB30_279 Depth=2
	s_andn2_saveexec_b64 s[50:51], s[50:51]
; %bb.302:                              ;   in Loop: Header=BB30_279 Depth=2
	v_mul_f32_e32 v47, v39, v39
	v_mov_b32_e32 v48, 0x3ca908c9
	v_fmac_f32_e32 v48, 0xbbbac73d, v47
	v_fma_f32 v48, v47, v48, v218
	v_fma_f32 v48, v47, v48, v119
	;; [unrolled: 1-line block ×3, first 2 shown]
	v_mul_f32_e64 v48, |v39|, v48
	v_fma_f32 v47, v47, v48, |v39|
; %bb.303:                              ;   in Loop: Header=BB30_279 Depth=2
	s_or_b64 exec, exec, s[50:51]
	v_cmp_nlt_f32_e64 s[50:51], |v40|, s9
                                        ; implicit-def: $vgpr48
	s_and_saveexec_b64 s[54:55], s[50:51]
	s_xor_b64 s[50:51], exec, s[54:55]
	s_cbranch_execz .LBB30_305
; %bb.304:                              ;   in Loop: Header=BB30_279 Depth=2
	v_add_f32_e64 v48, |v40|, |v40|
	v_mul_f32_e32 v49, 0x3fb8aa3b, v48
	v_rndne_f32_e32 v93, v49
	v_sub_f32_e32 v176, v49, v93
	v_fma_f32 v49, v48, s88, -v49
	v_fmac_f32_e32 v49, 0x32a5705f, v48
	v_add_f32_e32 v49, v176, v49
	v_cvt_i32_f32_e32 v93, v93
	v_exp_f32_e32 v49, v49
	v_cmp_ngt_f32_e32 vcc, s89, v48
	v_ldexp_f32 v49, v49, v93
	v_cndmask_b32_e32 v49, 0, v49, vcc
	v_cmp_nlt_f32_e32 vcc, s85, v48
	v_cndmask_b32_e32 v48, v144, v49, vcc
	v_add_f32_e32 v48, 1.0, v48
	v_rcp_f32_e32 v48, v48
	v_fma_f32 v48, v48, -2.0, 1.0
.LBB30_305:                             ;   in Loop: Header=BB30_279 Depth=2
	s_andn2_saveexec_b64 s[50:51], s[50:51]
; %bb.306:                              ;   in Loop: Header=BB30_279 Depth=2
	v_mul_f32_e32 v48, v40, v40
	v_mov_b32_e32 v49, 0x3ca908c9
	v_fmac_f32_e32 v49, 0xbbbac73d, v48
	v_fma_f32 v49, v48, v49, v218
	v_fma_f32 v49, v48, v49, v119
	;; [unrolled: 1-line block ×3, first 2 shown]
	v_mul_f32_e64 v49, |v40|, v49
	v_fma_f32 v48, v48, v49, |v40|
; %bb.307:                              ;   in Loop: Header=BB30_279 Depth=2
	s_or_b64 exec, exec, s[50:51]
	v_cmp_nlt_f32_e64 s[50:51], |v41|, s9
                                        ; implicit-def: $vgpr93
	s_and_saveexec_b64 s[54:55], s[50:51]
	s_xor_b64 s[50:51], exec, s[54:55]
	s_cbranch_execz .LBB30_309
; %bb.308:                              ;   in Loop: Header=BB30_279 Depth=2
	v_add_f32_e64 v49, |v41|, |v41|
	v_mul_f32_e32 v93, 0x3fb8aa3b, v49
	v_rndne_f32_e32 v176, v93
	v_sub_f32_e32 v177, v93, v176
	v_fma_f32 v93, v49, s88, -v93
	v_fmac_f32_e32 v93, 0x32a5705f, v49
	v_add_f32_e32 v93, v177, v93
	v_cvt_i32_f32_e32 v176, v176
	v_exp_f32_e32 v93, v93
	v_cmp_ngt_f32_e32 vcc, s89, v49
	v_ldexp_f32 v93, v93, v176
	v_cndmask_b32_e32 v93, 0, v93, vcc
	v_cmp_nlt_f32_e32 vcc, s85, v49
	v_cndmask_b32_e32 v49, v144, v93, vcc
	v_add_f32_e32 v49, 1.0, v49
	v_rcp_f32_e32 v49, v49
	v_fma_f32 v93, v49, -2.0, 1.0
.LBB30_309:                             ;   in Loop: Header=BB30_279 Depth=2
	s_andn2_saveexec_b64 s[50:51], s[50:51]
; %bb.310:                              ;   in Loop: Header=BB30_279 Depth=2
	v_mul_f32_e32 v49, v41, v41
	v_mov_b32_e32 v93, 0x3ca908c9
	v_fmac_f32_e32 v93, 0xbbbac73d, v49
	v_fma_f32 v93, v49, v93, v218
	v_fma_f32 v93, v49, v93, v119
	;; [unrolled: 1-line block ×3, first 2 shown]
	v_mul_f32_e64 v93, |v41|, v93
	v_fma_f32 v93, v49, v93, |v41|
; %bb.311:                              ;   in Loop: Header=BB30_279 Depth=2
	s_or_b64 exec, exec, s[50:51]
	v_bfi_b32 v34, s8, v34, v35
	v_bfi_b32 v39, s8, v47, v39
	v_mul_f32_e32 v47, s97, v34
	v_bfi_b32 v34, s8, v44, v36
	v_bfi_b32 v40, s8, v48, v40
	v_mul_f32_e32 v48, s97, v34
	v_bfi_b32 v34, s8, v45, v37
	v_bfi_b32 v38, s8, v46, v38
	;; [unrolled: 1-line block ×3, first 2 shown]
	v_mul_f32_e32 v49, s97, v34
	v_bfi_b32 v34, s8, v93, v41
	v_mul_f32_e32 v38, s97, v38
	v_mul_f32_e32 v39, s97, v39
	;; [unrolled: 1-line block ×5, first 2 shown]
	s_and_b64 vcc, exec, s[48:49]
	s_cbranch_vccz .LBB30_313
; %bb.312:                              ;   in Loop: Header=BB30_279 Depth=2
	v_accvgpr_read_b32 v34, a72
	v_add_u32_e32 v34, 0x8400, v34
	v_accvgpr_read_b32 v36, a74
	ds_read2_b32 v[34:35], v34 offset1:1
	ds_read_b32 v42, v36 offset:33792
	v_accvgpr_read_b32 v36, a76
	ds_read_b32 v43, v36 offset:33792
	v_mov_b32_e32 v93, v92
	s_waitcnt lgkmcnt(2)
	v_cvt_f32_f16_e32 v36, v34
	v_cvt_f32_f16_sdwa v37, v34 dst_sel:DWORD dst_unused:UNUSED_PAD src0_sel:WORD_1
	v_cvt_f32_f16_e32 v34, v35
	v_cvt_f32_f16_sdwa v35, v35 dst_sel:DWORD dst_unused:UNUSED_PAD src0_sel:WORD_1
	s_waitcnt lgkmcnt(1)
	v_cvt_f32_f16_sdwa v177, v42 dst_sel:DWORD dst_unused:UNUSED_PAD src0_sel:WORD_1
	s_waitcnt lgkmcnt(0)
	v_cvt_f32_f16_sdwa v179, v43 dst_sel:DWORD dst_unused:UNUSED_PAD src0_sel:WORD_1
	v_cvt_f32_f16_e32 v178, v43
	v_cvt_f32_f16_e32 v176, v42
	v_pk_fma_f32 v[44:45], v[92:93], v[34:35], v[48:49]
	v_pk_fma_f32 v[42:43], v[94:95], v[36:37], v[46:47]
	v_pk_fma_f32 v[36:37], v[92:93], v[178:179], v[40:41]
	v_pk_fma_f32 v[34:35], v[94:95], v[176:177], v[38:39]
	s_mov_b64 s[50:51], 0
	s_branch .LBB30_314
.LBB30_313:                             ;   in Loop: Header=BB30_279 Depth=2
	s_mov_b64 s[50:51], -1
                                        ; implicit-def: $vgpr42_vgpr43_vgpr44_vgpr45
                                        ; implicit-def: $vgpr34_vgpr35_vgpr36_vgpr37
.LBB30_314:                             ;   in Loop: Header=BB30_279 Depth=2
	v_accvgpr_write_b32 a7, v187
	v_accvgpr_write_b32 a6, v186
	;; [unrolled: 1-line block ×4, first 2 shown]
	s_andn2_b64 vcc, exec, s[50:51]
	s_cbranch_vccnz .LBB30_316
; %bb.315:                              ;   in Loop: Header=BB30_279 Depth=2
	v_pk_mov_b32 v[34:35], v[38:39], v[38:39] op_sel:[0,1]
	v_pk_mov_b32 v[42:43], v[46:47], v[46:47] op_sel:[0,1]
	;; [unrolled: 1-line block ×4, first 2 shown]
.LBB30_316:                             ;   in Loop: Header=BB30_279 Depth=2
	v_add_f32_e32 v38, 0x40051340, v42
	v_max_f32_e32 v39, v174, v174
	v_max_f32_e32 v38, v39, v38
	v_cndmask_b32_e64 v38, v174, v38, s[22:23]
	v_add_f32_e32 v39, 0x40051340, v43
	v_max_f32_e32 v40, v38, v38
	v_max_f32_e32 v39, v40, v39
	v_cndmask_b32_e64 v38, v38, v39, s[24:25]
	;; [unrolled: 4-line block ×8, first 2 shown]
	ds_bpermute_b32 v39, v204, v38
	v_max_f32_e32 v38, v38, v38
	v_cndmask_b32_e64 v35, v35, v35, s[30:31]
	v_cndmask_b32_e64 v36, v36, v36, s[30:31]
	;; [unrolled: 1-line block ×3, first 2 shown]
	s_waitcnt lgkmcnt(0)
	v_max_f32_e32 v39, v39, v39
	v_max_f32_e32 v38, v38, v39
	ds_bpermute_b32 v39, v215, v38
	buffer_store_dword v125, off, s[0:3], 0
	buffer_store_dword v125, off, s[0:3], 0 offset:4
	buffer_store_dword v125, off, s[0:3], 0 offset:8
	;; [unrolled: 1-line block ×3, first 2 shown]
	s_add_i32 s52, s52, -1
	s_cmp_lg_u32 s52, 0
	s_waitcnt lgkmcnt(0)
	v_max_f32_e32 v39, v39, v39
	v_max_f32_e32 v46, v38, v39
	v_sub_f32_e32 v38, v42, v46
	v_mul_f32_e32 v39, 0x3fb8aa3b, v38
	v_fma_f32 v40, v38, s88, -v39
	v_rndne_f32_e32 v41, v39
	v_fmac_f32_e32 v40, 0x32a5705f, v38
	v_sub_f32_e32 v39, v39, v41
	v_add_f32_e32 v39, v39, v40
	v_exp_f32_e32 v39, v39
	v_cvt_i32_f32_e32 v40, v41
	v_cmp_ngt_f32_e32 vcc, s89, v38
	v_sub_f32_e32 v34, v34, v46
	v_sub_f32_e32 v35, v35, v46
	v_ldexp_f32 v39, v39, v40
	v_cndmask_b32_e32 v39, 0, v39, vcc
	v_cmp_nlt_f32_e32 vcc, s85, v38
	v_cndmask_b32_e32 v38, v144, v39, vcc
	v_sub_f32_e32 v39, v43, v46
	v_mul_f32_e32 v40, 0x3fb8aa3b, v39
	v_fma_f32 v41, v39, s88, -v40
	v_rndne_f32_e32 v42, v40
	v_fmac_f32_e32 v41, 0x32a5705f, v39
	v_sub_f32_e32 v40, v40, v42
	v_add_f32_e32 v40, v40, v41
	v_exp_f32_e32 v40, v40
	v_cvt_i32_f32_e32 v41, v42
	v_cmp_ngt_f32_e32 vcc, s89, v39
	v_cndmask_b32_e64 v38, 0, v38, s[22:23]
	v_cndmask_b32_e64 v43, v44, v44, s[24:25]
	v_ldexp_f32 v40, v40, v41
	v_cndmask_b32_e32 v40, 0, v40, vcc
	v_cmp_nlt_f32_e32 vcc, s85, v39
	v_cndmask_b32_e32 v40, v144, v40, vcc
	v_mov_b32_e32 v39, s45
	v_add_f32_e32 v41, v40, v38
	v_cndmask_b32_e64 v176, v39, v40, s[24:25]
	v_sub_f32_e32 v40, v43, v46
	v_cndmask_b32_e64 v39, v38, v41, s[24:25]
	v_mul_f32_e32 v41, 0x3fb8aa3b, v40
	v_fma_f32 v43, v40, s88, -v41
	v_rndne_f32_e32 v44, v41
	v_fmac_f32_e32 v43, 0x32a5705f, v40
	v_sub_f32_e32 v41, v41, v44
	v_add_f32_e32 v41, v41, v43
	v_exp_f32_e32 v41, v41
	v_cvt_i32_f32_e32 v43, v44
	v_cmp_ngt_f32_e32 vcc, s89, v40
	v_cndmask_b32_e64 v42, v45, v45, s[24:25]
	v_ldexp_f32 v41, v41, v43
	v_cndmask_b32_e32 v41, 0, v41, vcc
	v_cmp_nlt_f32_e32 vcc, s85, v40
	v_cndmask_b32_e32 v41, v144, v41, vcc
	v_add_f32_e32 v43, v39, v41
	v_mov_b32_e32 v40, s45
	v_cndmask_b32_e64 v40, v40, v41, s[26:27]
	v_cndmask_b32_e64 v41, v39, v43, s[26:27]
	v_sub_f32_e32 v39, v42, v46
	v_mul_f32_e32 v42, 0x3fb8aa3b, v39
	v_fma_f32 v43, v39, s88, -v42
	v_rndne_f32_e32 v44, v42
	v_fmac_f32_e32 v43, 0x32a5705f, v39
	v_sub_f32_e32 v42, v42, v44
	v_add_f32_e32 v42, v42, v43
	v_exp_f32_e32 v42, v42
	v_cvt_i32_f32_e32 v43, v44
	v_cmp_ngt_f32_e32 vcc, s89, v39
	v_ldexp_f32 v42, v42, v43
	v_cndmask_b32_e32 v42, 0, v42, vcc
	v_cmp_nlt_f32_e32 vcc, s85, v39
	v_cndmask_b32_e32 v42, v144, v42, vcc
	v_mov_b32_e32 v39, s45
	v_add_f32_e32 v43, v41, v42
	v_cndmask_b32_e64 v39, v39, v42, s[28:29]
	v_mul_f32_e32 v42, 0x3fb8aa3b, v34
	v_cndmask_b32_e64 v41, v41, v43, s[28:29]
	v_fma_f32 v43, v34, s88, -v42
	v_rndne_f32_e32 v44, v42
	v_fmac_f32_e32 v43, 0x32a5705f, v34
	v_sub_f32_e32 v42, v42, v44
	v_add_f32_e32 v42, v42, v43
	v_exp_f32_e32 v42, v42
	v_cvt_i32_f32_e32 v43, v44
	v_cmp_ngt_f32_e32 vcc, s89, v34
	v_ldexp_f32 v42, v42, v43
	v_cndmask_b32_e32 v42, 0, v42, vcc
	v_cmp_nlt_f32_e32 vcc, s85, v34
	v_cndmask_b32_e32 v42, v144, v42, vcc
	v_add_f32_e32 v43, v42, v41
	v_mov_b32_e32 v34, s45
	v_cndmask_b32_e64 v177, v34, v42, s[30:31]
	v_cndmask_b32_e64 v34, v41, v43, s[30:31]
	v_mul_f32_e32 v41, 0x3fb8aa3b, v35
	v_fma_f32 v42, v35, s88, -v41
	v_rndne_f32_e32 v43, v41
	v_fmac_f32_e32 v42, 0x32a5705f, v35
	v_sub_f32_e32 v41, v41, v43
	v_add_f32_e32 v41, v41, v42
	v_exp_f32_e32 v41, v41
	v_cvt_i32_f32_e32 v42, v43
	v_cmp_ngt_f32_e32 vcc, s89, v35
	v_ldexp_f32 v41, v41, v42
	v_cndmask_b32_e32 v41, 0, v41, vcc
	v_cmp_nlt_f32_e32 vcc, s85, v35
	v_cndmask_b32_e32 v41, v144, v41, vcc
	v_add_f32_e32 v42, v41, v34
	v_mov_b32_e32 v35, s45
	v_cndmask_b32_e64 v41, v35, v41, s[34:35]
	v_cndmask_b32_e64 v35, v34, v42, s[34:35]
	v_sub_f32_e32 v34, v36, v46
	v_mul_f32_e32 v36, 0x3fb8aa3b, v34
	v_fma_f32 v42, v34, s88, -v36
	v_rndne_f32_e32 v43, v36
	v_fmac_f32_e32 v42, 0x32a5705f, v34
	v_sub_f32_e32 v36, v36, v43
	v_add_f32_e32 v36, v36, v42
	v_exp_f32_e32 v36, v36
	v_cvt_i32_f32_e32 v42, v43
	v_cmp_ngt_f32_e32 vcc, s89, v34
	v_ldexp_f32 v36, v36, v42
	v_cndmask_b32_e32 v36, 0, v36, vcc
	v_cmp_nlt_f32_e32 vcc, s85, v34
	v_cndmask_b32_e32 v36, v144, v36, vcc
	v_add_f32_e32 v42, v36, v35
	v_mov_b32_e32 v34, s45
	v_cndmask_b32_e64 v178, v34, v36, s[36:37]
	v_cndmask_b32_e64 v34, v35, v42, s[36:37]
	v_sub_f32_e32 v35, v37, v46
	v_mul_f32_e32 v36, 0x3fb8aa3b, v35
	v_fma_f32 v37, v35, s88, -v36
	v_rndne_f32_e32 v42, v36
	v_fmac_f32_e32 v37, 0x32a5705f, v35
	v_sub_f32_e32 v36, v36, v42
	v_add_f32_e32 v36, v36, v37
	v_exp_f32_e32 v36, v36
	v_cvt_i32_f32_e32 v37, v42
	v_cmp_ngt_f32_e32 vcc, s89, v35
	v_ldexp_f32 v36, v36, v37
	v_cndmask_b32_e32 v36, 0, v36, vcc
	v_cmp_nlt_f32_e32 vcc, s85, v35
	v_cndmask_b32_e32 v36, v144, v36, vcc
	v_add_f32_e32 v37, v36, v34
	v_mov_b32_e32 v35, s45
	v_cndmask_b32_e64 v42, v34, v37, s[38:39]
	v_sub_f32_e32 v34, v174, v46
	v_cndmask_b32_e64 v35, v35, v36, s[38:39]
	v_mul_f32_e32 v36, 0x3fb8aa3b, v34
	v_fma_f32 v37, v34, s88, -v36
	v_rndne_f32_e32 v43, v36
	v_fmac_f32_e32 v37, 0x32a5705f, v34
	v_sub_f32_e32 v36, v36, v43
	v_add_f32_e32 v36, v36, v37
	v_exp_f32_e32 v36, v36
	v_cvt_i32_f32_e32 v37, v43
	v_cmp_ngt_f32_e32 vcc, s89, v34
	v_cvt_f16_f32_e32 v35, v35
	v_ldexp_f32 v36, v36, v37
	v_cndmask_b32_e32 v36, 0, v36, vcc
	v_cmp_nlt_f32_e32 vcc, s85, v34
	v_cndmask_b32_e32 v36, v144, v36, vcc
	v_cmp_le_f32_e32 vcc, s81, v34
	v_cndmask_b32_e32 v34, 0, v36, vcc
	v_fmac_f32_e32 v42, v173, v34
	v_cvt_f16_f32_e32 v34, v34
	v_cvt_f16_f32_e32 v36, v176
	;; [unrolled: 1-line block ×3, first 2 shown]
	v_pk_mul_f16 v219, v34, v219 op_sel_hi:[0,1]
	v_pk_mul_f16 v52, v34, v52 op_sel_hi:[0,1]
	;; [unrolled: 1-line block ×32, first 2 shown]
	v_cvt_f16_f32_e32 v34, v38
	v_cvt_f16_f32_e32 v38, v41
	v_mov_b32_e32 v164, s94
	v_cvt_f32_f16_e32 v172, v0
	v_pack_b32_f16 v36, v34, v36
	v_cvt_f16_f32_e32 v34, v40
	v_mov_b32_e32 v40, s95
	v_pack_b32_f16 v37, v34, v37
	v_cvt_f16_f32_e32 v34, v177
	v_pack_b32_f16 v34, v34, v38
	v_cvt_f16_f32_e32 v38, v178
	v_pack_b32_f16 v35, v38, v35
	v_add_co_u32_e32 v38, vcc, v96, v90
	v_addc_co_u32_e32 v39, vcc, 0, v1, vcc
	v_cndmask_b32_e64 v167, v40, v39, s[6:7]
	v_cndmask_b32_e64 v166, v164, v38, s[6:7]
	flat_load_dwordx4 v[176:179], v[166:167]
	v_add_co_u32_e32 v38, vcc, v98, v90
	v_addc_co_u32_e32 v39, vcc, 0, v51, vcc
	v_cndmask_b32_e64 v171, v40, v39, s[90:91]
	v_cndmask_b32_e64 v170, v164, v38, s[90:91]
	v_add_co_u32_e32 v38, vcc, v100, v90
	v_addc_co_u32_e32 v39, vcc, 0, v53, vcc
	v_cndmask_b32_e64 v181, v40, v39, s[10:11]
	v_cndmask_b32_e64 v180, v164, v38, s[10:11]
	;; [unrolled: 4-line block ×7, first 2 shown]
	v_add_u32_e32 v168, v226, v224
	v_add_co_u32_e32 v96, vcc, s42, v96
	s_waitcnt vmcnt(0) lgkmcnt(0)
	ds_write_b128 v152, v[176:179]
	flat_load_dwordx4 v[176:179], v[170:171]
	s_waitcnt vmcnt(0) lgkmcnt(0)
	ds_write_b128 v209, v[176:179]
	flat_load_dwordx4 v[176:179], v[180:181]
	;; [unrolled: 3-line block ×4, first 2 shown]
	v_accvgpr_read_b32 v184, a4
	v_accvgpr_read_b32 v185, a5
	s_waitcnt vmcnt(0) lgkmcnt(0)
	ds_write_b128 v200, v[176:179]
	flat_load_dwordx4 v[176:179], v[186:187]
	v_accvgpr_read_b32 v186, a6
	v_accvgpr_read_b32 v187, a7
	s_waitcnt vmcnt(0) lgkmcnt(0)
	ds_write_b128 v208, v[176:179]
	flat_load_dwordx4 v[176:179], v[38:39]
	s_waitcnt vmcnt(0) lgkmcnt(0)
	ds_write_b128 v220, v[176:179]
	flat_load_dwordx4 v[38:41], v[40:41]
	v_cvt_f32_f16_e32 v176, v219
	v_cvt_f32_f16_sdwa v177, v219 dst_sel:DWORD dst_unused:UNUSED_PAD src0_sel:WORD_1
	v_cvt_f32_f16_e32 v178, v52
	v_cvt_f32_f16_sdwa v179, v52 dst_sel:DWORD dst_unused:UNUSED_PAD src0_sel:WORD_1
	v_accvgpr_write_b32 a0, v176
	v_accvgpr_write_b32 a1, v177
	;; [unrolled: 1-line block ×4, first 2 shown]
	s_waitcnt vmcnt(0) lgkmcnt(0)
	ds_write_b128 v222, v[38:41]
	v_add_u32_e32 v38, v153, v224
	s_waitcnt lgkmcnt(0)
	s_barrier
	ds_read_u16 v39, v38 offset:528
	ds_read_u16 v40, v242 offset:1056
	v_add_u32_e32 v38, v153, v225
	ds_read_u16 v41, v38
	ds_read_u16 v164, v38 offset:32
	s_waitcnt lgkmcnt(1)
	v_perm_b32 v41, v41, v40, s46
	ds_read_u16 v40, v169
	ds_read_u16 v166, v169 offset:32
	ds_read_u16 v167, v169 offset:16896
	;; [unrolled: 1-line block ×5, first 2 shown]
	s_waitcnt lgkmcnt(5)
	v_perm_b32 v40, v39, v40, s46
	s_nop 1
	v_mfma_f32_16x16x16f16 a[0:3], v[40:41], v[36:37], a[0:3]
	s_nop 7
	s_nop 2
	v_accvgpr_read_b32 v39, a0
	v_cvt_f16_f32_e32 v39, v39
	v_accvgpr_read_b32 v40, a1
	v_accvgpr_read_b32 v41, a2
	;; [unrolled: 1-line block ×3, first 2 shown]
	v_cvt_f16_f32_e32 v40, v40
	v_cvt_f16_f32_e32 v41, v41
	;; [unrolled: 1-line block ×3, first 2 shown]
	v_cvt_f32_f16_e32 v176, v39
	v_cvt_f32_f16_e32 v177, v40
	;; [unrolled: 1-line block ×4, first 2 shown]
	s_waitcnt lgkmcnt(0)
	v_perm_b32 v41, v171, v170, s46
	v_perm_b32 v40, v168, v167, s46
	v_accvgpr_write_b32 a0, v176
	v_accvgpr_write_b32 a1, v177
	;; [unrolled: 1-line block ×4, first 2 shown]
	v_cvt_f32_f16_e32 v176, v223
	v_cvt_f32_f16_sdwa v177, v223 dst_sel:DWORD dst_unused:UNUSED_PAD src0_sel:WORD_1
	v_mfma_f32_16x16x16f16 a[0:3], v[40:41], v[34:35], a[0:3]
	v_cvt_f32_f16_e32 v178, v221
	v_cvt_f32_f16_sdwa v179, v221 dst_sel:DWORD dst_unused:UNUSED_PAD src0_sel:WORD_1
	v_add_u32_e32 v167, v184, v224
	v_accvgpr_read_b32 v168, a36
	v_add_u32_e32 v170, v227, v225
	v_cvt_f32_f16_sdwa v171, v173 dst_sel:DWORD dst_unused:UNUSED_PAD src0_sel:WORD_1
	s_nop 4
	v_accvgpr_read_b32 v39, a0
	v_accvgpr_read_b32 v40, a1
	v_cvt_f16_f32_e32 v39, v39
	v_cvt_f16_f32_e32 v40, v40
	v_accvgpr_read_b32 v41, a2
	v_accvgpr_read_b32 v52, a3
	v_cvt_f16_f32_e32 v41, v41
	v_pack_b32_f16 v219, v39, v40
	v_add_u32_e32 v39, v227, v224
	ds_read_u16 v39, v39 offset:528
	ds_read_u16 v40, v244 offset:1056
	v_cvt_f16_f32_e32 v52, v52
	v_accvgpr_write_b32 a0, v176
	v_accvgpr_write_b32 a1, v177
	;; [unrolled: 1-line block ×3, first 2 shown]
	v_pack_b32_f16 v52, v41, v52
	s_waitcnt lgkmcnt(0)
	v_perm_b32 v41, v164, v40, s46
	v_perm_b32 v40, v39, v166, s46
	v_accvgpr_write_b32 a3, v179
	v_accvgpr_read_b32 v166, a35
	ds_read_u16 v166, v166 offset:16896
	ds_read_u16 v167, v167 offset:528
	;; [unrolled: 1-line block ×4, first 2 shown]
	v_mfma_f32_16x16x16f16 a[0:3], v[40:41], v[36:37], a[0:3]
	s_nop 7
	s_nop 2
	v_accvgpr_read_b32 v39, a0
	v_cvt_f16_f32_e32 v39, v39
	v_accvgpr_read_b32 v40, a1
	v_accvgpr_read_b32 v41, a2
	;; [unrolled: 1-line block ×3, first 2 shown]
	v_cvt_f16_f32_e32 v40, v40
	v_cvt_f16_f32_e32 v41, v41
	;; [unrolled: 1-line block ×3, first 2 shown]
	v_cvt_f32_f16_e32 v176, v39
	v_cvt_f32_f16_e32 v177, v40
	;; [unrolled: 1-line block ×4, first 2 shown]
	s_waitcnt lgkmcnt(0)
	v_perm_b32 v41, v170, v168, s46
	v_perm_b32 v40, v167, v166, s46
	v_accvgpr_write_b32 a0, v176
	v_accvgpr_write_b32 a1, v177
	;; [unrolled: 1-line block ×4, first 2 shown]
	v_cvt_f32_f16_e32 v176, v174
	v_cvt_f32_f16_sdwa v177, v174 dst_sel:DWORD dst_unused:UNUSED_PAD src0_sel:WORD_1
	v_mfma_f32_16x16x16f16 a[0:3], v[40:41], v[34:35], a[0:3]
	v_cvt_f32_f16_e32 v178, v123
	v_cvt_f32_f16_sdwa v179, v123 dst_sel:DWORD dst_unused:UNUSED_PAD src0_sel:WORD_1
	v_add_u32_e32 v166, v185, v224
	v_accvgpr_read_b32 v167, a38
	v_add_u32_e32 v168, v228, v225
	v_cvt_f32_f16_e32 v170, v173
	v_cvt_f32_f16_sdwa v173, v0 dst_sel:DWORD dst_unused:UNUSED_PAD src0_sel:WORD_1
	s_nop 3
	v_accvgpr_read_b32 v39, a0
	v_accvgpr_read_b32 v40, a1
	v_cvt_f16_f32_e32 v39, v39
	v_cvt_f16_f32_e32 v40, v40
	v_accvgpr_read_b32 v41, a2
	v_accvgpr_read_b32 v164, a3
	v_cvt_f16_f32_e32 v41, v41
	v_cvt_f16_f32_e32 v164, v164
	v_pack_b32_f16 v223, v39, v40
	v_add_u32_e32 v40, v228, v224
	ds_read_u16 v39, v169 offset:64
	v_pack_b32_f16 v221, v41, v164
	ds_read_u16 v40, v40 offset:528
	ds_read_u16 v41, v245 offset:1056
	;; [unrolled: 1-line block ×3, first 2 shown]
	v_accvgpr_write_b32 a0, v176
	v_accvgpr_write_b32 a1, v177
	s_waitcnt lgkmcnt(2)
	v_perm_b32 v40, v40, v39, s46
	v_accvgpr_write_b32 a2, v178
	s_waitcnt lgkmcnt(0)
	v_perm_b32 v41, v164, v41, s46
	v_accvgpr_write_b32 a3, v179
	v_accvgpr_read_b32 v164, a37
	ds_read_u16 v164, v164 offset:16896
	ds_read_u16 v166, v166 offset:528
	;; [unrolled: 1-line block ×4, first 2 shown]
	v_mfma_f32_16x16x16f16 a[0:3], v[40:41], v[36:37], a[0:3]
	s_nop 7
	s_nop 2
	v_accvgpr_read_b32 v39, a0
	v_cvt_f16_f32_e32 v39, v39
	v_accvgpr_read_b32 v40, a1
	v_accvgpr_read_b32 v41, a2
	;; [unrolled: 1-line block ×3, first 2 shown]
	v_cvt_f16_f32_e32 v40, v40
	v_cvt_f16_f32_e32 v41, v41
	;; [unrolled: 1-line block ×3, first 2 shown]
	v_cvt_f32_f16_e32 v176, v39
	v_cvt_f32_f16_e32 v177, v40
	;; [unrolled: 1-line block ×4, first 2 shown]
	s_waitcnt lgkmcnt(0)
	v_perm_b32 v41, v168, v167, s46
	v_perm_b32 v40, v166, v164, s46
	v_accvgpr_write_b32 a0, v176
	v_accvgpr_write_b32 a1, v177
	;; [unrolled: 1-line block ×4, first 2 shown]
	v_add_u32_e32 v166, v186, v224
	v_accvgpr_read_b32 v167, a40
	v_mfma_f32_16x16x16f16 a[0:3], v[40:41], v[34:35], a[0:3]
	v_add_u32_e32 v168, v229, v225
	v_cvt_f32_f16_e32 v176, v44
	v_cvt_f32_f16_sdwa v177, v44 dst_sel:DWORD dst_unused:UNUSED_PAD src0_sel:WORD_1
	v_cvt_f32_f16_e32 v178, v43
	v_cvt_f32_f16_sdwa v179, v43 dst_sel:DWORD dst_unused:UNUSED_PAD src0_sel:WORD_1
	v_add_u32_e32 v44, v241, v225
	s_nop 4
	v_accvgpr_read_b32 v39, a0
	v_accvgpr_read_b32 v40, a1
	v_cvt_f16_f32_e32 v39, v39
	v_cvt_f16_f32_e32 v40, v40
	v_accvgpr_read_b32 v41, a2
	v_accvgpr_read_b32 v123, a3
	v_cvt_f16_f32_e32 v41, v41
	v_cvt_f16_f32_e32 v164, v123
	v_pack_b32_f16 v123, v39, v40
	v_add_u32_e32 v40, v229, v224
	ds_read_u16 v39, v169 offset:96
	v_pack_b32_f16 v203, v41, v164
	ds_read_u16 v40, v40 offset:528
	ds_read_u16 v41, v246 offset:1056
	;; [unrolled: 1-line block ×3, first 2 shown]
	v_accvgpr_write_b32 a0, v170
	v_accvgpr_write_b32 a1, v171
	s_waitcnt lgkmcnt(2)
	v_perm_b32 v40, v40, v39, s46
	v_accvgpr_write_b32 a2, v172
	s_waitcnt lgkmcnt(0)
	v_perm_b32 v41, v164, v41, s46
	v_accvgpr_write_b32 a3, v173
	v_accvgpr_read_b32 v164, a39
	ds_read_u16 v164, v164 offset:16896
	ds_read_u16 v166, v166 offset:528
	;; [unrolled: 1-line block ×4, first 2 shown]
	v_mfma_f32_16x16x16f16 a[0:3], v[40:41], v[36:37], a[0:3]
	s_nop 7
	s_nop 2
	v_accvgpr_read_b32 v0, a0
	v_cvt_f16_f32_e32 v0, v0
	v_accvgpr_read_b32 v39, a1
	v_accvgpr_read_b32 v40, a2
	v_accvgpr_read_b32 v41, a3
	v_cvt_f16_f32_e32 v39, v39
	v_cvt_f16_f32_e32 v40, v40
	;; [unrolled: 1-line block ×3, first 2 shown]
	v_cvt_f32_f16_e32 v170, v0
	v_cvt_f32_f16_e32 v171, v39
	v_cvt_f32_f16_e32 v172, v40
	v_cvt_f32_f16_e32 v173, v41
	s_waitcnt lgkmcnt(0)
	v_perm_b32 v41, v168, v167, s46
	v_perm_b32 v40, v166, v164, s46
	v_accvgpr_write_b32 a0, v170
	v_accvgpr_write_b32 a1, v171
	;; [unrolled: 1-line block ×4, first 2 shown]
	v_cvt_f32_f16_e32 v170, v55
	v_cvt_f32_f16_sdwa v171, v55 dst_sel:DWORD dst_unused:UNUSED_PAD src0_sel:WORD_1
	v_mfma_f32_16x16x16f16 a[0:3], v[40:41], v[34:35], a[0:3]
	v_cvt_f32_f16_e32 v172, v54
	v_cvt_f32_f16_sdwa v173, v54 dst_sel:DWORD dst_unused:UNUSED_PAD src0_sel:WORD_1
	v_accvgpr_read_b32 v55, a41
	v_accvgpr_read_b32 v166, a42
	v_add_u32_e32 v167, v230, v225
	v_add_u32_e32 v168, v231, v225
	s_nop 4
	v_accvgpr_read_b32 v40, a2
	v_accvgpr_read_b32 v41, a3
	;; [unrolled: 1-line block ×4, first 2 shown]
	v_cvt_f16_f32_e32 v40, v40
	v_cvt_f16_f32_e32 v41, v41
	;; [unrolled: 1-line block ×4, first 2 shown]
	v_accvgpr_write_b32 a0, v170
	v_pack_b32_f16 v201, v40, v41
	v_add_u32_e32 v40, v230, v224
	v_pack_b32_f16 v0, v0, v39
	ds_read_u16 v39, v169 offset:128
	ds_read_u16 v40, v40 offset:528
	;; [unrolled: 1-line block ×4, first 2 shown]
	v_accvgpr_write_b32 a1, v171
	v_accvgpr_write_b32 a2, v172
	;; [unrolled: 1-line block ×3, first 2 shown]
	s_waitcnt lgkmcnt(2)
	v_perm_b32 v40, v40, v39, s46
	s_waitcnt lgkmcnt(0)
	v_perm_b32 v41, v164, v41, s46
	v_add_u32_e32 v164, v187, v224
	ds_read_u16 v55, v55 offset:16896
	ds_read_u16 v164, v164 offset:528
	;; [unrolled: 1-line block ×4, first 2 shown]
	v_mfma_f32_16x16x16f16 a[0:3], v[40:41], v[36:37], a[0:3]
	s_nop 7
	s_nop 2
	v_accvgpr_read_b32 v39, a0
	v_cvt_f16_f32_e32 v39, v39
	v_accvgpr_read_b32 v40, a1
	v_accvgpr_read_b32 v41, a2
	;; [unrolled: 1-line block ×3, first 2 shown]
	v_cvt_f16_f32_e32 v40, v40
	v_cvt_f16_f32_e32 v41, v41
	;; [unrolled: 1-line block ×3, first 2 shown]
	v_cvt_f32_f16_e32 v170, v39
	v_cvt_f32_f16_e32 v171, v40
	;; [unrolled: 1-line block ×4, first 2 shown]
	s_waitcnt lgkmcnt(0)
	v_perm_b32 v41, v167, v166, s46
	v_perm_b32 v40, v164, v55, s46
	v_accvgpr_write_b32 a0, v170
	v_accvgpr_write_b32 a1, v171
	;; [unrolled: 1-line block ×4, first 2 shown]
	v_cvt_f32_f16_e32 v170, v216
	v_cvt_f32_f16_sdwa v171, v216 dst_sel:DWORD dst_unused:UNUSED_PAD src0_sel:WORD_1
	v_mfma_f32_16x16x16f16 a[0:3], v[40:41], v[34:35], a[0:3]
	v_cvt_f32_f16_e32 v172, v121
	v_cvt_f32_f16_sdwa v173, v121 dst_sel:DWORD dst_unused:UNUSED_PAD src0_sel:WORD_1
	v_accvgpr_read_b32 v166, a23
	v_add_u32_e32 v166, v166, v224
	v_accvgpr_read_b32 v167, a44
	s_nop 5
	v_accvgpr_read_b32 v39, a0
	v_accvgpr_read_b32 v40, a1
	v_cvt_f16_f32_e32 v39, v39
	v_cvt_f16_f32_e32 v40, v40
	v_accvgpr_read_b32 v41, a2
	v_accvgpr_read_b32 v54, a3
	v_cvt_f16_f32_e32 v41, v41
	v_cvt_f16_f32_e32 v54, v54
	v_pack_b32_f16 v55, v39, v40
	v_add_u32_e32 v40, v231, v224
	ds_read_u16 v39, v169 offset:160
	v_pack_b32_f16 v54, v41, v54
	ds_read_u16 v40, v40 offset:528
	ds_read_u16 v41, v248 offset:1056
	;; [unrolled: 1-line block ×3, first 2 shown]
	v_accvgpr_write_b32 a0, v170
	v_accvgpr_write_b32 a1, v171
	s_waitcnt lgkmcnt(2)
	v_perm_b32 v40, v40, v39, s46
	v_accvgpr_write_b32 a2, v172
	s_waitcnt lgkmcnt(0)
	v_perm_b32 v41, v164, v41, s46
	v_accvgpr_write_b32 a3, v173
	v_accvgpr_read_b32 v164, a43
	ds_read_u16 v164, v164 offset:16896
	ds_read_u16 v166, v166 offset:528
	;; [unrolled: 1-line block ×4, first 2 shown]
	v_mfma_f32_16x16x16f16 a[0:3], v[40:41], v[36:37], a[0:3]
	s_nop 7
	s_nop 2
	v_accvgpr_read_b32 v39, a0
	v_cvt_f16_f32_e32 v39, v39
	v_accvgpr_read_b32 v40, a1
	v_accvgpr_read_b32 v41, a2
	;; [unrolled: 1-line block ×3, first 2 shown]
	v_cvt_f16_f32_e32 v40, v40
	v_cvt_f16_f32_e32 v41, v41
	;; [unrolled: 1-line block ×3, first 2 shown]
	v_cvt_f32_f16_e32 v170, v39
	v_cvt_f32_f16_e32 v171, v40
	;; [unrolled: 1-line block ×4, first 2 shown]
	s_waitcnt lgkmcnt(0)
	v_perm_b32 v41, v168, v167, s46
	v_perm_b32 v40, v166, v164, s46
	v_accvgpr_write_b32 a0, v170
	v_accvgpr_write_b32 a1, v171
	;; [unrolled: 1-line block ×4, first 2 shown]
	v_cvt_f32_f16_e32 v170, v207
	v_cvt_f32_f16_sdwa v171, v207 dst_sel:DWORD dst_unused:UNUSED_PAD src0_sel:WORD_1
	v_mfma_f32_16x16x16f16 a[0:3], v[40:41], v[34:35], a[0:3]
	v_cvt_f32_f16_e32 v172, v127
	v_cvt_f32_f16_sdwa v173, v127 dst_sel:DWORD dst_unused:UNUSED_PAD src0_sel:WORD_1
	v_accvgpr_read_b32 v166, a25
	v_add_u32_e32 v166, v166, v224
	v_accvgpr_read_b32 v167, a46
	v_add_u32_e32 v168, v232, v225
	s_nop 4
	v_accvgpr_read_b32 v39, a0
	v_accvgpr_read_b32 v40, a1
	v_cvt_f16_f32_e32 v39, v39
	v_cvt_f16_f32_e32 v40, v40
	v_accvgpr_read_b32 v41, a2
	v_accvgpr_read_b32 v121, a3
	v_cvt_f16_f32_e32 v41, v41
	v_cvt_f16_f32_e32 v121, v121
	v_pack_b32_f16 v216, v39, v40
	v_add_u32_e32 v40, v232, v224
	ds_read_u16 v39, v169 offset:192
	v_pack_b32_f16 v121, v41, v121
	ds_read_u16 v40, v40 offset:528
	ds_read_u16 v41, v249 offset:1056
	;; [unrolled: 1-line block ×3, first 2 shown]
	v_accvgpr_write_b32 a0, v170
	v_accvgpr_write_b32 a1, v171
	s_waitcnt lgkmcnt(2)
	v_perm_b32 v40, v40, v39, s46
	v_accvgpr_write_b32 a2, v172
	s_waitcnt lgkmcnt(0)
	v_perm_b32 v41, v164, v41, s46
	v_accvgpr_write_b32 a3, v173
	v_accvgpr_read_b32 v164, a45
	ds_read_u16 v164, v164 offset:16896
	ds_read_u16 v166, v166 offset:528
	;; [unrolled: 1-line block ×4, first 2 shown]
	v_mfma_f32_16x16x16f16 a[0:3], v[40:41], v[36:37], a[0:3]
	s_nop 7
	s_nop 2
	v_accvgpr_read_b32 v39, a0
	v_cvt_f16_f32_e32 v39, v39
	v_accvgpr_read_b32 v40, a1
	v_accvgpr_read_b32 v41, a2
	;; [unrolled: 1-line block ×3, first 2 shown]
	v_cvt_f16_f32_e32 v40, v40
	v_cvt_f16_f32_e32 v41, v41
	;; [unrolled: 1-line block ×3, first 2 shown]
	v_cvt_f32_f16_e32 v170, v39
	v_cvt_f32_f16_e32 v171, v40
	;; [unrolled: 1-line block ×4, first 2 shown]
	s_waitcnt lgkmcnt(0)
	v_perm_b32 v41, v168, v167, s46
	v_perm_b32 v40, v166, v164, s46
	v_accvgpr_write_b32 a0, v170
	v_accvgpr_write_b32 a1, v171
	;; [unrolled: 1-line block ×4, first 2 shown]
	v_cvt_f32_f16_e32 v170, v155
	v_cvt_f32_f16_sdwa v171, v155 dst_sel:DWORD dst_unused:UNUSED_PAD src0_sel:WORD_1
	v_mfma_f32_16x16x16f16 a[0:3], v[40:41], v[34:35], a[0:3]
	v_cvt_f32_f16_e32 v172, v154
	v_cvt_f32_f16_sdwa v173, v154 dst_sel:DWORD dst_unused:UNUSED_PAD src0_sel:WORD_1
	v_accvgpr_read_b32 v155, a47
	v_accvgpr_read_b32 v166, a48
	v_add_u32_e32 v167, v233, v225
	s_nop 5
	v_accvgpr_read_b32 v39, a0
	v_accvgpr_read_b32 v40, a1
	v_cvt_f16_f32_e32 v39, v39
	v_cvt_f16_f32_e32 v40, v40
	v_accvgpr_read_b32 v41, a2
	v_accvgpr_read_b32 v127, a3
	v_cvt_f16_f32_e32 v41, v41
	v_cvt_f16_f32_e32 v127, v127
	v_pack_b32_f16 v207, v39, v40
	v_add_u32_e32 v40, v233, v224
	ds_read_u16 v39, v169 offset:224
	v_pack_b32_f16 v127, v41, v127
	ds_read_u16 v40, v40 offset:528
	ds_read_u16 v41, v250 offset:1056
	;; [unrolled: 1-line block ×3, first 2 shown]
	v_accvgpr_write_b32 a0, v170
	v_accvgpr_write_b32 a1, v171
	s_waitcnt lgkmcnt(2)
	v_perm_b32 v40, v40, v39, s46
	v_accvgpr_write_b32 a2, v172
	s_waitcnt lgkmcnt(0)
	v_perm_b32 v41, v164, v41, s46
	v_accvgpr_write_b32 a3, v173
	v_accvgpr_read_b32 v164, a26
	v_add_u32_e32 v164, v164, v224
	v_mfma_f32_16x16x16f16 a[0:3], v[40:41], v[36:37], a[0:3]
	ds_read_u16 v155, v155 offset:16896
	ds_read_u16 v164, v164 offset:528
	;; [unrolled: 1-line block ×4, first 2 shown]
	s_nop 6
	v_accvgpr_read_b32 v39, a0
	v_cvt_f16_f32_e32 v39, v39
	v_accvgpr_read_b32 v40, a1
	v_accvgpr_read_b32 v41, a2
	;; [unrolled: 1-line block ×3, first 2 shown]
	v_cvt_f16_f32_e32 v40, v40
	v_cvt_f16_f32_e32 v41, v41
	;; [unrolled: 1-line block ×3, first 2 shown]
	v_cvt_f32_f16_e32 v170, v39
	v_cvt_f32_f16_e32 v171, v40
	;; [unrolled: 1-line block ×4, first 2 shown]
	s_waitcnt lgkmcnt(0)
	v_perm_b32 v41, v167, v166, s46
	v_perm_b32 v40, v164, v155, s46
	v_accvgpr_write_b32 a0, v170
	v_accvgpr_write_b32 a1, v171
	;; [unrolled: 1-line block ×4, first 2 shown]
	v_cvt_f32_f16_e32 v170, v157
	v_cvt_f32_f16_sdwa v171, v157 dst_sel:DWORD dst_unused:UNUSED_PAD src0_sel:WORD_1
	v_mfma_f32_16x16x16f16 a[0:3], v[40:41], v[34:35], a[0:3]
	v_cvt_f32_f16_e32 v172, v156
	v_cvt_f32_f16_sdwa v173, v156 dst_sel:DWORD dst_unused:UNUSED_PAD src0_sel:WORD_1
	v_accvgpr_read_b32 v157, a49
	v_accvgpr_read_b32 v166, a50
	v_add_u32_e32 v167, v234, v225
	s_nop 5
	v_accvgpr_read_b32 v39, a0
	v_accvgpr_read_b32 v40, a1
	v_cvt_f16_f32_e32 v39, v39
	v_cvt_f16_f32_e32 v40, v40
	v_accvgpr_read_b32 v41, a2
	v_accvgpr_read_b32 v154, a3
	v_cvt_f16_f32_e32 v41, v41
	v_cvt_f16_f32_e32 v154, v154
	v_pack_b32_f16 v155, v39, v40
	v_add_u32_e32 v40, v234, v224
	ds_read_u16 v39, v169 offset:256
	v_pack_b32_f16 v154, v41, v154
	ds_read_u16 v40, v40 offset:528
	ds_read_u16 v41, v251 offset:1056
	ds_read_u16 v164, v38 offset:256
	v_accvgpr_write_b32 a0, v170
	v_accvgpr_write_b32 a1, v171
	s_waitcnt lgkmcnt(2)
	v_perm_b32 v40, v40, v39, s46
	v_accvgpr_write_b32 a2, v172
	s_waitcnt lgkmcnt(0)
	v_perm_b32 v41, v164, v41, s46
	v_accvgpr_write_b32 a3, v173
	v_accvgpr_read_b32 v164, a27
	v_add_u32_e32 v164, v164, v224
	v_mfma_f32_16x16x16f16 a[0:3], v[40:41], v[36:37], a[0:3]
	ds_read_u16 v157, v157 offset:16896
	ds_read_u16 v164, v164 offset:528
	;; [unrolled: 1-line block ×4, first 2 shown]
	s_nop 6
	v_accvgpr_read_b32 v39, a0
	v_cvt_f16_f32_e32 v39, v39
	v_accvgpr_read_b32 v40, a1
	v_accvgpr_read_b32 v41, a2
	;; [unrolled: 1-line block ×3, first 2 shown]
	v_cvt_f16_f32_e32 v40, v40
	v_cvt_f16_f32_e32 v41, v41
	;; [unrolled: 1-line block ×3, first 2 shown]
	v_cvt_f32_f16_e32 v170, v39
	v_cvt_f32_f16_e32 v171, v40
	;; [unrolled: 1-line block ×4, first 2 shown]
	s_waitcnt lgkmcnt(0)
	v_perm_b32 v41, v167, v166, s46
	v_perm_b32 v40, v164, v157, s46
	v_accvgpr_write_b32 a0, v170
	v_accvgpr_write_b32 a1, v171
	;; [unrolled: 1-line block ×4, first 2 shown]
	v_cvt_f32_f16_e32 v170, v159
	v_cvt_f32_f16_sdwa v171, v159 dst_sel:DWORD dst_unused:UNUSED_PAD src0_sel:WORD_1
	v_mfma_f32_16x16x16f16 a[0:3], v[40:41], v[34:35], a[0:3]
	v_cvt_f32_f16_e32 v172, v158
	v_cvt_f32_f16_sdwa v173, v158 dst_sel:DWORD dst_unused:UNUSED_PAD src0_sel:WORD_1
	v_accvgpr_read_b32 v166, a51
	v_add_u32_e32 v167, v235, v225
	s_nop 6
	v_accvgpr_read_b32 v39, a0
	v_accvgpr_read_b32 v40, a1
	v_cvt_f16_f32_e32 v39, v39
	v_cvt_f16_f32_e32 v40, v40
	v_accvgpr_read_b32 v41, a2
	v_accvgpr_read_b32 v156, a3
	v_cvt_f16_f32_e32 v41, v41
	v_cvt_f16_f32_e32 v156, v156
	v_pack_b32_f16 v157, v39, v40
	v_add_u32_e32 v40, v235, v224
	ds_read_u16 v39, v169 offset:288
	v_pack_b32_f16 v156, v41, v156
	ds_read_u16 v40, v40 offset:528
	ds_read_u16 v41, v252 offset:1056
	ds_read_u16 v164, v38 offset:288
	v_accvgpr_write_b32 a0, v170
	v_accvgpr_write_b32 a1, v171
	s_waitcnt lgkmcnt(2)
	v_perm_b32 v40, v40, v39, s46
	v_accvgpr_write_b32 a2, v172
	s_waitcnt lgkmcnt(0)
	v_perm_b32 v41, v164, v41, s46
	v_accvgpr_write_b32 a3, v173
	v_accvgpr_read_b32 v164, a28
	v_add_u32_e32 v164, v164, v224
	v_mfma_f32_16x16x16f16 a[0:3], v[40:41], v[36:37], a[0:3]
	ds_read_u16 v159, v175 offset:16896
	ds_read_u16 v167, v167 offset:16896
	ds_read_u16 v164, v164 offset:528
	ds_read_u16 v166, v166 offset:1056
	s_nop 6
	v_accvgpr_read_b32 v39, a0
	v_cvt_f16_f32_e32 v39, v39
	v_accvgpr_read_b32 v40, a1
	v_accvgpr_read_b32 v41, a2
	v_accvgpr_read_b32 v158, a3
	v_cvt_f16_f32_e32 v40, v40
	v_cvt_f16_f32_e32 v41, v41
	v_cvt_f16_f32_e32 v158, v158
	v_cvt_f32_f16_e32 v170, v39
	v_cvt_f32_f16_e32 v171, v40
	v_cvt_f32_f16_e32 v172, v41
	v_cvt_f32_f16_e32 v173, v158
	s_waitcnt lgkmcnt(0)
	v_perm_b32 v41, v167, v166, s46
	v_perm_b32 v40, v164, v159, s46
	v_accvgpr_write_b32 a0, v170
	v_accvgpr_write_b32 a1, v171
	v_accvgpr_write_b32 a2, v172
	v_accvgpr_write_b32 a3, v173
	v_cvt_f32_f16_e32 v170, v161
	v_cvt_f32_f16_sdwa v171, v161 dst_sel:DWORD dst_unused:UNUSED_PAD src0_sel:WORD_1
	v_mfma_f32_16x16x16f16 a[0:3], v[40:41], v[34:35], a[0:3]
	v_cvt_f32_f16_e32 v172, v160
	v_cvt_f32_f16_sdwa v173, v160 dst_sel:DWORD dst_unused:UNUSED_PAD src0_sel:WORD_1
	v_add_u32_e32 v167, v236, v225
	s_nop 7
	v_accvgpr_read_b32 v39, a0
	v_accvgpr_read_b32 v40, a1
	v_cvt_f16_f32_e32 v39, v39
	v_cvt_f16_f32_e32 v40, v40
	v_accvgpr_read_b32 v41, a2
	v_accvgpr_read_b32 v158, a3
	v_cvt_f16_f32_e32 v41, v41
	v_cvt_f16_f32_e32 v158, v158
	v_pack_b32_f16 v159, v39, v40
	v_add_u32_e32 v40, v236, v224
	ds_read_u16 v39, v169 offset:320
	v_pack_b32_f16 v158, v41, v158
	ds_read_u16 v40, v40 offset:528
	ds_read_u16 v41, v253 offset:1056
	ds_read_u16 v164, v38 offset:320
	v_accvgpr_write_b32 a0, v170
	v_accvgpr_write_b32 a1, v171
	s_waitcnt lgkmcnt(2)
	v_perm_b32 v40, v40, v39, s46
	v_accvgpr_write_b32 a2, v172
	s_waitcnt lgkmcnt(0)
	v_perm_b32 v41, v164, v41, s46
	v_accvgpr_write_b32 a3, v173
	v_accvgpr_read_b32 v164, a29
	v_add_u32_e32 v164, v164, v224
	v_mfma_f32_16x16x16f16 a[0:3], v[40:41], v[36:37], a[0:3]
	ds_read_u16 v161, v188 offset:16896
	ds_read_u16 v164, v164 offset:528
	ds_read_u16 v166, v189 offset:1056
	ds_read_u16 v167, v167 offset:16896
	s_nop 6
	v_accvgpr_read_b32 v39, a0
	v_cvt_f16_f32_e32 v39, v39
	v_accvgpr_read_b32 v40, a1
	v_accvgpr_read_b32 v41, a2
	v_accvgpr_read_b32 v160, a3
	v_cvt_f16_f32_e32 v40, v40
	v_cvt_f16_f32_e32 v41, v41
	v_cvt_f16_f32_e32 v160, v160
	v_cvt_f32_f16_e32 v170, v39
	v_cvt_f32_f16_e32 v171, v40
	v_cvt_f32_f16_e32 v172, v41
	v_cvt_f32_f16_e32 v173, v160
	s_waitcnt lgkmcnt(0)
	v_perm_b32 v41, v167, v166, s46
	v_perm_b32 v40, v164, v161, s46
	v_accvgpr_write_b32 a0, v170
	v_accvgpr_write_b32 a1, v171
	v_accvgpr_write_b32 a2, v172
	v_accvgpr_write_b32 a3, v173
	v_cvt_f32_f16_e32 v170, v163
	v_cvt_f32_f16_sdwa v171, v163 dst_sel:DWORD dst_unused:UNUSED_PAD src0_sel:WORD_1
	v_mfma_f32_16x16x16f16 a[0:3], v[40:41], v[34:35], a[0:3]
	v_cvt_f32_f16_e32 v172, v162
	v_cvt_f32_f16_sdwa v173, v162 dst_sel:DWORD dst_unused:UNUSED_PAD src0_sel:WORD_1
	;; [unrolled: 57-line block ×3, first 2 shown]
	v_cvt_f32_f16_sdwa v173, v48 dst_sel:DWORD dst_unused:UNUSED_PAD src0_sel:WORD_1
	s_nop 7
	v_accvgpr_read_b32 v39, a0
	v_accvgpr_read_b32 v40, a1
	v_cvt_f16_f32_e32 v39, v39
	v_cvt_f16_f32_e32 v40, v40
	v_accvgpr_read_b32 v41, a2
	v_accvgpr_read_b32 v162, a3
	v_cvt_f16_f32_e32 v41, v41
	v_cvt_f16_f32_e32 v162, v162
	v_pack_b32_f16 v163, v39, v40
	v_add_u32_e32 v40, v238, v224
	ds_read_u16 v39, v169 offset:384
	v_pack_b32_f16 v162, v41, v162
	ds_read_u16 v40, v40 offset:528
	ds_read_u16 v41, v213 offset:1056
	ds_read_u16 v168, v38 offset:384
	v_accvgpr_write_b32 a0, v164
	v_accvgpr_write_b32 a1, v165
	s_waitcnt lgkmcnt(2)
	v_perm_b32 v40, v40, v39, s46
	v_accvgpr_write_b32 a2, v166
	s_waitcnt lgkmcnt(0)
	v_perm_b32 v41, v168, v41, s46
	v_accvgpr_write_b32 a3, v167
	v_accvgpr_read_b32 v164, a31
	v_add_u32_e32 v164, v164, v224
	v_mfma_f32_16x16x16f16 a[0:3], v[40:41], v[36:37], a[0:3]
	ds_read_u16 v168, v192 offset:16896
	ds_read_u16 v170, v164 offset:528
	;; [unrolled: 1-line block ×3, first 2 shown]
	v_add_u32_e32 v164, v238, v225
	ds_read_u16 v172, v164 offset:16896
	s_nop 5
	v_accvgpr_read_b32 v39, a0
	v_cvt_f16_f32_e32 v39, v39
	v_accvgpr_read_b32 v40, a1
	v_accvgpr_read_b32 v41, a2
	;; [unrolled: 1-line block ×3, first 2 shown]
	v_cvt_f16_f32_e32 v40, v40
	v_cvt_f16_f32_e32 v41, v41
	;; [unrolled: 1-line block ×3, first 2 shown]
	v_cvt_f32_f16_e32 v164, v39
	v_cvt_f32_f16_e32 v165, v40
	;; [unrolled: 1-line block ×4, first 2 shown]
	s_waitcnt lgkmcnt(0)
	v_perm_b32 v41, v172, v171, s46
	v_perm_b32 v40, v170, v168, s46
	v_accvgpr_write_b32 a0, v164
	v_accvgpr_write_b32 a1, v165
	;; [unrolled: 1-line block ×4, first 2 shown]
	v_cvt_f32_f16_e32 v170, v49
	v_cvt_f32_f16_sdwa v171, v49 dst_sel:DWORD dst_unused:UNUSED_PAD src0_sel:WORD_1
	v_mfma_f32_16x16x16f16 a[0:3], v[40:41], v[34:35], a[0:3]
	v_cvt_f32_f16_e32 v172, v48
	v_add_u32_e32 v167, v239, v225
	s_nop 7
	s_nop 0
	v_accvgpr_read_b32 v39, a0
	v_accvgpr_read_b32 v40, a1
	v_cvt_f16_f32_e32 v39, v39
	v_cvt_f16_f32_e32 v40, v40
	v_accvgpr_read_b32 v41, a2
	v_accvgpr_read_b32 v93, a3
	v_cvt_f16_f32_e32 v41, v41
	v_cvt_f16_f32_e32 v93, v93
	v_pack_b32_f16 v165, v39, v40
	v_add_u32_e32 v40, v239, v224
	ds_read_u16 v39, v169 offset:416
	v_pack_b32_f16 v164, v41, v93
	ds_read_u16 v40, v40 offset:528
	ds_read_u16 v41, v212 offset:1056
	;; [unrolled: 1-line block ×3, first 2 shown]
	v_accvgpr_write_b32 a0, v170
	v_accvgpr_write_b32 a1, v171
	s_waitcnt lgkmcnt(2)
	v_perm_b32 v40, v40, v39, s46
	v_accvgpr_write_b32 a2, v172
	s_waitcnt lgkmcnt(0)
	v_perm_b32 v41, v93, v41, s46
	v_accvgpr_write_b32 a3, v173
	v_accvgpr_read_b32 v93, a32
	v_add_u32_e32 v93, v93, v224
	v_mfma_f32_16x16x16f16 a[0:3], v[40:41], v[36:37], a[0:3]
	ds_read_u16 v49, v194 offset:16896
	ds_read_u16 v93, v93 offset:528
	;; [unrolled: 1-line block ×4, first 2 shown]
	s_nop 6
	v_accvgpr_read_b32 v39, a0
	v_cvt_f16_f32_e32 v39, v39
	v_accvgpr_read_b32 v40, a1
	v_accvgpr_read_b32 v41, a2
	;; [unrolled: 1-line block ×3, first 2 shown]
	v_cvt_f16_f32_e32 v40, v40
	v_cvt_f16_f32_e32 v41, v41
	;; [unrolled: 1-line block ×3, first 2 shown]
	v_cvt_f32_f16_e32 v170, v39
	v_cvt_f32_f16_e32 v171, v40
	;; [unrolled: 1-line block ×4, first 2 shown]
	s_waitcnt lgkmcnt(0)
	v_perm_b32 v41, v167, v166, s46
	v_perm_b32 v40, v93, v49, s46
	v_accvgpr_write_b32 a0, v170
	v_accvgpr_write_b32 a1, v171
	;; [unrolled: 1-line block ×4, first 2 shown]
	v_cvt_f32_f16_e32 v170, v47
	v_cvt_f32_f16_sdwa v171, v47 dst_sel:DWORD dst_unused:UNUSED_PAD src0_sel:WORD_1
	v_mfma_f32_16x16x16f16 a[0:3], v[40:41], v[34:35], a[0:3]
	v_cvt_f32_f16_e32 v172, v45
	v_cvt_f32_f16_sdwa v173, v45 dst_sel:DWORD dst_unused:UNUSED_PAD src0_sel:WORD_1
	v_add_u32_e32 v93, v240, v225
	s_nop 7
	v_accvgpr_read_b32 v39, a0
	v_accvgpr_read_b32 v40, a1
	v_cvt_f16_f32_e32 v39, v39
	v_cvt_f16_f32_e32 v40, v40
	v_accvgpr_read_b32 v41, a2
	v_accvgpr_read_b32 v48, a3
	v_cvt_f16_f32_e32 v41, v41
	v_cvt_f16_f32_e32 v48, v48
	v_pack_b32_f16 v167, v39, v40
	v_add_u32_e32 v40, v240, v224
	ds_read_u16 v39, v169 offset:448
	v_pack_b32_f16 v166, v41, v48
	ds_read_u16 v40, v40 offset:528
	ds_read_u16 v41, v211 offset:1056
	;; [unrolled: 1-line block ×3, first 2 shown]
	v_accvgpr_write_b32 a0, v170
	v_accvgpr_write_b32 a1, v171
	s_waitcnt lgkmcnt(2)
	v_perm_b32 v40, v40, v39, s46
	v_accvgpr_write_b32 a2, v172
	s_waitcnt lgkmcnt(0)
	v_perm_b32 v41, v48, v41, s46
	v_accvgpr_write_b32 a3, v173
	v_accvgpr_read_b32 v48, a33
	v_add_u32_e32 v48, v48, v224
	v_mfma_f32_16x16x16f16 a[0:3], v[40:41], v[36:37], a[0:3]
	ds_read_u16 v47, v196 offset:16896
	ds_read_u16 v48, v48 offset:528
	;; [unrolled: 1-line block ×4, first 2 shown]
	s_nop 6
	v_accvgpr_read_b32 v39, a0
	v_cvt_f16_f32_e32 v39, v39
	v_accvgpr_read_b32 v40, a1
	v_accvgpr_read_b32 v41, a2
	v_accvgpr_read_b32 v45, a3
	v_cvt_f16_f32_e32 v40, v40
	v_cvt_f16_f32_e32 v41, v41
	;; [unrolled: 1-line block ×3, first 2 shown]
	v_cvt_f32_f16_e32 v170, v39
	v_cvt_f32_f16_e32 v171, v40
	;; [unrolled: 1-line block ×4, first 2 shown]
	s_waitcnt lgkmcnt(0)
	v_perm_b32 v41, v93, v49, s46
	v_perm_b32 v40, v48, v47, s46
	v_accvgpr_write_b32 a0, v170
	v_accvgpr_write_b32 a1, v171
	;; [unrolled: 1-line block ×4, first 2 shown]
	s_nop 1
	v_mfma_f32_16x16x16f16 a[0:3], v[40:41], v[34:35], a[0:3]
	s_nop 7
	s_nop 2
	v_accvgpr_read_b32 v39, a0
	v_accvgpr_read_b32 v40, a1
	v_cvt_f16_f32_e32 v39, v39
	v_cvt_f16_f32_e32 v40, v40
	v_accvgpr_read_b32 v41, a2
	v_accvgpr_read_b32 v45, a3
	v_cvt_f16_f32_e32 v41, v41
	v_cvt_f16_f32_e32 v45, v45
	v_pack_b32_f16 v170, v39, v40
	v_add_u32_e32 v40, v241, v224
	ds_read_u16 v39, v169 offset:480
	v_pack_b32_f16 v168, v41, v45
	ds_read_u16 v40, v40 offset:528
	ds_read_u16 v41, v210 offset:1056
	;; [unrolled: 1-line block ×3, first 2 shown]
	v_accvgpr_write_b32 a0, v176
	v_accvgpr_write_b32 a1, v177
	s_waitcnt lgkmcnt(2)
	v_perm_b32 v40, v40, v39, s46
	v_accvgpr_write_b32 a2, v178
	s_waitcnt lgkmcnt(0)
	v_perm_b32 v41, v38, v41, s46
	v_accvgpr_write_b32 a3, v179
	s_nop 1
	v_mfma_f32_16x16x16f16 a[0:3], v[40:41], v[36:37], a[0:3]
	v_accvgpr_read_b32 v41, a34
	v_add_u32_e32 v41, v41, v224
	s_nop 7
	s_nop 0
	v_accvgpr_read_b32 v36, a0
	v_cvt_f16_f32_e32 v37, v36
	v_accvgpr_read_b32 v36, a1
	v_cvt_f16_f32_e32 v38, v36
	;; [unrolled: 2-line block ×4, first 2 shown]
	ds_read_u16 v36, v198 offset:16896
	ds_read_u16 v41, v41 offset:528
	;; [unrolled: 1-line block ×4, first 2 shown]
	v_cvt_f32_f16_e32 v176, v37
	v_cvt_f32_f16_e32 v177, v38
	;; [unrolled: 1-line block ×4, first 2 shown]
	s_waitcnt lgkmcnt(0)
	v_perm_b32 v37, v44, v43, s46
	v_perm_b32 v36, v41, v36, s46
	v_accvgpr_write_b32 a0, v176
	v_accvgpr_write_b32 a1, v177
	;; [unrolled: 1-line block ×4, first 2 shown]
	s_barrier
	s_nop 0
	v_mfma_f32_16x16x16f16 a[0:3], v[36:37], v[34:35], a[0:3]
	s_nop 7
	s_nop 2
	v_accvgpr_read_b32 v34, a0
	v_accvgpr_read_b32 v35, a1
	v_cvt_f16_f32_e32 v34, v34
	v_cvt_f16_f32_e32 v35, v35
	v_accvgpr_read_b32 v36, a2
	v_accvgpr_read_b32 v37, a3
	v_cvt_f16_f32_e32 v36, v36
	v_pack_b32_f16 v171, v34, v35
	v_mov_b32_e32 v34, s43
	v_addc_co_u32_e32 v1, vcc, v1, v34, vcc
	v_add_co_u32_e32 v98, vcc, s42, v98
	v_addc_co_u32_e32 v51, vcc, v51, v34, vcc
	v_add_co_u32_e32 v100, vcc, s42, v100
	;; [unrolled: 2-line block ×8, first 2 shown]
	v_mov_b32_e32 v34, s41
	v_addc_co_u32_e32 v103, vcc, v103, v34, vcc
	v_add_co_u32_e32 v114, vcc, s40, v114
	v_addc_co_u32_e32 v105, vcc, v105, v34, vcc
	v_add_co_u32_e32 v116, vcc, s40, v116
	;; [unrolled: 2-line block ×13, first 2 shown]
	v_cvt_f16_f32_e32 v37, v37
	v_addc_co_u32_e32 v139, vcc, 0, v139, vcc
	v_add_co_u32_e32 v140, vcc, 0x80, v140
	v_addc_co_u32_e32 v141, vcc, 0, v141, vcc
	v_add_co_u32_e32 v142, vcc, 0x80, v142
	v_pack_b32_f16 v172, v36, v37
	v_addc_co_u32_e32 v143, vcc, 0, v143, vcc
	s_cbranch_scc0 .LBB30_319
; %bb.317:                              ;   in Loop: Header=BB30_279 Depth=2
	v_mov_b32_e32 v173, v42
	v_mov_b32_e32 v174, v46
	s_andn2_b64 vcc, exec, s[48:49]
	s_cbranch_vccz .LBB30_274
	s_branch .LBB30_279
.LBB30_318:                             ;   in Loop: Header=BB30_16 Depth=1
	v_mov_b32_e32 v42, 0
	v_mov_b32_e32 v46, 0xfeffffff
	;; [unrolled: 1-line block ×33, first 2 shown]
	s_branch .LBB30_320
.LBB30_319:                             ;   in Loop: Header=BB30_16 Depth=1
	v_accvgpr_read_b32 v173, a8
	v_accvgpr_read_b32 v174, a13
	;; [unrolled: 1-line block ×14, first 2 shown]
.LBB30_320:                             ;   in Loop: Header=BB30_16 Depth=1
	s_lshl_b32 s44, s44, 6
	v_readlane_b32 s48, v254, 4
	v_readlane_b32 s50, v255, 27
	s_sub_i32 s80, s48, s44
	v_readlane_b32 s51, v255, 28
	s_cmp_lg_u64 s[50:51], 0
	s_mov_b64 s[74:75], s[64:65]
	s_cselect_b64 s[64:65], -1, 0
	s_cmp_eq_u64 s[50:51], 0
	v_readlane_b32 s49, v254, 5
	s_cbranch_scc1 .LBB30_330
; %bb.321:                              ;   in Loop: Header=BB30_16 Depth=1
	s_lshl_b64 s[48:49], s[44:45], 1
	s_add_u32 s52, s50, s48
	s_addc_u32 s53, s51, s49
	v_cmp_le_i32_e32 vcc, s80, v98
                                        ; implicit-def: $sgpr54
	s_and_saveexec_b64 s[48:49], vcc
	s_xor_b64 s[48:49], exec, s[48:49]
	s_cbranch_execz .LBB30_323
; %bb.322:                              ;   in Loop: Header=BB30_16 Depth=1
	v_accvgpr_read_b32 v1, a70
	ds_write_b16 v1, v125 offset:33792
	v_accvgpr_read_b32 v1, a163
	ds_write_b16 v1, v125 offset:33792
	s_mov_b32 s54, 0
                                        ; implicit-def: $vgpr145
                                        ; implicit-def: $vgpr146
                                        ; implicit-def: $vgpr148
                                        ; implicit-def: $vgpr149
.LBB30_323:                             ;   in Loop: Header=BB30_16 Depth=1
	s_or_saveexec_b64 s[50:51], s[48:49]
	v_lshlrev_b32_e32 v1, 1, v98
	v_mov_b32_e32 v34, s53
	v_add_co_u32_e64 v1, s[48:49], s52, v1
	v_addc_co_u32_e64 v34, s[48:49], 0, v34, s[48:49]
	v_mov_b32_e32 v35, s54
	v_mov_b32_e32 v36, s54
	s_xor_b64 exec, exec, s[50:51]
	s_cbranch_execz .LBB30_325
; %bb.324:                              ;   in Loop: Header=BB30_16 Depth=1
	v_readlane_b32 s52, v254, 10
	v_mul_hi_u32 v35, s52, v145
	v_readlane_b32 s53, v254, 11
	v_add_u32_e32 v35, v145, v35
	v_lshrrev_b32_e32 v35, s53, v35
	v_mul_lo_u32 v35, v35, s76
	v_sub_u32_e32 v35, v145, v35
	v_readlane_b32 s54, v255, 17
	v_mad_i64_i32 v[36:37], s[48:49], v35, s54, 0
	v_lshlrev_b64 v[36:37], 1, v[36:37]
	v_add_co_u32_e64 v36, s[48:49], v1, v36
	v_addc_co_u32_e64 v37, s[48:49], v34, v37, s[48:49]
	flat_load_ushort v35, v[36:37]
	v_mul_hi_u32 v36, s52, v146
	v_add_u32_e32 v36, v146, v36
	v_lshrrev_b32_e32 v36, s53, v36
	v_mul_lo_u32 v36, v36, s76
	v_sub_u32_e32 v36, v146, v36
	v_mad_i64_i32 v[36:37], s[48:49], v36, s54, 0
	v_lshlrev_b64 v[36:37], 1, v[36:37]
	v_add_co_u32_e64 v36, s[48:49], v1, v36
	v_addc_co_u32_e64 v37, s[48:49], v34, v37, s[48:49]
	flat_load_ushort v36, v[36:37]
	v_accvgpr_read_b32 v37, a70
	v_readlane_b32 s55, v255, 18
	s_waitcnt vmcnt(0) lgkmcnt(0)
	ds_write_b16 v37, v35 offset:33792
	v_accvgpr_read_b32 v35, a163
	ds_write_b16 v35, v36 offset:33792
	v_mul_hi_u32 v35, s52, v148
	v_add_u32_e32 v35, v148, v35
	v_lshrrev_b32_e32 v35, s53, v35
	v_mul_lo_u32 v35, v35, s76
	v_sub_u32_e32 v35, v148, v35
	v_mad_i64_i32 v[36:37], s[48:49], v35, s54, 0
	v_lshlrev_b64 v[36:37], 1, v[36:37]
	v_add_co_u32_e64 v36, s[48:49], v1, v36
	v_addc_co_u32_e64 v37, s[48:49], v34, v37, s[48:49]
	flat_load_ushort v35, v[36:37]
	v_mul_hi_u32 v36, s52, v149
	v_add_u32_e32 v36, v149, v36
	v_lshrrev_b32_e32 v36, s53, v36
	v_mul_lo_u32 v36, v36, s76
	v_sub_u32_e32 v36, v149, v36
	v_mad_i64_i32 v[36:37], s[48:49], v36, s54, 0
	v_lshlrev_b64 v[36:37], 1, v[36:37]
	v_add_co_u32_e64 v36, s[48:49], v1, v36
	v_addc_co_u32_e64 v37, s[48:49], v34, v37, s[48:49]
	flat_load_ushort v36, v[36:37]
.LBB30_325:                             ;   in Loop: Header=BB30_16 Depth=1
	s_or_b64 exec, exec, s[50:51]
	v_accvgpr_read_b32 v37, a164
	s_waitcnt vmcnt(0) lgkmcnt(0)
	ds_write_b16 v37, v35 offset:33792
	v_accvgpr_read_b32 v35, a165
	ds_write_b16 v35, v36 offset:33792
                                        ; implicit-def: $sgpr50
	s_and_saveexec_b64 s[48:49], vcc
	s_xor_b64 s[48:49], exec, s[48:49]
	s_cbranch_execz .LBB30_327
; %bb.326:                              ;   in Loop: Header=BB30_16 Depth=1
	v_accvgpr_read_b32 v1, a166
	ds_write_b16 v1, v125 offset:33792
	v_accvgpr_read_b32 v1, a167
	ds_write_b16 v1, v125 offset:33792
	s_mov_b32 s50, 0
                                        ; implicit-def: $vgpr147
                                        ; implicit-def: $vgpr1
                                        ; implicit-def: $vgpr34
                                        ; implicit-def: $vgpr150
                                        ; implicit-def: $vgpr50
                                        ; implicit-def: $vgpr206
.LBB30_327:                             ;   in Loop: Header=BB30_16 Depth=1
	s_or_saveexec_b64 s[48:49], s[48:49]
	v_mov_b32_e32 v35, s50
	v_mov_b32_e32 v36, s50
	s_xor_b64 exec, exec, s[48:49]
	s_cbranch_execz .LBB30_329
; %bb.328:                              ;   in Loop: Header=BB30_16 Depth=1
	v_readlane_b32 s52, v254, 10
	v_mul_hi_u32 v35, s52, v147
	v_readlane_b32 s53, v254, 11
	v_add_u32_e32 v35, v147, v35
	v_lshrrev_b32_e32 v35, s53, v35
	v_mul_lo_u32 v35, v35, s76
	v_readlane_b32 s50, v255, 17
	v_sub_u32_e32 v35, v147, v35
	v_readlane_b32 s51, v255, 18
	s_mov_b32 s54, s50
	v_mad_i64_i32 v[36:37], s[50:51], v35, s54, 0
	v_lshlrev_b64 v[36:37], 1, v[36:37]
	v_add_co_u32_e32 v36, vcc, v1, v36
	v_addc_co_u32_e32 v37, vcc, v34, v37, vcc
	flat_load_ushort v35, v[36:37]
	v_mul_hi_u32 v36, s52, v150
	v_add_u32_e32 v36, v150, v36
	v_lshrrev_b32_e32 v36, s53, v36
	v_mul_lo_u32 v36, v36, s76
	v_sub_u32_e32 v36, v150, v36
	v_mad_i64_i32 v[36:37], s[50:51], v36, s54, 0
	v_lshlrev_b64 v[36:37], 1, v[36:37]
	v_add_co_u32_e32 v36, vcc, v1, v36
	v_addc_co_u32_e32 v37, vcc, v34, v37, vcc
	flat_load_ushort v36, v[36:37]
	v_accvgpr_read_b32 v37, a166
	s_waitcnt vmcnt(0) lgkmcnt(0)
	ds_write_b16 v37, v35 offset:33792
	v_accvgpr_read_b32 v35, a167
	ds_write_b16 v35, v36 offset:33792
	v_mul_hi_u32 v35, s52, v50
	v_add_u32_e32 v35, v50, v35
	v_lshrrev_b32_e32 v35, s53, v35
	v_mul_lo_u32 v35, v35, s76
	v_sub_u32_e32 v35, v50, v35
	v_mad_i64_i32 v[36:37], s[50:51], v35, s54, 0
	v_lshlrev_b64 v[36:37], 1, v[36:37]
	v_add_co_u32_e32 v36, vcc, v1, v36
	v_addc_co_u32_e32 v37, vcc, v34, v37, vcc
	flat_load_ushort v35, v[36:37]
	v_mul_hi_u32 v36, s52, v206
	v_add_u32_e32 v36, v206, v36
	v_lshrrev_b32_e32 v36, s53, v36
	v_mul_lo_u32 v36, v36, s76
	v_sub_u32_e32 v36, v206, v36
	v_mad_i64_i32 v[36:37], s[50:51], v36, s54, 0
	v_lshlrev_b64 v[36:37], 1, v[36:37]
	v_add_co_u32_e32 v36, vcc, v1, v36
	v_addc_co_u32_e32 v37, vcc, v34, v37, vcc
	flat_load_ushort v36, v[36:37]
.LBB30_329:                             ;   in Loop: Header=BB30_16 Depth=1
	s_or_b64 exec, exec, s[48:49]
	v_accvgpr_read_b32 v1, a168
	s_waitcnt vmcnt(0) lgkmcnt(0)
	ds_write_b16 v1, v35 offset:33792
	v_accvgpr_read_b32 v1, a169
	ds_write_b16 v1, v36 offset:33792
.LBB30_330:                             ;   in Loop: Header=BB30_16 Depth=1
	s_mul_i32 s48, s44, s87
	s_mul_hi_u32 s49, s44, s86
	s_add_i32 s49, s49, s48
	s_mul_i32 s48, s44, s86
	s_lshl_b64 s[48:49], s[48:49], 2
	s_add_u32 s66, s4, s48
	s_addc_u32 s4, s5, s49
	v_add_co_u32_e32 v34, vcc, s66, v74
	v_mov_b32_e32 v1, s4
	v_accvgpr_read_b32 v36, a24
	v_addc_co_u32_e32 v35, vcc, v1, v75, vcc
	v_lshlrev_b32_e32 v1, 2, v36
	v_add_co_u32_e32 v34, vcc, v34, v1
	v_cmp_gt_i32_e64 s[48:49], s80, v183
	v_addc_co_u32_e32 v35, vcc, 0, v35, vcc
	v_mov_b32_e32 v38, s95
	v_mov_b32_e32 v39, s94
	buffer_store_dword v125, off, s[0:3], 0
	buffer_store_dword v125, off, s[0:3], 0 offset:4
	buffer_store_dword v125, off, s[0:3], 0 offset:8
	;; [unrolled: 1-line block ×3, first 2 shown]
	v_cndmask_b32_e64 v35, v38, v35, s[48:49]
	v_cndmask_b32_e64 v34, v39, v34, s[48:49]
	flat_load_dwordx4 v[34:37], v[34:35]
	s_waitcnt vmcnt(0) lgkmcnt(0)
	ds_write_b128 v152, v[34:37]
	v_accvgpr_read_b32 v34, a170
	v_cmp_gt_i32_e64 s[50:51], s80, v34
	v_add_co_u32_e32 v34, vcc, s66, v76
	v_mov_b32_e32 v35, s4
	v_addc_co_u32_e32 v35, vcc, v35, v77, vcc
	v_add_co_u32_e32 v34, vcc, v34, v1
	v_addc_co_u32_e32 v35, vcc, 0, v35, vcc
	v_cndmask_b32_e64 v35, v38, v35, s[50:51]
	v_cndmask_b32_e64 v34, v39, v34, s[50:51]
	flat_load_dwordx4 v[34:37], v[34:35]
	s_waitcnt vmcnt(0) lgkmcnt(0)
	ds_write_b128 v209, v[34:37]
	v_accvgpr_read_b32 v34, a171
	v_cmp_gt_i32_e64 s[52:53], s80, v34
	v_add_co_u32_e32 v34, vcc, s66, v78
	v_mov_b32_e32 v35, s4
	v_addc_co_u32_e32 v35, vcc, v35, v79, vcc
	v_add_co_u32_e32 v34, vcc, v34, v1
	v_addc_co_u32_e32 v35, vcc, 0, v35, vcc
	;; [unrolled: 12-line block ×7, first 2 shown]
	v_cndmask_b32_e64 v35, v38, v35, s[62:63]
	v_cndmask_b32_e64 v34, v39, v34, s[62:63]
	flat_load_dwordx4 v[34:37], v[34:35]
	v_add_u32_e32 v38, 0x4000, v217
	s_waitcnt vmcnt(0) lgkmcnt(0)
	ds_write_b128 v222, v[34:37]
	s_waitcnt lgkmcnt(0)
	s_barrier
	ds_read2_b64 v[34:37], v217 offset1:4
	s_waitcnt lgkmcnt(0)
	v_mfma_f32_16x16x16f16 a[0:3], v[34:35], v[30:31], 0
	v_mfma_f32_16x16x16f16 a[0:3], v[36:37], v[32:33], a[0:3]
	ds_read2_b64 v[34:37], v217 offset0:8 offset1:12
	s_waitcnt lgkmcnt(0)
	v_mfma_f32_16x16x16f16 a[0:3], v[34:35], v[26:27], a[0:3]
	v_mfma_f32_16x16x16f16 a[0:3], v[36:37], v[28:29], a[0:3]
	ds_read2_b64 v[34:37], v217 offset0:16 offset1:20
	;; [unrolled: 4-line block ×13, first 2 shown]
	s_waitcnt lgkmcnt(0)
	v_mfma_f32_16x16x16f16 a[4:7], v[14:15], v[10:11], a[4:7]
                                        ; implicit-def: $vgpr14
	v_mfma_f32_16x16x16f16 a[4:7], v[16:17], v[12:13], a[4:7]
	ds_read2_b64 v[10:13], v38 offset0:112 offset1:116
	s_waitcnt lgkmcnt(0)
	v_mfma_f32_16x16x16f16 a[4:7], v[10:11], v[6:7], a[4:7]
	v_mfma_f32_16x16x16f16 a[4:7], v[12:13], v[8:9], a[4:7]
	ds_read2_b64 v[6:9], v38 offset0:120 offset1:124
	v_accvgpr_read_b32 v13, a0
	v_cmp_nlt_f32_e64 s[4:5], |v13|, s9
	s_waitcnt lgkmcnt(0)
	s_barrier
	v_mfma_f32_16x16x16f16 a[4:7], v[6:7], v[2:3], a[4:7]
	v_mfma_f32_16x16x16f16 a[4:7], v[8:9], v[4:5], a[4:7]
	s_and_saveexec_b64 s[66:67], s[4:5]
	s_xor_b64 s[66:67], exec, s[66:67]
	s_cbranch_execz .LBB30_332
; %bb.331:                              ;   in Loop: Header=BB30_16 Depth=1
	v_add_f32_e64 v2, |v13|, |v13|
	v_mul_f32_e32 v3, 0x3fb8aa3b, v2
	v_rndne_f32_e32 v4, v3
	v_sub_f32_e32 v5, v3, v4
	v_fma_f32 v3, v2, s88, -v3
	v_fmac_f32_e32 v3, 0x32a5705f, v2
	v_add_f32_e32 v3, v5, v3
	v_cvt_i32_f32_e32 v4, v4
	v_exp_f32_e32 v3, v3
	v_cmp_ngt_f32_e32 vcc, s89, v2
	v_ldexp_f32 v3, v3, v4
	v_cndmask_b32_e32 v3, 0, v3, vcc
	v_cmp_nlt_f32_e32 vcc, s85, v2
	v_cndmask_b32_e32 v2, v144, v3, vcc
	v_add_f32_e32 v2, 1.0, v2
	v_rcp_f32_e32 v2, v2
	v_fma_f32 v14, v2, -2.0, 1.0
.LBB30_332:                             ;   in Loop: Header=BB30_16 Depth=1
	s_andn2_saveexec_b64 s[66:67], s[66:67]
; %bb.333:                              ;   in Loop: Header=BB30_16 Depth=1
	v_mul_f32_e32 v2, v13, v13
	v_mov_b32_e32 v3, 0x3ca908c9
	v_fmac_f32_e32 v3, 0xbbbac73d, v2
	v_fma_f32 v3, v2, v3, v218
	v_fma_f32 v3, v2, v3, v119
	;; [unrolled: 1-line block ×3, first 2 shown]
	v_mul_f32_e64 v3, |v13|, v3
	v_fma_f32 v14, v2, v3, |v13|
; %bb.334:                              ;   in Loop: Header=BB30_16 Depth=1
	s_or_b64 exec, exec, s[66:67]
	v_accvgpr_read_b32 v5, a3
	v_accvgpr_read_b32 v3, a1
	;; [unrolled: 1-line block ×4, first 2 shown]
	v_cmp_nlt_f32_e64 s[4:5], |v3|, s9
                                        ; implicit-def: $vgpr2
	s_and_saveexec_b64 s[66:67], s[4:5]
	s_xor_b64 s[66:67], exec, s[66:67]
	s_cbranch_execz .LBB30_336
; %bb.335:                              ;   in Loop: Header=BB30_16 Depth=1
	v_add_f32_e64 v2, |v3|, |v3|
	v_mul_f32_e32 v6, 0x3fb8aa3b, v2
	v_rndne_f32_e32 v7, v6
	v_sub_f32_e32 v8, v6, v7
	v_fma_f32 v6, v2, s88, -v6
	v_fmac_f32_e32 v6, 0x32a5705f, v2
	v_add_f32_e32 v6, v8, v6
	v_cvt_i32_f32_e32 v7, v7
	v_exp_f32_e32 v6, v6
	v_cmp_ngt_f32_e32 vcc, s89, v2
	v_ldexp_f32 v6, v6, v7
	v_cndmask_b32_e32 v6, 0, v6, vcc
	v_cmp_nlt_f32_e32 vcc, s85, v2
	v_cndmask_b32_e32 v2, v144, v6, vcc
	v_add_f32_e32 v2, 1.0, v2
	v_rcp_f32_e32 v2, v2
	v_fma_f32 v2, v2, -2.0, 1.0
.LBB30_336:                             ;   in Loop: Header=BB30_16 Depth=1
	s_andn2_saveexec_b64 s[66:67], s[66:67]
; %bb.337:                              ;   in Loop: Header=BB30_16 Depth=1
	v_mul_f32_e32 v2, v3, v3
	v_mov_b32_e32 v6, 0x3ca908c9
	v_fmac_f32_e32 v6, 0xbbbac73d, v2
	v_fma_f32 v6, v2, v6, v218
	v_fma_f32 v6, v2, v6, v119
	;; [unrolled: 1-line block ×3, first 2 shown]
	v_mul_f32_e64 v6, |v3|, v6
	v_fma_f32 v2, v2, v6, |v3|
; %bb.338:                              ;   in Loop: Header=BB30_16 Depth=1
	s_or_b64 exec, exec, s[66:67]
	v_cmp_nlt_f32_e64 s[4:5], |v4|, s9
                                        ; implicit-def: $vgpr16
	s_and_saveexec_b64 s[66:67], s[4:5]
	s_xor_b64 s[66:67], exec, s[66:67]
	s_cbranch_execz .LBB30_340
; %bb.339:                              ;   in Loop: Header=BB30_16 Depth=1
	v_add_f32_e64 v6, |v4|, |v4|
	v_mul_f32_e32 v7, 0x3fb8aa3b, v6
	v_rndne_f32_e32 v8, v7
	v_sub_f32_e32 v9, v7, v8
	v_fma_f32 v7, v6, s88, -v7
	v_fmac_f32_e32 v7, 0x32a5705f, v6
	v_add_f32_e32 v7, v9, v7
	v_cvt_i32_f32_e32 v8, v8
	v_exp_f32_e32 v7, v7
	v_cmp_ngt_f32_e32 vcc, s89, v6
	v_ldexp_f32 v7, v7, v8
	v_cndmask_b32_e32 v7, 0, v7, vcc
	v_cmp_nlt_f32_e32 vcc, s85, v6
	v_cndmask_b32_e32 v6, v144, v7, vcc
	v_add_f32_e32 v6, 1.0, v6
	v_rcp_f32_e32 v6, v6
	v_fma_f32 v16, v6, -2.0, 1.0
.LBB30_340:                             ;   in Loop: Header=BB30_16 Depth=1
	s_andn2_saveexec_b64 s[66:67], s[66:67]
; %bb.341:                              ;   in Loop: Header=BB30_16 Depth=1
	v_mul_f32_e32 v6, v4, v4
	v_mov_b32_e32 v7, 0x3ca908c9
	v_fmac_f32_e32 v7, 0xbbbac73d, v6
	v_fma_f32 v7, v6, v7, v218
	v_fma_f32 v7, v6, v7, v119
	;; [unrolled: 1-line block ×3, first 2 shown]
	v_mul_f32_e64 v7, |v4|, v7
	v_fma_f32 v16, v6, v7, |v4|
; %bb.342:                              ;   in Loop: Header=BB30_16 Depth=1
	s_or_b64 exec, exec, s[66:67]
	v_cmp_nlt_f32_e64 s[4:5], |v5|, s9
                                        ; implicit-def: $vgpr17
	s_and_saveexec_b64 s[66:67], s[4:5]
	s_xor_b64 s[66:67], exec, s[66:67]
	s_cbranch_execz .LBB30_344
; %bb.343:                              ;   in Loop: Header=BB30_16 Depth=1
	v_add_f32_e64 v6, |v5|, |v5|
	v_mul_f32_e32 v7, 0x3fb8aa3b, v6
	v_rndne_f32_e32 v8, v7
	v_sub_f32_e32 v9, v7, v8
	v_fma_f32 v7, v6, s88, -v7
	v_fmac_f32_e32 v7, 0x32a5705f, v6
	v_add_f32_e32 v7, v9, v7
	v_cvt_i32_f32_e32 v8, v8
	v_exp_f32_e32 v7, v7
	v_cmp_ngt_f32_e32 vcc, s89, v6
	v_ldexp_f32 v7, v7, v8
	v_cndmask_b32_e32 v7, 0, v7, vcc
	v_cmp_nlt_f32_e32 vcc, s85, v6
	v_cndmask_b32_e32 v6, v144, v7, vcc
	v_add_f32_e32 v6, 1.0, v6
	v_rcp_f32_e32 v6, v6
	v_fma_f32 v17, v6, -2.0, 1.0
.LBB30_344:                             ;   in Loop: Header=BB30_16 Depth=1
	s_andn2_saveexec_b64 s[66:67], s[66:67]
; %bb.345:                              ;   in Loop: Header=BB30_16 Depth=1
	v_mul_f32_e32 v6, v5, v5
	v_mov_b32_e32 v7, 0x3ca908c9
	v_fmac_f32_e32 v7, 0xbbbac73d, v6
	v_fma_f32 v7, v6, v7, v218
	v_fma_f32 v7, v6, v7, v119
	;; [unrolled: 1-line block ×3, first 2 shown]
	v_mul_f32_e64 v7, |v5|, v7
	v_fma_f32 v17, v6, v7, |v5|
; %bb.346:                              ;   in Loop: Header=BB30_16 Depth=1
	s_or_b64 exec, exec, s[66:67]
	v_accvgpr_read_b32 v9, a7
	v_accvgpr_read_b32 v6, a4
	;; [unrolled: 1-line block ×4, first 2 shown]
	v_cmp_nlt_f32_e64 s[4:5], |v6|, s9
                                        ; implicit-def: $vgpr10
	s_and_saveexec_b64 s[66:67], s[4:5]
	s_xor_b64 s[66:67], exec, s[66:67]
	s_cbranch_execz .LBB30_348
; %bb.347:                              ;   in Loop: Header=BB30_16 Depth=1
	v_add_f32_e64 v10, |v6|, |v6|
	v_mul_f32_e32 v11, 0x3fb8aa3b, v10
	v_rndne_f32_e32 v12, v11
	v_sub_f32_e32 v15, v11, v12
	v_fma_f32 v11, v10, s88, -v11
	v_fmac_f32_e32 v11, 0x32a5705f, v10
	v_add_f32_e32 v11, v15, v11
	v_cvt_i32_f32_e32 v12, v12
	v_exp_f32_e32 v11, v11
	v_cmp_ngt_f32_e32 vcc, s89, v10
	v_ldexp_f32 v11, v11, v12
	v_cndmask_b32_e32 v11, 0, v11, vcc
	v_cmp_nlt_f32_e32 vcc, s85, v10
	v_cndmask_b32_e32 v10, v144, v11, vcc
	v_add_f32_e32 v10, 1.0, v10
	v_rcp_f32_e32 v10, v10
	v_fma_f32 v10, v10, -2.0, 1.0
.LBB30_348:                             ;   in Loop: Header=BB30_16 Depth=1
	s_andn2_saveexec_b64 s[66:67], s[66:67]
; %bb.349:                              ;   in Loop: Header=BB30_16 Depth=1
	v_mul_f32_e32 v10, v6, v6
	v_mov_b32_e32 v11, 0x3ca908c9
	v_fmac_f32_e32 v11, 0xbbbac73d, v10
	v_fma_f32 v11, v10, v11, v218
	v_fma_f32 v11, v10, v11, v119
	;; [unrolled: 1-line block ×3, first 2 shown]
	v_mul_f32_e64 v11, |v6|, v11
	v_fma_f32 v10, v10, v11, |v6|
; %bb.350:                              ;   in Loop: Header=BB30_16 Depth=1
	s_or_b64 exec, exec, s[66:67]
	v_cmp_nlt_f32_e64 s[4:5], |v7|, s9
                                        ; implicit-def: $vgpr11
	s_and_saveexec_b64 s[66:67], s[4:5]
	s_xor_b64 s[66:67], exec, s[66:67]
	s_cbranch_execz .LBB30_352
; %bb.351:                              ;   in Loop: Header=BB30_16 Depth=1
	v_add_f32_e64 v11, |v7|, |v7|
	v_mul_f32_e32 v12, 0x3fb8aa3b, v11
	v_rndne_f32_e32 v15, v12
	v_sub_f32_e32 v18, v12, v15
	v_fma_f32 v12, v11, s88, -v12
	v_fmac_f32_e32 v12, 0x32a5705f, v11
	v_add_f32_e32 v12, v18, v12
	v_cvt_i32_f32_e32 v15, v15
	v_exp_f32_e32 v12, v12
	v_cmp_ngt_f32_e32 vcc, s89, v11
	v_ldexp_f32 v12, v12, v15
	v_cndmask_b32_e32 v12, 0, v12, vcc
	v_cmp_nlt_f32_e32 vcc, s85, v11
	v_cndmask_b32_e32 v11, v144, v12, vcc
	v_add_f32_e32 v11, 1.0, v11
	v_rcp_f32_e32 v11, v11
	v_fma_f32 v11, v11, -2.0, 1.0
.LBB30_352:                             ;   in Loop: Header=BB30_16 Depth=1
	s_andn2_saveexec_b64 s[66:67], s[66:67]
; %bb.353:                              ;   in Loop: Header=BB30_16 Depth=1
	v_mul_f32_e32 v11, v7, v7
	v_mov_b32_e32 v12, 0x3ca908c9
	v_fmac_f32_e32 v12, 0xbbbac73d, v11
	v_fma_f32 v12, v11, v12, v218
	v_fma_f32 v12, v11, v12, v119
	v_fma_f32 v12, v11, v12, v151
	v_mul_f32_e64 v12, |v7|, v12
	v_fma_f32 v11, v11, v12, |v7|
; %bb.354:                              ;   in Loop: Header=BB30_16 Depth=1
	s_or_b64 exec, exec, s[66:67]
	v_cmp_nlt_f32_e64 s[4:5], |v8|, s9
                                        ; implicit-def: $vgpr12
	s_and_saveexec_b64 s[66:67], s[4:5]
	s_xor_b64 s[66:67], exec, s[66:67]
	s_cbranch_execz .LBB30_356
; %bb.355:                              ;   in Loop: Header=BB30_16 Depth=1
	v_add_f32_e64 v12, |v8|, |v8|
	v_mul_f32_e32 v15, 0x3fb8aa3b, v12
	v_rndne_f32_e32 v18, v15
	v_sub_f32_e32 v19, v15, v18
	v_fma_f32 v15, v12, s88, -v15
	v_fmac_f32_e32 v15, 0x32a5705f, v12
	v_add_f32_e32 v15, v19, v15
	v_cvt_i32_f32_e32 v18, v18
	v_exp_f32_e32 v15, v15
	v_cmp_ngt_f32_e32 vcc, s89, v12
	v_ldexp_f32 v15, v15, v18
	v_cndmask_b32_e32 v15, 0, v15, vcc
	v_cmp_nlt_f32_e32 vcc, s85, v12
	v_cndmask_b32_e32 v12, v144, v15, vcc
	v_add_f32_e32 v12, 1.0, v12
	v_rcp_f32_e32 v12, v12
	v_fma_f32 v12, v12, -2.0, 1.0
.LBB30_356:                             ;   in Loop: Header=BB30_16 Depth=1
	s_andn2_saveexec_b64 s[66:67], s[66:67]
; %bb.357:                              ;   in Loop: Header=BB30_16 Depth=1
	v_mul_f32_e32 v12, v8, v8
	v_mov_b32_e32 v15, 0x3ca908c9
	v_fmac_f32_e32 v15, 0xbbbac73d, v12
	v_fma_f32 v15, v12, v15, v218
	v_fma_f32 v15, v12, v15, v119
	;; [unrolled: 1-line block ×3, first 2 shown]
	v_mul_f32_e64 v15, |v8|, v15
	v_fma_f32 v12, v12, v15, |v8|
; %bb.358:                              ;   in Loop: Header=BB30_16 Depth=1
	s_or_b64 exec, exec, s[66:67]
	v_cmp_nlt_f32_e64 s[4:5], |v9|, s9
                                        ; implicit-def: $vgpr18
	s_and_saveexec_b64 s[66:67], s[4:5]
	s_xor_b64 s[66:67], exec, s[66:67]
	s_cbranch_execz .LBB30_360
; %bb.359:                              ;   in Loop: Header=BB30_16 Depth=1
	v_add_f32_e64 v15, |v9|, |v9|
	v_mul_f32_e32 v18, 0x3fb8aa3b, v15
	v_rndne_f32_e32 v19, v18
	v_sub_f32_e32 v20, v18, v19
	v_fma_f32 v18, v15, s88, -v18
	v_fmac_f32_e32 v18, 0x32a5705f, v15
	v_add_f32_e32 v18, v20, v18
	v_cvt_i32_f32_e32 v19, v19
	v_exp_f32_e32 v18, v18
	v_cmp_ngt_f32_e32 vcc, s89, v15
	v_ldexp_f32 v18, v18, v19
	v_cndmask_b32_e32 v18, 0, v18, vcc
	v_cmp_nlt_f32_e32 vcc, s85, v15
	v_cndmask_b32_e32 v15, v144, v18, vcc
	v_add_f32_e32 v15, 1.0, v15
	v_rcp_f32_e32 v15, v15
	v_fma_f32 v18, v15, -2.0, 1.0
.LBB30_360:                             ;   in Loop: Header=BB30_16 Depth=1
	s_andn2_saveexec_b64 s[66:67], s[66:67]
; %bb.361:                              ;   in Loop: Header=BB30_16 Depth=1
	v_mul_f32_e32 v15, v9, v9
	v_mov_b32_e32 v18, 0x3ca908c9
	v_fmac_f32_e32 v18, 0xbbbac73d, v15
	v_fma_f32 v18, v15, v18, v218
	v_fma_f32 v18, v15, v18, v119
	;; [unrolled: 1-line block ×3, first 2 shown]
	v_mul_f32_e64 v18, |v9|, v18
	v_fma_f32 v18, v15, v18, |v9|
; %bb.362:                              ;   in Loop: Header=BB30_16 Depth=1
	s_or_b64 exec, exec, s[66:67]
	v_bfi_b32 v6, s8, v10, v6
	v_bfi_b32 v2, s8, v2, v3
	v_mul_f32_e32 v10, s97, v6
	v_bfi_b32 v6, s8, v11, v7
	v_mul_f32_e32 v15, s97, v2
	;; [unrolled: 2-line block ×7, first 2 shown]
	v_mul_f32_e32 v13, s97, v2
	s_and_b64 vcc, exec, s[64:65]
	s_cbranch_vccz .LBB30_454
; %bb.363:                              ;   in Loop: Header=BB30_16 Depth=1
	v_accvgpr_read_b32 v2, a72
	v_add_u32_e32 v2, 0x8400, v2
	v_accvgpr_read_b32 v4, a74
	ds_read2_b32 v[2:3], v2 offset1:1
	ds_read_b32 v6, v4 offset:33792
	v_accvgpr_read_b32 v4, a76
	ds_read_b32 v7, v4 offset:33792
	s_waitcnt lgkmcnt(2)
	v_cvt_f32_f16_e32 v4, v2
	v_cvt_f32_f16_sdwa v5, v2 dst_sel:DWORD dst_unused:UNUSED_PAD src0_sel:WORD_1
	v_cvt_f32_f16_e32 v2, v3
	v_cvt_f32_f16_sdwa v3, v3 dst_sel:DWORD dst_unused:UNUSED_PAD src0_sel:WORD_1
	s_waitcnt lgkmcnt(1)
	v_cvt_f32_f16_sdwa v19, v6 dst_sel:DWORD dst_unused:UNUSED_PAD src0_sel:WORD_1
	s_waitcnt lgkmcnt(0)
	v_cvt_f32_f16_sdwa v21, v7 dst_sel:DWORD dst_unused:UNUSED_PAD src0_sel:WORD_1
	v_cvt_f32_f16_e32 v20, v7
	v_cvt_f32_f16_e32 v18, v6
	v_pk_fma_f32 v[8:9], v[92:93], v[2:3], v[16:17] op_sel_hi:[0,1,1]
	v_pk_fma_f32 v[6:7], v[92:93], v[4:5], v[14:15] op_sel_hi:[0,1,1]
	;; [unrolled: 1-line block ×4, first 2 shown]
	s_cbranch_execnz .LBB30_365
.LBB30_364:                             ;   in Loop: Header=BB30_16 Depth=1
	v_pk_mov_b32 v[2:3], v[10:11], v[10:11] op_sel:[0,1]
	v_pk_mov_b32 v[6:7], v[14:15], v[14:15] op_sel:[0,1]
	;; [unrolled: 1-line block ×4, first 2 shown]
.LBB30_365:                             ;   in Loop: Header=BB30_16 Depth=1
	v_accvgpr_read_b32 v10, a71
	v_cmp_gt_u32_e64 s[76:77], s80, v10
	v_add_f32_e32 v10, 0x40051340, v6
	v_max_f32_e32 v11, v46, v46
	v_max_f32_e32 v10, v11, v10
	v_cndmask_b32_e64 v10, v46, v10, s[76:77]
	v_accvgpr_read_b32 v11, a178
	v_cmp_gt_u32_e64 s[78:79], s80, v11
	v_add_f32_e32 v11, 0x40051340, v7
	v_max_f32_e32 v12, v10, v10
	v_max_f32_e32 v11, v12, v11
	v_cndmask_b32_e64 v10, v10, v11, s[78:79]
	;; [unrolled: 6-line block ×7, first 2 shown]
	v_accvgpr_read_b32 v11, a182
	v_cmp_gt_u32_e32 vcc, s80, v11
	v_add_f32_e32 v11, 0x40051340, v5
	v_max_f32_e32 v12, v10, v10
	v_max_f32_e32 v11, v12, v11
	v_cndmask_b32_e32 v10, v10, v11, vcc
	v_and_b32_e32 v11, 64, v99
	v_add_u32_e32 v12, 64, v11
	v_xor_b32_e32 v11, 32, v99
	v_cmp_lt_i32_e64 s[80:81], v11, v12
	v_cndmask_b32_e64 v11, v99, v11, s[80:81]
	v_lshlrev_b32_e32 v11, 2, v11
	ds_bpermute_b32 v13, v11, v10
	v_max_f32_e32 v10, v10, v10
	v_cndmask_b32_e64 v8, v8, v8, s[78:79]
	v_cndmask_b32_e64 v9, v9, v9, s[78:79]
	;; [unrolled: 1-line block ×3, first 2 shown]
	s_waitcnt lgkmcnt(0)
	v_max_f32_e32 v13, v13, v13
	v_max_f32_e32 v10, v10, v13
	v_xor_b32_e32 v13, 16, v99
	v_cmp_lt_i32_e64 s[80:81], v13, v12
	v_cndmask_b32_e64 v12, v99, v13, s[80:81]
	v_lshlrev_b32_e32 v37, 2, v12
	ds_bpermute_b32 v12, v37, v10
	v_cndmask_b32_e64 v5, v5, v5, s[68:69]
	v_cndmask_b32_e64 v4, v4, v4, s[68:69]
	s_mul_i32 s4, s44, s83
	s_mul_hi_u32 s5, s44, s82
	s_waitcnt lgkmcnt(0)
	v_max_f32_e32 v12, v12, v12
	v_max_f32_e32 v10, v10, v12
	v_sub_f32_e32 v6, v6, v10
	v_mul_f32_e32 v12, 0x3fb8aa3b, v6
	v_fma_f32 v13, v6, s88, -v12
	v_rndne_f32_e32 v14, v12
	v_fmac_f32_e32 v13, 0x32a5705f, v6
	v_sub_f32_e32 v12, v12, v14
	v_add_f32_e32 v12, v12, v13
	v_exp_f32_e32 v12, v12
	v_cvt_i32_f32_e32 v13, v14
	v_cmp_ngt_f32_e64 s[80:81], s89, v6
	v_sub_f32_e32 v7, v7, v10
	v_sub_f32_e32 v8, v8, v10
	v_ldexp_f32 v12, v12, v13
	v_cndmask_b32_e64 v12, 0, v12, s[80:81]
	v_cmp_nlt_f32_e64 s[80:81], s85, v6
	v_cndmask_b32_e64 v6, v144, v12, s[80:81]
	v_mul_f32_e32 v12, 0x3fb8aa3b, v7
	v_fma_f32 v13, v7, s88, -v12
	v_rndne_f32_e32 v14, v12
	v_fmac_f32_e32 v13, 0x32a5705f, v7
	v_sub_f32_e32 v12, v12, v14
	v_add_f32_e32 v12, v12, v13
	v_exp_f32_e32 v12, v12
	v_cvt_i32_f32_e32 v13, v14
	v_cndmask_b32_e64 v6, 0, v6, s[76:77]
	v_cmp_ngt_f32_e64 s[76:77], s89, v7
	v_sub_f32_e32 v2, v2, v10
	v_ldexp_f32 v12, v12, v13
	v_cndmask_b32_e64 v12, 0, v12, s[76:77]
	v_cmp_nlt_f32_e64 s[76:77], s85, v7
	v_cndmask_b32_e64 v12, v144, v12, s[76:77]
	v_mov_b32_e32 v7, s45
	v_add_f32_e32 v13, v12, v6
	v_cndmask_b32_e64 v14, v7, v12, s[78:79]
	v_mul_f32_e32 v12, 0x3fb8aa3b, v8
	v_cndmask_b32_e64 v7, v6, v13, s[78:79]
	v_fma_f32 v13, v8, s88, -v12
	v_rndne_f32_e32 v15, v12
	v_fmac_f32_e32 v13, 0x32a5705f, v8
	v_sub_f32_e32 v12, v12, v15
	v_add_f32_e32 v12, v12, v13
	v_exp_f32_e32 v12, v12
	v_cvt_i32_f32_e32 v13, v15
	v_cmp_ngt_f32_e64 s[76:77], s89, v8
	v_sub_f32_e32 v3, v3, v10
	s_mov_b32 s81, 0xc1a00000
	v_ldexp_f32 v12, v12, v13
	v_cndmask_b32_e64 v12, 0, v12, s[76:77]
	v_cmp_nlt_f32_e64 s[76:77], s85, v8
	v_cndmask_b32_e64 v12, v144, v12, s[76:77]
	v_add_f32_e32 v13, v7, v12
	v_mov_b32_e32 v8, s45
	v_cndmask_b32_e64 v8, v8, v12, s[72:73]
	v_cndmask_b32_e64 v12, v7, v13, s[72:73]
	v_sub_f32_e32 v7, v9, v10
	v_mul_f32_e32 v9, 0x3fb8aa3b, v7
	v_fma_f32 v13, v7, s88, -v9
	v_rndne_f32_e32 v15, v9
	v_fmac_f32_e32 v13, 0x32a5705f, v7
	v_sub_f32_e32 v9, v9, v15
	v_add_f32_e32 v9, v9, v13
	v_exp_f32_e32 v9, v9
	v_cvt_i32_f32_e32 v13, v15
	v_cmp_ngt_f32_e64 s[72:73], s89, v7
	s_add_i32 s5, s5, s4
	s_mul_i32 s4, s44, s82
	v_ldexp_f32 v9, v9, v13
	v_cndmask_b32_e64 v9, 0, v9, s[72:73]
	v_cmp_nlt_f32_e64 s[72:73], s85, v7
	v_cndmask_b32_e64 v9, v144, v9, s[72:73]
	v_add_f32_e32 v13, v12, v9
	v_mov_b32_e32 v7, s45
	v_cndmask_b32_e64 v7, v7, v9, s[70:71]
	v_cndmask_b32_e64 v9, v12, v13, s[70:71]
	v_mul_f32_e32 v12, 0x3fb8aa3b, v2
	v_fma_f32 v13, v2, s88, -v12
	v_rndne_f32_e32 v15, v12
	v_fmac_f32_e32 v13, 0x32a5705f, v2
	v_sub_f32_e32 v12, v12, v15
	v_add_f32_e32 v12, v12, v13
	v_exp_f32_e32 v12, v12
	v_cvt_i32_f32_e32 v13, v15
	v_cmp_ngt_f32_e64 s[70:71], s89, v2
	s_lshl_b64 s[4:5], s[4:5], 2
	s_add_u32 s4, s33, s4
	v_ldexp_f32 v12, v12, v13
	v_cndmask_b32_e64 v12, 0, v12, s[70:71]
	v_cmp_nlt_f32_e64 s[70:71], s85, v2
	v_cndmask_b32_e64 v12, v144, v12, s[70:71]
	v_add_f32_e32 v13, v12, v9
	v_mov_b32_e32 v2, s45
	v_cndmask_b32_e64 v40, v2, v12, s[68:69]
	v_cndmask_b32_e64 v2, v9, v13, s[68:69]
	v_mul_f32_e32 v9, 0x3fb8aa3b, v3
	v_fma_f32 v12, v3, s88, -v9
	v_rndne_f32_e32 v13, v9
	v_fmac_f32_e32 v12, 0x32a5705f, v3
	v_sub_f32_e32 v9, v9, v13
	v_add_f32_e32 v9, v9, v12
	v_exp_f32_e32 v9, v9
	v_cvt_i32_f32_e32 v12, v13
	v_cmp_ngt_f32_e64 s[68:69], s89, v3
	s_addc_u32 s5, s84, s5
	v_mov_b32_e32 v50, s94
	v_ldexp_f32 v9, v9, v12
	v_cndmask_b32_e64 v9, 0, v9, s[68:69]
	v_cmp_nlt_f32_e64 s[68:69], s85, v3
	v_cndmask_b32_e64 v9, v144, v9, s[68:69]
	v_add_f32_e32 v12, v9, v2
	v_mov_b32_e32 v3, s45
	v_cndmask_b32_e64 v9, v3, v9, s[66:67]
	v_cndmask_b32_e64 v3, v2, v12, s[66:67]
	v_sub_f32_e32 v2, v4, v10
	v_mul_f32_e32 v4, 0x3fb8aa3b, v2
	v_fma_f32 v12, v2, s88, -v4
	v_rndne_f32_e32 v13, v4
	v_fmac_f32_e32 v12, 0x32a5705f, v2
	v_sub_f32_e32 v4, v4, v13
	v_add_f32_e32 v4, v4, v12
	v_exp_f32_e32 v4, v4
	v_cvt_i32_f32_e32 v12, v13
	v_cmp_ngt_f32_e64 s[66:67], s89, v2
	v_mov_b32_e32 v57, s5
	buffer_store_dword v125, off, s[0:3], 0
	buffer_store_dword v125, off, s[0:3], 0 offset:4
	buffer_store_dword v125, off, s[0:3], 0 offset:8
	;; [unrolled: 1-line block ×3, first 2 shown]
	v_ldexp_f32 v4, v4, v12
	v_cndmask_b32_e64 v4, 0, v4, s[66:67]
	v_cmp_nlt_f32_e64 s[66:67], s85, v2
	v_cndmask_b32_e64 v4, v144, v4, s[66:67]
	v_add_f32_e32 v12, v4, v3
	v_mov_b32_e32 v2, s45
	v_cndmask_b32_e64 v4, v2, v4, s[64:65]
	v_cndmask_b32_e64 v2, v3, v12, s[64:65]
	v_sub_f32_e32 v3, v5, v10
	v_mul_f32_e32 v5, 0x3fb8aa3b, v3
	v_fma_f32 v12, v3, s88, -v5
	v_rndne_f32_e32 v13, v5
	v_fmac_f32_e32 v12, 0x32a5705f, v3
	v_sub_f32_e32 v5, v5, v13
	v_add_f32_e32 v5, v5, v12
	v_exp_f32_e32 v5, v5
	v_cvt_i32_f32_e32 v12, v13
	v_cmp_ngt_f32_e64 s[64:65], s89, v3
	v_cvt_f16_f32_e32 v4, v4
	s_cmp_eq_u64 s[74:75], 0
	v_ldexp_f32 v5, v5, v12
	v_cndmask_b32_e64 v5, 0, v5, s[64:65]
	v_cmp_nlt_f32_e64 s[64:65], s85, v3
	v_cndmask_b32_e64 v5, v144, v5, s[64:65]
	v_add_f32_e32 v12, v5, v2
	v_mov_b32_e32 v3, s45
	v_cndmask_b32_e32 v38, v2, v12, vcc
	v_sub_f32_e32 v2, v46, v10
	v_cndmask_b32_e32 v3, v3, v5, vcc
	v_mul_f32_e32 v5, 0x3fb8aa3b, v2
	v_fma_f32 v12, v2, s88, -v5
	v_rndne_f32_e32 v13, v5
	v_fmac_f32_e32 v12, 0x32a5705f, v2
	v_sub_f32_e32 v5, v5, v13
	v_add_f32_e32 v5, v5, v12
	v_exp_f32_e32 v5, v5
	v_cvt_i32_f32_e32 v12, v13
	v_cmp_ngt_f32_e32 vcc, s89, v2
	v_cvt_f16_f32_e32 v3, v3
	v_ldexp_f32 v5, v5, v12
	v_cndmask_b32_e32 v5, 0, v5, vcc
	v_cmp_nlt_f32_e32 vcc, s85, v2
	v_cndmask_b32_e32 v5, v144, v5, vcc
	v_cmp_le_f32_e32 vcc, s81, v2
	v_cndmask_b32_e32 v2, 0, v5, vcc
	v_fmac_f32_e32 v38, v42, v2
	v_cvt_f16_f32_e32 v2, v2
	v_cvt_f16_f32_e32 v5, v14
	v_pack_b32_f16 v3, v4, v3
	v_add_co_u32_e32 v4, vcc, s4, v58
	v_pk_mul_f16 v47, v2, v219 op_sel_hi:[0,1]
	v_pk_mul_f16 v46, v2, v52 op_sel_hi:[0,1]
	;; [unrolled: 1-line block ×32, first 2 shown]
	v_cvt_f16_f32_e32 v2, v6
	v_accvgpr_read_b32 v201, a35
	v_accvgpr_read_b32 v203, a36
	;; [unrolled: 1-line block ×3, first 2 shown]
	v_pack_b32_f16 v14, v2, v5
	v_cvt_f16_f32_e32 v2, v8
	v_cvt_f16_f32_e32 v5, v7
	v_mov_b32_e32 v7, s5
	v_accvgpr_read_b32 v216, a38
	v_accvgpr_read_b32 v219, a39
	v_pack_b32_f16 v15, v2, v5
	v_cvt_f16_f32_e32 v2, v40
	v_cvt_f16_f32_e32 v5, v9
	v_mov_b32_e32 v40, s95
	v_mov_b32_e32 v9, s5
	v_accvgpr_read_b32 v221, a40
	v_pack_b32_f16 v2, v2, v5
	v_mov_b32_e32 v5, s5
	v_addc_co_u32_e32 v5, vcc, v5, v59, vcc
	v_add_co_u32_e32 v4, vcc, v4, v1
	v_addc_co_u32_e32 v5, vcc, 0, v5, vcc
	v_cndmask_b32_e64 v49, v40, v5, s[48:49]
	v_cndmask_b32_e64 v48, v50, v4, s[48:49]
	v_add_co_u32_e32 v4, vcc, s4, v60
	v_mov_b32_e32 v5, s5
	v_addc_co_u32_e32 v5, vcc, v5, v61, vcc
	v_add_co_u32_e32 v4, vcc, v4, v1
	v_addc_co_u32_e32 v5, vcc, 0, v5, vcc
	v_cndmask_b32_e64 v53, v40, v5, s[50:51]
	v_cndmask_b32_e64 v52, v50, v4, s[50:51]
	v_add_co_u32_e32 v4, vcc, s4, v62
	;; [unrolled: 7-line block ×3, first 2 shown]
	v_mov_b32_e32 v5, s5
	v_addc_co_u32_e32 v5, vcc, v5, v65, vcc
	v_add_co_u32_e32 v4, vcc, v4, v1
	v_addc_co_u32_e32 v5, vcc, 0, v5, vcc
	v_add_co_u32_e32 v6, vcc, s4, v66
	;; [unrolled: 2-line block ×7, first 2 shown]
	v_addc_co_u32_e32 v57, vcc, 0, v57, vcc
	v_cndmask_b32_e64 v93, v40, v57, s[60:61]
	v_cndmask_b32_e64 v92, v50, v51, s[60:61]
	v_add_co_u32_e32 v51, vcc, s4, v72
	v_mov_b32_e32 v57, s5
	v_addc_co_u32_e32 v57, vcc, v57, v73, vcc
	v_add_co_u32_e32 v1, vcc, v51, v1
	v_addc_co_u32_e32 v51, vcc, 0, v57, vcc
	v_cndmask_b32_e64 v4, v50, v4, s[54:55]
	v_cndmask_b32_e64 v6, v50, v6, s[56:57]
	;; [unrolled: 1-line block ×5, first 2 shown]
	flat_load_dwordx4 v[48:51], v[48:49]
	v_cndmask_b32_e64 v5, v40, v5, s[54:55]
	v_cndmask_b32_e64 v7, v40, v7, s[56:57]
	;; [unrolled: 1-line block ×3, first 2 shown]
	v_add_u32_e32 v1, v153, v224
	v_add_u32_e32 v40, v153, v225
	v_accvgpr_read_b32 v223, a41
	v_accvgpr_read_b32 v163, a26
	;; [unrolled: 1-line block ×10, first 2 shown]
	v_readlane_b32 s48, v255, 9
	v_readlane_b32 s49, v255, 10
	s_cselect_b64 s[4:5], -1, 0
	s_xor_b64 s[48:49], s[48:49], -1
	s_or_b64 s[4:5], s[48:49], s[4:5]
	s_waitcnt vmcnt(0) lgkmcnt(0)
	ds_write_b128 v152, v[48:51]
	flat_load_dwordx4 v[48:51], v[52:53]
	s_waitcnt vmcnt(0) lgkmcnt(0)
	ds_write_b128 v209, v[48:51]
	flat_load_dwordx4 v[48:51], v[54:55]
	;; [unrolled: 3-line block ×7, first 2 shown]
	s_waitcnt vmcnt(0) lgkmcnt(0)
	ds_write_b128 v222, v[4:7]
	s_waitcnt lgkmcnt(0)
	s_barrier
	ds_read_u16 v1, v1 offset:528
	ds_read_u16 v8, v242 offset:1056
	v_cvt_f32_f16_e32 v6, v46
	v_cvt_f32_f16_sdwa v7, v46 dst_sel:DWORD dst_unused:UNUSED_PAD src0_sel:WORD_1
	ds_read_u16 v9, v40
	ds_read_u16 v46, v40 offset:32
	v_cvt_f32_f16_e32 v4, v47
	v_cvt_f32_f16_sdwa v5, v47 dst_sel:DWORD dst_unused:UNUSED_PAD src0_sel:WORD_1
	s_waitcnt lgkmcnt(1)
	v_perm_b32 v9, v9, v8, s46
	ds_read_u16 v8, v169
	ds_read_u16 v47, v169 offset:32
	v_accvgpr_write_b32 a0, v4
	v_accvgpr_write_b32 a1, v5
	;; [unrolled: 1-line block ×3, first 2 shown]
	s_waitcnt lgkmcnt(1)
	v_perm_b32 v8, v1, v8, s46
	v_accvgpr_write_b32 a3, v7
	s_nop 1
	v_mfma_f32_16x16x16f16 a[0:3], v[8:9], v[14:15], a[0:3]
	ds_read_u16 v8, v169 offset:16896
	s_nop 7
	s_nop 1
	v_accvgpr_read_b32 v4, a1
	v_cvt_f16_f32_e32 v5, v4
	v_accvgpr_read_b32 v4, a2
	v_cvt_f16_f32_e32 v6, v4
	v_accvgpr_read_b32 v4, a3
	v_accvgpr_read_b32 v1, a0
	v_cvt_f16_f32_e32 v7, v4
	v_add_u32_e32 v4, v226, v224
	v_cvt_f16_f32_e32 v1, v1
	ds_read_u16 v48, v4 offset:528
	ds_read_u16 v9, v243 offset:1056
	;; [unrolled: 1-line block ×3, first 2 shown]
	v_cvt_f32_f16_e32 v5, v5
	v_cvt_f32_f16_e32 v6, v6
	;; [unrolled: 1-line block ×4, first 2 shown]
	s_waitcnt lgkmcnt(0)
	v_perm_b32 v9, v49, v9, s46
	v_perm_b32 v8, v48, v8, s46
	v_accvgpr_write_b32 a0, v4
	v_accvgpr_write_b32 a1, v5
	;; [unrolled: 1-line block ×4, first 2 shown]
	v_cvt_f32_f16_sdwa v7, v45 dst_sel:DWORD dst_unused:UNUSED_PAD src0_sel:WORD_1
	s_nop 0
	v_mfma_f32_16x16x16f16 a[0:3], v[8:9], v[2:3], a[0:3]
	v_cvt_f32_f16_e32 v8, v44
	v_cvt_f32_f16_sdwa v9, v44 dst_sel:DWORD dst_unused:UNUSED_PAD src0_sel:WORD_1
	s_nop 7
	s_nop 0
	v_accvgpr_read_b32 v1, a0
	v_accvgpr_read_b32 v4, a1
	;; [unrolled: 1-line block ×4, first 2 shown]
	v_cvt_f16_f32_e32 v1, v1
	v_cvt_f16_f32_e32 v4, v4
	;; [unrolled: 1-line block ×4, first 2 shown]
	v_pack_b32_f16 v4, v1, v4
	v_pack_b32_f16 v1, v5, v6
	v_add_u32_e32 v5, v227, v224
	ds_read_u16 v5, v5 offset:528
	ds_read_u16 v48, v244 offset:1056
	v_cvt_f32_f16_e32 v6, v45
	s_waitcnt lgkmcnt(1)
	v_perm_b32 v44, v5, v47, s46
	s_waitcnt lgkmcnt(0)
	v_perm_b32 v45, v46, v48, s46
	v_accvgpr_write_b32 a0, v6
	v_accvgpr_write_b32 a1, v7
	;; [unrolled: 1-line block ×4, first 2 shown]
	s_nop 1
	v_mfma_f32_16x16x16f16 a[0:3], v[44:45], v[14:15], a[0:3]
	ds_read_u16 v44, v201 offset:16896
	ds_read_u16 v45, v203 offset:1056
	s_nop 7
	s_nop 0
	v_accvgpr_read_b32 v6, a1
	v_cvt_f16_f32_e32 v7, v6
	v_accvgpr_read_b32 v6, a2
	v_cvt_f16_f32_e32 v8, v6
	;; [unrolled: 2-line block ×3, first 2 shown]
	v_add_u32_e32 v6, v184, v224
	v_accvgpr_read_b32 v5, a0
	ds_read_u16 v46, v6 offset:528
	v_add_u32_e32 v6, v227, v225
	ds_read_u16 v47, v6 offset:16896
	v_cvt_f16_f32_e32 v5, v5
	v_cvt_f32_f16_e32 v7, v7
	v_cvt_f32_f16_e32 v8, v8
	;; [unrolled: 1-line block ×4, first 2 shown]
	s_waitcnt lgkmcnt(0)
	v_perm_b32 v45, v47, v45, s46
	v_perm_b32 v44, v46, v44, s46
	v_cvt_f32_f16_e32 v46, v42
	v_accvgpr_write_b32 a0, v6
	v_accvgpr_write_b32 a1, v7
	;; [unrolled: 1-line block ×4, first 2 shown]
	v_cvt_f32_f16_sdwa v47, v42 dst_sel:DWORD dst_unused:UNUSED_PAD src0_sel:WORD_1
	s_nop 0
	v_mfma_f32_16x16x16f16 a[0:3], v[44:45], v[2:3], a[0:3]
	v_cvt_f32_f16_e32 v44, v43
	v_cvt_f32_f16_sdwa v45, v43 dst_sel:DWORD dst_unused:UNUSED_PAD src0_sel:WORD_1
	s_nop 7
	s_nop 0
	v_accvgpr_read_b32 v5, a0
	v_accvgpr_read_b32 v6, a1
	;; [unrolled: 1-line block ×4, first 2 shown]
	v_cvt_f16_f32_e32 v5, v5
	v_cvt_f16_f32_e32 v6, v6
	;; [unrolled: 1-line block ×4, first 2 shown]
	v_accvgpr_write_b32 a0, v44
	v_pack_b32_f16 v6, v5, v6
	v_accvgpr_write_b32 a1, v45
	v_pack_b32_f16 v5, v7, v8
	v_add_u32_e32 v8, v228, v224
	ds_read_u16 v7, v169 offset:64
	ds_read_u16 v8, v8 offset:528
	;; [unrolled: 1-line block ×4, first 2 shown]
	v_accvgpr_write_b32 a2, v46
	v_accvgpr_write_b32 a3, v47
	ds_read_u16 v46, v207 offset:16896
	s_waitcnt lgkmcnt(3)
	v_perm_b32 v8, v8, v7, s46
	s_waitcnt lgkmcnt(1)
	v_perm_b32 v9, v48, v9, s46
	ds_read_u16 v48, v216 offset:1056
	s_nop 0
	v_mfma_f32_16x16x16f16 a[0:3], v[8:9], v[14:15], a[0:3]
	s_nop 7
	s_nop 2
	v_accvgpr_read_b32 v42, a3
	v_cvt_f16_f32_e32 v45, v42
	v_add_u32_e32 v42, v185, v224
	v_accvgpr_read_b32 v7, a0
	ds_read_u16 v47, v42 offset:528
	v_add_u32_e32 v42, v228, v225
	ds_read_u16 v49, v42 offset:16896
	v_cvt_f16_f32_e32 v7, v7
	v_accvgpr_read_b32 v8, a1
	v_accvgpr_read_b32 v9, a2
	v_cvt_f16_f32_e32 v8, v8
	v_cvt_f16_f32_e32 v9, v9
	v_cvt_f32_f16_e32 v42, v7
	v_cvt_f32_f16_e32 v45, v45
	;; [unrolled: 1-line block ×4, first 2 shown]
	s_waitcnt lgkmcnt(0)
	v_perm_b32 v9, v49, v48, s46
	v_perm_b32 v8, v47, v46, s46
	v_accvgpr_write_b32 a0, v42
	v_accvgpr_write_b32 a1, v43
	;; [unrolled: 1-line block ×4, first 2 shown]
	v_cvt_f32_f16_sdwa v43, v41 dst_sel:DWORD dst_unused:UNUSED_PAD src0_sel:WORD_1
	v_cvt_f32_f16_e32 v44, v12
	v_mfma_f32_16x16x16f16 a[0:3], v[8:9], v[2:3], a[0:3]
	v_cvt_f32_f16_sdwa v45, v12 dst_sel:DWORD dst_unused:UNUSED_PAD src0_sel:WORD_1
	s_nop 7
	s_nop 1
	v_accvgpr_read_b32 v7, a0
	v_accvgpr_read_b32 v8, a1
	;; [unrolled: 1-line block ×4, first 2 shown]
	v_cvt_f16_f32_e32 v7, v7
	v_cvt_f16_f32_e32 v8, v8
	;; [unrolled: 1-line block ×4, first 2 shown]
	v_pack_b32_f16 v8, v7, v8
	v_pack_b32_f16 v7, v9, v42
	v_add_u32_e32 v42, v229, v224
	ds_read_u16 v9, v169 offset:96
	ds_read_u16 v46, v42 offset:528
	;; [unrolled: 1-line block ×4, first 2 shown]
	v_cvt_f32_f16_e32 v42, v41
	s_waitcnt lgkmcnt(2)
	v_perm_b32 v46, v46, v9, s46
	s_waitcnt lgkmcnt(0)
	v_perm_b32 v47, v48, v47, s46
	v_accvgpr_write_b32 a0, v42
	v_accvgpr_write_b32 a1, v43
	;; [unrolled: 1-line block ×4, first 2 shown]
	s_nop 1
	v_mfma_f32_16x16x16f16 a[0:3], v[46:47], v[14:15], a[0:3]
	ds_read_u16 v46, v219 offset:16896
	ds_read_u16 v47, v221 offset:1056
	s_nop 7
	s_nop 0
	v_accvgpr_read_b32 v42, a3
	v_cvt_f16_f32_e32 v45, v42
	v_add_u32_e32 v42, v186, v224
	v_accvgpr_read_b32 v9, a0
	ds_read_u16 v48, v42 offset:528
	v_add_u32_e32 v42, v229, v225
	ds_read_u16 v49, v42 offset:16896
	v_cvt_f16_f32_e32 v9, v9
	v_accvgpr_read_b32 v12, a1
	v_accvgpr_read_b32 v41, a2
	v_cvt_f16_f32_e32 v12, v12
	v_cvt_f16_f32_e32 v41, v41
	v_cvt_f32_f16_e32 v42, v9
	v_cvt_f32_f16_e32 v45, v45
	;; [unrolled: 1-line block ×4, first 2 shown]
	s_waitcnt lgkmcnt(0)
	v_perm_b32 v47, v49, v47, s46
	v_perm_b32 v46, v48, v46, s46
	v_accvgpr_write_b32 a0, v42
	v_accvgpr_write_b32 a1, v43
	;; [unrolled: 1-line block ×4, first 2 shown]
	v_cvt_f32_f16_sdwa v43, v16 dst_sel:DWORD dst_unused:UNUSED_PAD src0_sel:WORD_1
	v_cvt_f32_f16_e32 v44, v13
	v_mfma_f32_16x16x16f16 a[0:3], v[46:47], v[2:3], a[0:3]
	v_cvt_f32_f16_sdwa v45, v13 dst_sel:DWORD dst_unused:UNUSED_PAD src0_sel:WORD_1
	s_nop 7
	s_nop 1
	v_accvgpr_read_b32 v9, a0
	v_accvgpr_read_b32 v12, a1
	;; [unrolled: 1-line block ×4, first 2 shown]
	v_cvt_f16_f32_e32 v9, v9
	v_cvt_f16_f32_e32 v12, v12
	;; [unrolled: 1-line block ×4, first 2 shown]
	v_pack_b32_f16 v12, v9, v12
	v_pack_b32_f16 v9, v41, v42
	v_add_u32_e32 v42, v230, v224
	ds_read_u16 v41, v169 offset:128
	ds_read_u16 v46, v42 offset:528
	;; [unrolled: 1-line block ×4, first 2 shown]
	v_cvt_f32_f16_e32 v42, v16
	s_waitcnt lgkmcnt(2)
	v_perm_b32 v46, v46, v41, s46
	s_waitcnt lgkmcnt(0)
	v_perm_b32 v47, v48, v47, s46
	v_accvgpr_write_b32 a0, v42
	v_accvgpr_write_b32 a1, v43
	;; [unrolled: 1-line block ×4, first 2 shown]
	s_nop 1
	v_mfma_f32_16x16x16f16 a[0:3], v[46:47], v[14:15], a[0:3]
	ds_read_u16 v46, v223 offset:16896
	s_nop 7
	s_nop 1
	v_accvgpr_read_b32 v42, a3
	v_cvt_f16_f32_e32 v45, v42
	v_add_u32_e32 v42, v187, v224
	ds_read_u16 v48, v42 offset:528
	v_accvgpr_read_b32 v42, a42
	v_accvgpr_read_b32 v13, a0
	ds_read_u16 v47, v42 offset:1056
	v_add_u32_e32 v42, v230, v225
	v_cvt_f16_f32_e32 v13, v13
	v_accvgpr_read_b32 v16, a1
	v_accvgpr_read_b32 v41, a2
	ds_read_u16 v49, v42 offset:16896
	v_cvt_f16_f32_e32 v16, v16
	v_cvt_f16_f32_e32 v41, v41
	v_cvt_f32_f16_e32 v42, v13
	v_cvt_f32_f16_e32 v45, v45
	v_cvt_f32_f16_e32 v43, v16
	v_cvt_f32_f16_e32 v44, v41
	s_waitcnt lgkmcnt(0)
	v_perm_b32 v47, v49, v47, s46
	v_perm_b32 v46, v48, v46, s46
	v_accvgpr_write_b32 a0, v42
	v_accvgpr_write_b32 a1, v43
	;; [unrolled: 1-line block ×4, first 2 shown]
	v_cvt_f32_f16_sdwa v43, v18 dst_sel:DWORD dst_unused:UNUSED_PAD src0_sel:WORD_1
	v_cvt_f32_f16_e32 v44, v17
	v_mfma_f32_16x16x16f16 a[0:3], v[46:47], v[2:3], a[0:3]
	v_cvt_f32_f16_sdwa v45, v17 dst_sel:DWORD dst_unused:UNUSED_PAD src0_sel:WORD_1
	s_nop 7
	s_nop 1
	v_accvgpr_read_b32 v13, a0
	v_accvgpr_read_b32 v16, a1
	;; [unrolled: 1-line block ×4, first 2 shown]
	v_cvt_f16_f32_e32 v13, v13
	v_cvt_f16_f32_e32 v16, v16
	;; [unrolled: 1-line block ×4, first 2 shown]
	v_pack_b32_f16 v16, v13, v16
	v_pack_b32_f16 v13, v41, v42
	v_add_u32_e32 v42, v231, v224
	ds_read_u16 v41, v169 offset:160
	ds_read_u16 v46, v42 offset:528
	;; [unrolled: 1-line block ×4, first 2 shown]
	v_cvt_f32_f16_e32 v42, v18
	s_waitcnt lgkmcnt(2)
	v_perm_b32 v46, v46, v41, s46
	s_waitcnt lgkmcnt(0)
	v_perm_b32 v47, v48, v47, s46
	v_accvgpr_write_b32 a0, v42
	v_accvgpr_write_b32 a1, v43
	;; [unrolled: 1-line block ×4, first 2 shown]
	s_nop 1
	v_mfma_f32_16x16x16f16 a[0:3], v[46:47], v[14:15], a[0:3]
	s_nop 7
	s_nop 2
	v_accvgpr_read_b32 v42, a3
	v_cvt_f16_f32_e32 v45, v42
	v_accvgpr_read_b32 v42, a43
	ds_read_u16 v46, v42 offset:16896
	v_add_u32_e32 v42, v204, v224
	ds_read_u16 v48, v42 offset:528
	v_accvgpr_read_b32 v42, a44
	v_accvgpr_read_b32 v17, a0
	ds_read_u16 v47, v42 offset:1056
	v_add_u32_e32 v42, v231, v225
	v_cvt_f16_f32_e32 v17, v17
	v_accvgpr_read_b32 v18, a1
	v_accvgpr_read_b32 v41, a2
	ds_read_u16 v49, v42 offset:16896
	v_cvt_f16_f32_e32 v18, v18
	v_cvt_f16_f32_e32 v41, v41
	v_cvt_f32_f16_e32 v42, v17
	v_cvt_f32_f16_e32 v45, v45
	;; [unrolled: 1-line block ×4, first 2 shown]
	s_waitcnt lgkmcnt(0)
	v_perm_b32 v47, v49, v47, s46
	v_perm_b32 v46, v48, v46, s46
	v_accvgpr_write_b32 a0, v42
	v_accvgpr_write_b32 a1, v43
	v_accvgpr_write_b32 a2, v44
	v_accvgpr_write_b32 a3, v45
	v_cvt_f32_f16_sdwa v43, v20 dst_sel:DWORD dst_unused:UNUSED_PAD src0_sel:WORD_1
	v_cvt_f32_f16_e32 v44, v19
	v_mfma_f32_16x16x16f16 a[0:3], v[46:47], v[2:3], a[0:3]
	v_cvt_f32_f16_sdwa v45, v19 dst_sel:DWORD dst_unused:UNUSED_PAD src0_sel:WORD_1
	s_nop 7
	s_nop 1
	v_accvgpr_read_b32 v17, a0
	v_accvgpr_read_b32 v18, a1
	;; [unrolled: 1-line block ×4, first 2 shown]
	v_cvt_f16_f32_e32 v17, v17
	v_cvt_f16_f32_e32 v18, v18
	;; [unrolled: 1-line block ×4, first 2 shown]
	v_pack_b32_f16 v18, v17, v18
	v_pack_b32_f16 v17, v41, v42
	v_add_u32_e32 v42, v232, v224
	ds_read_u16 v41, v169 offset:192
	ds_read_u16 v46, v42 offset:528
	;; [unrolled: 1-line block ×4, first 2 shown]
	v_cvt_f32_f16_e32 v42, v20
	s_waitcnt lgkmcnt(2)
	v_perm_b32 v46, v46, v41, s46
	s_waitcnt lgkmcnt(0)
	v_perm_b32 v47, v48, v47, s46
	v_accvgpr_write_b32 a0, v42
	v_accvgpr_write_b32 a1, v43
	;; [unrolled: 1-line block ×4, first 2 shown]
	s_nop 1
	v_mfma_f32_16x16x16f16 a[0:3], v[46:47], v[14:15], a[0:3]
	s_nop 7
	s_nop 2
	v_accvgpr_read_b32 v42, a3
	v_cvt_f16_f32_e32 v45, v42
	v_accvgpr_read_b32 v42, a45
	ds_read_u16 v46, v42 offset:16896
	v_add_u32_e32 v42, v215, v224
	ds_read_u16 v48, v42 offset:528
	v_accvgpr_read_b32 v42, a46
	v_accvgpr_read_b32 v19, a0
	ds_read_u16 v47, v42 offset:1056
	v_add_u32_e32 v42, v232, v225
	v_cvt_f16_f32_e32 v19, v19
	v_accvgpr_read_b32 v20, a1
	v_accvgpr_read_b32 v41, a2
	ds_read_u16 v49, v42 offset:16896
	v_cvt_f16_f32_e32 v20, v20
	v_cvt_f16_f32_e32 v41, v41
	v_cvt_f32_f16_e32 v42, v19
	v_cvt_f32_f16_e32 v45, v45
	;; [unrolled: 1-line block ×4, first 2 shown]
	s_waitcnt lgkmcnt(0)
	v_perm_b32 v47, v49, v47, s46
	v_perm_b32 v46, v48, v46, s46
	v_accvgpr_write_b32 a0, v42
	v_accvgpr_write_b32 a1, v43
	;; [unrolled: 1-line block ×4, first 2 shown]
	v_cvt_f32_f16_sdwa v43, v22 dst_sel:DWORD dst_unused:UNUSED_PAD src0_sel:WORD_1
	v_cvt_f32_f16_e32 v44, v21
	v_mfma_f32_16x16x16f16 a[0:3], v[46:47], v[2:3], a[0:3]
	v_cvt_f32_f16_sdwa v45, v21 dst_sel:DWORD dst_unused:UNUSED_PAD src0_sel:WORD_1
	s_nop 7
	s_nop 1
	v_accvgpr_read_b32 v19, a0
	v_accvgpr_read_b32 v20, a1
	;; [unrolled: 1-line block ×4, first 2 shown]
	v_cvt_f16_f32_e32 v19, v19
	v_cvt_f16_f32_e32 v20, v20
	;; [unrolled: 1-line block ×4, first 2 shown]
	v_pack_b32_f16 v20, v19, v20
	v_pack_b32_f16 v19, v41, v42
	v_add_u32_e32 v42, v233, v224
	ds_read_u16 v41, v169 offset:224
	ds_read_u16 v46, v42 offset:528
	ds_read_u16 v47, v250 offset:1056
	ds_read_u16 v48, v40 offset:224
	v_cvt_f32_f16_e32 v42, v22
	s_waitcnt lgkmcnt(2)
	v_perm_b32 v46, v46, v41, s46
	s_waitcnt lgkmcnt(0)
	v_perm_b32 v47, v48, v47, s46
	v_accvgpr_write_b32 a0, v42
	v_accvgpr_write_b32 a1, v43
	;; [unrolled: 1-line block ×4, first 2 shown]
	v_add_u32_e32 v44, v163, v224
	v_accvgpr_read_b32 v45, a48
	v_mfma_f32_16x16x16f16 a[0:3], v[46:47], v[14:15], a[0:3]
	v_add_u32_e32 v46, v233, v225
	ds_read_u16 v44, v44 offset:528
	ds_read_u16 v45, v45 offset:1056
	;; [unrolled: 1-line block ×3, first 2 shown]
	s_nop 6
	v_accvgpr_read_b32 v42, a3
	v_accvgpr_read_b32 v21, a0
	v_cvt_f16_f32_e32 v43, v42
	v_accvgpr_read_b32 v42, a47
	v_cvt_f16_f32_e32 v21, v21
	v_accvgpr_read_b32 v22, a1
	v_accvgpr_read_b32 v41, a2
	ds_read_u16 v42, v42 offset:16896
	v_cvt_f16_f32_e32 v22, v22
	v_cvt_f16_f32_e32 v41, v41
	v_cvt_f32_f16_e32 v46, v21
	v_cvt_f32_f16_e32 v49, v43
	;; [unrolled: 1-line block ×4, first 2 shown]
	s_waitcnt lgkmcnt(1)
	v_perm_b32 v43, v50, v45, s46
	s_waitcnt lgkmcnt(0)
	v_perm_b32 v42, v44, v42, s46
	v_accvgpr_write_b32 a0, v46
	v_accvgpr_write_b32 a1, v47
	;; [unrolled: 1-line block ×4, first 2 shown]
	v_cvt_f32_f16_e32 v44, v23
	v_cvt_f32_f16_sdwa v45, v23 dst_sel:DWORD dst_unused:UNUSED_PAD src0_sel:WORD_1
	v_mfma_f32_16x16x16f16 a[0:3], v[42:43], v[2:3], a[0:3]
	v_cvt_f32_f16_sdwa v43, v24 dst_sel:DWORD dst_unused:UNUSED_PAD src0_sel:WORD_1
	s_nop 7
	s_nop 1
	v_accvgpr_read_b32 v21, a0
	v_accvgpr_read_b32 v22, a1
	;; [unrolled: 1-line block ×4, first 2 shown]
	v_cvt_f16_f32_e32 v21, v21
	v_cvt_f16_f32_e32 v22, v22
	;; [unrolled: 1-line block ×4, first 2 shown]
	v_pack_b32_f16 v22, v21, v22
	v_pack_b32_f16 v21, v41, v42
	v_add_u32_e32 v42, v234, v224
	ds_read_u16 v41, v169 offset:256
	ds_read_u16 v46, v42 offset:528
	;; [unrolled: 1-line block ×4, first 2 shown]
	v_cvt_f32_f16_e32 v42, v24
	s_waitcnt lgkmcnt(2)
	v_perm_b32 v46, v46, v41, s46
	s_waitcnt lgkmcnt(0)
	v_perm_b32 v47, v48, v47, s46
	v_accvgpr_write_b32 a0, v42
	v_accvgpr_write_b32 a1, v43
	;; [unrolled: 1-line block ×4, first 2 shown]
	s_nop 1
	v_mfma_f32_16x16x16f16 a[0:3], v[46:47], v[14:15], a[0:3]
	s_nop 7
	s_nop 2
	v_accvgpr_read_b32 v42, a3
	v_cvt_f16_f32_e32 v45, v42
	v_accvgpr_read_b32 v42, a49
	ds_read_u16 v46, v42 offset:16896
	v_add_u32_e32 v42, v164, v224
	ds_read_u16 v48, v42 offset:528
	v_accvgpr_read_b32 v42, a50
	v_accvgpr_read_b32 v23, a0
	ds_read_u16 v47, v42 offset:1056
	v_add_u32_e32 v42, v234, v225
	v_cvt_f16_f32_e32 v23, v23
	v_accvgpr_read_b32 v24, a1
	v_accvgpr_read_b32 v41, a2
	ds_read_u16 v49, v42 offset:16896
	v_cvt_f16_f32_e32 v24, v24
	v_cvt_f16_f32_e32 v41, v41
	v_cvt_f32_f16_e32 v42, v23
	v_cvt_f32_f16_e32 v45, v45
	;; [unrolled: 1-line block ×4, first 2 shown]
	s_waitcnt lgkmcnt(0)
	v_perm_b32 v47, v49, v47, s46
	v_perm_b32 v46, v48, v46, s46
	v_accvgpr_write_b32 a0, v42
	v_accvgpr_write_b32 a1, v43
	;; [unrolled: 1-line block ×4, first 2 shown]
	v_cvt_f32_f16_sdwa v43, v26 dst_sel:DWORD dst_unused:UNUSED_PAD src0_sel:WORD_1
	v_cvt_f32_f16_e32 v44, v25
	v_mfma_f32_16x16x16f16 a[0:3], v[46:47], v[2:3], a[0:3]
	v_cvt_f32_f16_sdwa v45, v25 dst_sel:DWORD dst_unused:UNUSED_PAD src0_sel:WORD_1
	s_nop 7
	s_nop 1
	v_accvgpr_read_b32 v23, a0
	v_accvgpr_read_b32 v24, a1
	;; [unrolled: 1-line block ×4, first 2 shown]
	v_cvt_f16_f32_e32 v23, v23
	v_cvt_f16_f32_e32 v24, v24
	;; [unrolled: 1-line block ×4, first 2 shown]
	v_pack_b32_f16 v24, v23, v24
	v_pack_b32_f16 v23, v41, v42
	v_add_u32_e32 v42, v235, v224
	ds_read_u16 v41, v169 offset:288
	ds_read_u16 v46, v42 offset:528
	;; [unrolled: 1-line block ×4, first 2 shown]
	v_cvt_f32_f16_e32 v42, v26
	s_waitcnt lgkmcnt(2)
	v_perm_b32 v46, v46, v41, s46
	s_waitcnt lgkmcnt(0)
	v_perm_b32 v47, v48, v47, s46
	v_accvgpr_write_b32 a0, v42
	v_accvgpr_write_b32 a1, v43
	;; [unrolled: 1-line block ×4, first 2 shown]
	s_nop 1
	v_mfma_f32_16x16x16f16 a[0:3], v[46:47], v[14:15], a[0:3]
	ds_read_u16 v46, v175 offset:16896
	s_nop 7
	s_nop 1
	v_accvgpr_read_b32 v42, a3
	v_cvt_f16_f32_e32 v45, v42
	v_add_u32_e32 v42, v165, v224
	ds_read_u16 v48, v42 offset:528
	v_accvgpr_read_b32 v42, a51
	v_accvgpr_read_b32 v25, a0
	ds_read_u16 v47, v42 offset:1056
	v_add_u32_e32 v42, v235, v225
	v_cvt_f16_f32_e32 v25, v25
	v_accvgpr_read_b32 v26, a1
	v_accvgpr_read_b32 v41, a2
	ds_read_u16 v49, v42 offset:16896
	v_cvt_f16_f32_e32 v26, v26
	v_cvt_f16_f32_e32 v41, v41
	v_cvt_f32_f16_e32 v42, v25
	v_cvt_f32_f16_e32 v45, v45
	v_cvt_f32_f16_e32 v43, v26
	v_cvt_f32_f16_e32 v44, v41
	s_waitcnt lgkmcnt(0)
	v_perm_b32 v47, v49, v47, s46
	v_perm_b32 v46, v48, v46, s46
	v_accvgpr_write_b32 a0, v42
	v_accvgpr_write_b32 a1, v43
	v_accvgpr_write_b32 a2, v44
	v_accvgpr_write_b32 a3, v45
	v_cvt_f32_f16_sdwa v43, v28 dst_sel:DWORD dst_unused:UNUSED_PAD src0_sel:WORD_1
	v_cvt_f32_f16_e32 v44, v27
	v_mfma_f32_16x16x16f16 a[0:3], v[46:47], v[2:3], a[0:3]
	v_cvt_f32_f16_sdwa v45, v27 dst_sel:DWORD dst_unused:UNUSED_PAD src0_sel:WORD_1
	s_nop 7
	s_nop 1
	v_accvgpr_read_b32 v25, a0
	v_accvgpr_read_b32 v26, a1
	v_accvgpr_read_b32 v41, a2
	v_accvgpr_read_b32 v42, a3
	v_cvt_f16_f32_e32 v25, v25
	v_cvt_f16_f32_e32 v26, v26
	v_cvt_f16_f32_e32 v41, v41
	v_cvt_f16_f32_e32 v42, v42
	v_pack_b32_f16 v26, v25, v26
	v_pack_b32_f16 v25, v41, v42
	v_add_u32_e32 v42, v236, v224
	ds_read_u16 v41, v169 offset:320
	ds_read_u16 v46, v42 offset:528
	ds_read_u16 v47, v253 offset:1056
	ds_read_u16 v48, v40 offset:320
	v_cvt_f32_f16_e32 v42, v28
	s_waitcnt lgkmcnt(2)
	v_perm_b32 v46, v46, v41, s46
	s_waitcnt lgkmcnt(0)
	v_perm_b32 v47, v48, v47, s46
	v_accvgpr_write_b32 a0, v42
	v_accvgpr_write_b32 a1, v43
	v_accvgpr_write_b32 a2, v44
	v_accvgpr_write_b32 a3, v45
	s_nop 1
	v_mfma_f32_16x16x16f16 a[0:3], v[46:47], v[14:15], a[0:3]
	ds_read_u16 v46, v188 offset:16896
	s_nop 7
	s_nop 1
	v_accvgpr_read_b32 v42, a3
	v_cvt_f16_f32_e32 v45, v42
	v_add_u32_e32 v42, v166, v224
	v_accvgpr_read_b32 v27, a0
	ds_read_u16 v48, v42 offset:528
	ds_read_u16 v47, v189 offset:1056
	v_add_u32_e32 v42, v236, v225
	v_cvt_f16_f32_e32 v27, v27
	v_accvgpr_read_b32 v28, a1
	v_accvgpr_read_b32 v41, a2
	ds_read_u16 v49, v42 offset:16896
	v_cvt_f16_f32_e32 v28, v28
	v_cvt_f16_f32_e32 v41, v41
	v_cvt_f32_f16_e32 v42, v27
	v_cvt_f32_f16_e32 v45, v45
	v_cvt_f32_f16_e32 v43, v28
	v_cvt_f32_f16_e32 v44, v41
	s_waitcnt lgkmcnt(0)
	v_perm_b32 v47, v49, v47, s46
	v_perm_b32 v46, v48, v46, s46
	v_accvgpr_write_b32 a0, v42
	v_accvgpr_write_b32 a1, v43
	v_accvgpr_write_b32 a2, v44
	v_accvgpr_write_b32 a3, v45
	v_cvt_f32_f16_sdwa v43, v30 dst_sel:DWORD dst_unused:UNUSED_PAD src0_sel:WORD_1
	v_cvt_f32_f16_e32 v44, v29
	v_mfma_f32_16x16x16f16 a[0:3], v[46:47], v[2:3], a[0:3]
	v_cvt_f32_f16_sdwa v45, v29 dst_sel:DWORD dst_unused:UNUSED_PAD src0_sel:WORD_1
	s_nop 7
	s_nop 1
	v_accvgpr_read_b32 v27, a0
	v_accvgpr_read_b32 v28, a1
	v_accvgpr_read_b32 v41, a2
	v_accvgpr_read_b32 v42, a3
	v_cvt_f16_f32_e32 v27, v27
	v_cvt_f16_f32_e32 v28, v28
	v_cvt_f16_f32_e32 v41, v41
	v_cvt_f16_f32_e32 v42, v42
	v_pack_b32_f16 v28, v27, v28
	v_pack_b32_f16 v27, v41, v42
	v_add_u32_e32 v42, v237, v224
	ds_read_u16 v41, v169 offset:352
	ds_read_u16 v46, v42 offset:528
	ds_read_u16 v47, v214 offset:1056
	ds_read_u16 v48, v40 offset:352
	v_cvt_f32_f16_e32 v42, v30
	s_waitcnt lgkmcnt(2)
	v_perm_b32 v46, v46, v41, s46
	s_waitcnt lgkmcnt(0)
	v_perm_b32 v47, v48, v47, s46
	v_accvgpr_write_b32 a0, v42
	v_accvgpr_write_b32 a1, v43
	v_accvgpr_write_b32 a2, v44
	v_accvgpr_write_b32 a3, v45
	s_nop 1
	v_mfma_f32_16x16x16f16 a[0:3], v[46:47], v[14:15], a[0:3]
	ds_read_u16 v46, v190 offset:16896
	s_nop 7
	s_nop 1
	v_accvgpr_read_b32 v42, a3
	v_cvt_f16_f32_e32 v45, v42
	v_add_u32_e32 v42, v167, v224
	v_accvgpr_read_b32 v29, a0
	ds_read_u16 v48, v42 offset:528
	;; [unrolled: 59-line block ×5, first 2 shown]
	ds_read_u16 v47, v197 offset:1056
	v_add_u32_e32 v42, v240, v225
	v_cvt_f16_f32_e32 v35, v35
	v_accvgpr_read_b32 v36, a1
	v_accvgpr_read_b32 v41, a2
	ds_read_u16 v49, v42 offset:16896
	v_cvt_f16_f32_e32 v36, v36
	v_cvt_f16_f32_e32 v41, v41
	v_cvt_f32_f16_e32 v42, v35
	v_cvt_f32_f16_e32 v45, v45
	;; [unrolled: 1-line block ×4, first 2 shown]
	s_waitcnt lgkmcnt(0)
	v_perm_b32 v47, v49, v47, s46
	v_perm_b32 v46, v48, v46, s46
	v_accvgpr_write_b32 a0, v42
	v_accvgpr_write_b32 a1, v43
	;; [unrolled: 1-line block ×4, first 2 shown]
	v_cvt_f32_f16_e32 v44, v39
	v_cvt_f32_f16_sdwa v45, v39 dst_sel:DWORD dst_unused:UNUSED_PAD src0_sel:WORD_1
	v_mfma_f32_16x16x16f16 a[0:3], v[46:47], v[2:3], a[0:3]
	v_cvt_f32_f16_e32 v46, v0
	v_cvt_f32_f16_sdwa v47, v0 dst_sel:DWORD dst_unused:UNUSED_PAD src0_sel:WORD_1
	s_nop 7
	s_nop 0
	v_accvgpr_read_b32 v35, a0
	v_accvgpr_read_b32 v36, a1
	;; [unrolled: 1-line block ×4, first 2 shown]
	v_cvt_f16_f32_e32 v35, v35
	v_cvt_f16_f32_e32 v36, v36
	;; [unrolled: 1-line block ×4, first 2 shown]
	v_accvgpr_write_b32 a0, v44
	v_pack_b32_f16 v36, v35, v36
	v_accvgpr_write_b32 a1, v45
	v_pack_b32_f16 v35, v41, v42
	v_add_u32_e32 v42, v241, v224
	ds_read_u16 v41, v169 offset:480
	ds_read_u16 v42, v42 offset:528
	;; [unrolled: 1-line block ×4, first 2 shown]
	v_accvgpr_write_b32 a2, v46
	v_accvgpr_write_b32 a3, v47
	s_waitcnt lgkmcnt(2)
	v_perm_b32 v42, v42, v41, s46
	s_waitcnt lgkmcnt(0)
	v_perm_b32 v43, v40, v43, s46
	v_add_u32_e32 v41, v172, v224
	s_nop 0
	v_mfma_f32_16x16x16f16 a[0:3], v[42:43], v[14:15], a[0:3]
	v_add_u32_e32 v42, v241, v225
	s_nop 7
	s_nop 1
	v_accvgpr_read_b32 v0, a0
	v_cvt_f16_f32_e32 v14, v0
	v_accvgpr_read_b32 v0, a1
	v_cvt_f16_f32_e32 v15, v0
	;; [unrolled: 2-line block ×4, first 2 shown]
	ds_read_u16 v0, v198 offset:16896
	ds_read_u16 v41, v41 offset:528
	;; [unrolled: 1-line block ×4, first 2 shown]
	v_cvt_f32_f16_e32 v42, v14
	v_cvt_f32_f16_e32 v43, v15
	;; [unrolled: 1-line block ×4, first 2 shown]
	s_waitcnt lgkmcnt(0)
	v_perm_b32 v15, v47, v46, s46
	v_perm_b32 v14, v41, v0, s46
	v_accvgpr_write_b32 a0, v42
	v_accvgpr_write_b32 a1, v43
	;; [unrolled: 1-line block ×4, first 2 shown]
	s_barrier
	s_nop 0
	v_mfma_f32_16x16x16f16 a[0:3], v[14:15], v[2:3], a[0:3]
	s_nop 7
	s_nop 2
	v_accvgpr_read_b32 v0, a0
	v_accvgpr_read_b32 v2, a1
	v_cvt_f16_f32_e32 v0, v0
	v_cvt_f16_f32_e32 v2, v2
	v_accvgpr_read_b32 v3, a2
	v_accvgpr_read_b32 v14, a3
	v_cvt_f16_f32_e32 v3, v3
	v_pack_b32_f16 v2, v0, v2
	ds_bpermute_b32 v0, v11, v38
	v_cvt_f16_f32_e32 v14, v14
	s_waitcnt lgkmcnt(0)
	v_add_f32_e32 v0, v38, v0
	ds_bpermute_b32 v11, v37, v0
	v_pack_b32_f16 v3, v3, v14
	s_waitcnt lgkmcnt(0)
	v_add_f32_e32 v11, v0, v11
	s_and_saveexec_b64 s[48:49], s[4:5]
	s_xor_b64 s[48:49], exec, s[48:49]
	s_or_saveexec_b64 s[48:49], s[48:49]
	v_readlane_b32 s4, v255, 39
	v_readlane_b32 s76, v255, 21
	s_mov_b32 s80, s4
	v_accvgpr_read_b32 v162, a24
	v_readlane_b32 s77, v255, 22
	v_readlane_b32 s78, v255, 23
	;; [unrolled: 1-line block ×4, first 2 shown]
	s_xor_b64 exec, exec, s[48:49]
	s_cbranch_execz .LBB30_367
; %bb.366:                              ;   in Loop: Header=BB30_16 Depth=1
	global_load_dword v0, v125, s[74:75]
	v_max_f32_e32 v15, v10, v10
	s_waitcnt vmcnt(0)
	v_max_f32_e32 v14, v0, v0
	v_max_f32_e32 v14, v15, v14
	v_sub_f32_e32 v10, v10, v14
	v_mul_f32_e32 v15, 0x3fb8aa3b, v10
	v_fma_f32 v38, v10, s88, -v15
	v_rndne_f32_e32 v39, v15
	v_fmac_f32_e32 v38, 0x32a5705f, v10
	v_sub_f32_e32 v15, v15, v39
	v_add_f32_e32 v15, v15, v38
	v_exp_f32_e32 v15, v15
	v_cvt_i32_f32_e32 v38, v39
	v_cmp_ngt_f32_e32 vcc, s89, v10
	v_sub_f32_e32 v0, v0, v14
	v_ldexp_f32 v15, v15, v38
	v_cndmask_b32_e32 v15, 0, v15, vcc
	v_cmp_nlt_f32_e32 vcc, s85, v10
	v_cndmask_b32_e32 v15, v144, v15, vcc
	v_cmp_le_f32_e32 vcc, s81, v10
	v_cndmask_b32_e32 v10, 0, v15, vcc
	v_cvt_f16_f32_e32 v15, v10
	v_cmp_ngt_f32_e32 vcc, s89, v0
	v_pk_mul_f16 v4, v15, v4 op_sel_hi:[0,1]
	v_pk_mul_f16 v1, v15, v1 op_sel_hi:[0,1]
	;; [unrolled: 1-line block ×32, first 2 shown]
	v_mul_f32_e32 v15, 0x3fb8aa3b, v0
	v_fma_f32 v38, v0, s88, -v15
	v_rndne_f32_e32 v39, v15
	v_fmac_f32_e32 v38, 0x32a5705f, v0
	v_sub_f32_e32 v15, v15, v39
	v_add_f32_e32 v15, v15, v38
	v_exp_f32_e32 v15, v15
	v_cvt_i32_f32_e32 v38, v39
	v_ldexp_f32 v15, v15, v38
	v_cndmask_b32_e32 v15, 0, v15, vcc
	v_cmp_nlt_f32_e32 vcc, s85, v0
	v_cndmask_b32_e32 v15, v144, v15, vcc
	v_fmac_f32_e32 v15, v11, v10
	v_pk_mov_b32 v[10:11], v[14:15], v[14:15] op_sel:[0,1]
.LBB30_367:                             ;   in Loop: Header=BB30_16 Depth=1
	s_or_b64 exec, exec, s[48:49]
	s_mov_b64 s[48:49], exec
	v_readlane_b32 s4, v255, 13
	v_readlane_b32 s5, v255, 14
	s_and_b64 s[4:5], s[48:49], s[4:5]
	s_mov_b64 exec, s[4:5]
	s_cbranch_execz .LBB30_369
; %bb.368:                              ;   in Loop: Header=BB30_16 Depth=1
	v_accvgpr_read_b32 v0, a77
	v_add_u32_e32 v0, 0, v0
	ds_write2_b32 v0, v10, v11 offset0:128 offset1:129
.LBB30_369:                             ;   in Loop: Header=BB30_16 Depth=1
	s_or_b64 exec, exec, s[48:49]
	v_readlane_b32 s48, v255, 11
	v_readlane_b32 s49, v255, 12
	s_waitcnt lgkmcnt(0)
	s_barrier
	s_and_saveexec_b64 s[4:5], s[48:49]
	s_xor_b64 s[48:49], exec, s[4:5]
	s_cbranch_execz .LBB30_371
; %bb.370:                              ;   in Loop: Header=BB30_16 Depth=1
	s_barrier
	s_waitcnt lgkmcnt(0)
                                        ; implicit-def: $vgpr37
.LBB30_371:                             ;   in Loop: Header=BB30_16 Depth=1
	s_andn2_saveexec_b64 s[48:49], s[48:49]
	s_cbranch_execz .LBB30_375
; %bb.372:                              ;   in Loop: Header=BB30_16 Depth=1
	v_accvgpr_read_b32 v0, a78
	v_add_u32_e32 v0, 0, v0
	ds_read_b64 v[10:11], v0 offset:512
	s_waitcnt lgkmcnt(0)
	s_barrier
	ds_bpermute_b32 v14, v37, v10
	v_max_f32_e32 v15, v10, v10
	s_waitcnt lgkmcnt(0)
	v_max_f32_e32 v14, v14, v14
	v_max_f32_e32 v14, v15, v14
	v_sub_f32_e32 v10, v10, v14
	v_mul_f32_e32 v14, 0x3fb8aa3b, v10
	v_fma_f32 v15, v10, s88, -v14
	v_rndne_f32_e32 v38, v14
	v_fmac_f32_e32 v15, 0x32a5705f, v10
	v_sub_f32_e32 v14, v14, v38
	v_add_f32_e32 v14, v14, v15
	v_cvt_i32_f32_e32 v38, v38
	v_exp_f32_e32 v14, v14
	v_cmp_ngt_f32_e32 vcc, s89, v10
	v_ldexp_f32 v14, v14, v38
	v_cndmask_b32_e32 v14, 0, v14, vcc
	v_cmp_nlt_f32_e32 vcc, s85, v10
	v_cndmask_b32_e32 v10, v144, v14, vcc
	v_mul_f32_e32 v11, v11, v10
	ds_bpermute_b32 v14, v37, v11
	s_mov_b64 s[50:51], exec
	v_readlane_b32 s4, v255, 15
	v_readlane_b32 s5, v255, 16
	s_and_b64 s[4:5], s[50:51], s[4:5]
	s_mov_b64 exec, s[4:5]
	s_cbranch_execz .LBB30_374
; %bb.373:                              ;   in Loop: Header=BB30_16 Depth=1
	s_waitcnt lgkmcnt(0)
	v_add_f32_e32 v11, v11, v14
	ds_write_b64 v0, v[10:11] offset:512
.LBB30_374:                             ;   in Loop: Header=BB30_16 Depth=1
	s_or_b64 exec, exec, s[50:51]
.LBB30_375:                             ;   in Loop: Header=BB30_16 Depth=1
	s_or_b64 exec, exec, s[48:49]
	v_accvgpr_read_b32 v0, a79
	ds_write2_b32 v0, v4, v1 offset1:1
	ds_write2_b32 v0, v6, v5 offset0:8 offset1:9
	ds_write2_b32 v0, v8, v7 offset0:16 offset1:17
	;; [unrolled: 1-line block ×15, first 2 shown]
	s_waitcnt lgkmcnt(0)
	s_barrier
	s_mov_b64 s[48:49], exec
	v_readlane_b32 s4, v255, 9
	v_readlane_b32 s5, v255, 10
	s_and_b64 s[4:5], s[48:49], s[4:5]
	s_mov_b64 exec, s[4:5]
	s_cbranch_execz .LBB30_14
; %bb.376:                              ;   in Loop: Header=BB30_16 Depth=1
	v_accvgpr_read_b32 v0, a54
	v_add_u32_e32 v1, s92, v0
	v_cmp_gt_i32_e32 vcc, s76, v1
	v_mov_b32_e32 v0, 0x47
	s_and_saveexec_b64 s[50:51], vcc
	s_cbranch_execz .LBB30_378
; %bb.377:                              ;   in Loop: Header=BB30_16 Depth=1
	v_accvgpr_read_b32 v0, a83
	v_add_u32_e32 v0, 0, v0
	v_accvgpr_read_b32 v4, a82
	ds_read2_b32 v[2:3], v0 offset0:128 offset1:129
	ds_read_b32 v0, v0 offset:8960
	ds_read2st64_b32 v[6:7], v4 offset1:1
	ds_read_b32 v10, v4 offset:8448
	v_readlane_b32 s4, v254, 61
	v_mad_u64_u32 v[4:5], s[4:5], s4, v1, v[98:99]
	s_waitcnt lgkmcnt(1)
	v_cvt_f32_f16_sdwa v9, v6 dst_sel:DWORD dst_unused:UNUSED_PAD src0_sel:WORD_1
	v_cvt_f32_f16_e32 v8, v6
	v_ashrrev_i32_e32 v5, 31, v4
	s_waitcnt lgkmcnt(0)
	v_cvt_f32_f16_sdwa v11, v10 dst_sel:DWORD dst_unused:UNUSED_PAD src0_sel:WORD_1
	v_cvt_f32_f16_e32 v10, v10
	v_lshlrev_b64 v[4:5], 3, v[4:5]
	v_readlane_b32 s4, v255, 29
	v_add_co_u32_e32 v4, vcc, s4, v4
	v_readlane_b32 s4, v255, 30
	v_mov_b32_e32 v1, s4
	v_pk_fma_f32 v[8:9], v[2:3], v[8:9], 0 op_sel_hi:[0,1,0]
	v_pk_fma_f32 v[8:9], v[0:1], v[10:11], v[8:9] op_sel_hi:[0,1,1]
	v_addc_co_u32_e32 v5, vcc, v1, v5, vcc
	v_div_scale_f32 v1, s[4:5], v3, v3, v9
	v_rcp_f32_e32 v6, v1
	v_fma_f32 v10, -v1, v6, 1.0
	v_fmac_f32_e32 v6, v10, v6
	v_div_scale_f32 v10, vcc, v9, v3, v9
	v_mul_f32_e32 v11, v10, v6
	v_fma_f32 v12, -v1, v11, v10
	v_fmac_f32_e32 v11, v12, v6
	v_fma_f32 v1, -v1, v11, v10
	v_div_fmas_f32 v1, v1, v6, v11
	v_div_fixup_f32 v9, v1, v3, v9
	v_div_scale_f32 v1, s[4:5], v3, v3, v8
	v_rcp_f32_e32 v6, v1
	v_fma_f32 v10, -v1, v6, 1.0
	v_fmac_f32_e32 v6, v10, v6
	v_div_scale_f32 v10, vcc, v8, v3, v8
	v_mul_f32_e32 v11, v10, v6
	v_fma_f32 v12, -v1, v11, v10
	v_fmac_f32_e32 v11, v12, v6
	v_fma_f32 v1, -v1, v11, v10
	v_div_fmas_f32 v1, v1, v6, v11
	v_div_fixup_f32 v8, v1, v3, v8
	v_accvgpr_read_b32 v1, a84
	ds_read_b32 v1, v1 offset:8448
	global_store_dwordx2 v[4:5], v[8:9], off
	v_cvt_f32_f16_sdwa v9, v7 dst_sel:DWORD dst_unused:UNUSED_PAD src0_sel:WORD_1
	v_cvt_f32_f16_e32 v8, v7
	v_pk_fma_f32 v[6:7], v[2:3], v[8:9], 0 op_sel_hi:[0,1,0]
	s_waitcnt lgkmcnt(0)
	v_cvt_f32_f16_sdwa v9, v1 dst_sel:DWORD dst_unused:UNUSED_PAD src0_sel:WORD_1
	v_cvt_f32_f16_e32 v8, v1
	v_pk_fma_f32 v[0:1], v[0:1], v[8:9], v[6:7] op_sel_hi:[0,1,1]
	v_div_scale_f32 v2, s[4:5], v3, v3, v1
	v_rcp_f32_e32 v6, v2
	v_fma_f32 v7, -v2, v6, 1.0
	v_fmac_f32_e32 v6, v7, v6
	v_div_scale_f32 v7, vcc, v1, v3, v1
	v_mul_f32_e32 v8, v7, v6
	v_fma_f32 v9, -v2, v8, v7
	v_fmac_f32_e32 v8, v9, v6
	v_fma_f32 v2, -v2, v8, v7
	v_div_fmas_f32 v2, v2, v6, v8
	v_div_fixup_f32 v1, v2, v3, v1
	v_div_scale_f32 v2, s[4:5], v3, v3, v0
	v_rcp_f32_e32 v6, v2
	v_fma_f32 v7, -v2, v6, 1.0
	v_fmac_f32_e32 v6, v7, v6
	v_div_scale_f32 v7, vcc, v0, v3, v0
	v_mul_f32_e32 v8, v7, v6
	v_fma_f32 v9, -v2, v8, v7
	v_fmac_f32_e32 v8, v9, v6
	v_fma_f32 v2, -v2, v8, v7
	v_div_fmas_f32 v2, v2, v6, v8
	v_div_fixup_f32 v0, v2, v3, v0
	global_store_dwordx2 v[4:5], v[0:1], off offset:512
	v_mov_b32_e32 v0, 0
.LBB30_378:                             ;   in Loop: Header=BB30_16 Depth=1
	s_or_b64 exec, exec, s[50:51]
	s_movk_i32 s4, 0x47
	v_cmp_gt_i32_e32 vcc, s4, v0
	s_mov_b64 s[50:51], -1
	s_and_saveexec_b64 s[52:53], vcc
; %bb.379:                              ;   in Loop: Header=BB30_16 Depth=1
	v_cmp_eq_u32_e32 vcc, 0, v0
	s_orn2_b64 s[50:51], vcc, exec
; %bb.380:                              ;   in Loop: Header=BB30_16 Depth=1
	s_or_b64 exec, exec, s[52:53]
	s_and_b64 exec, exec, s[50:51]
	s_cbranch_execz .LBB30_14
; %bb.381:                              ;   in Loop: Header=BB30_16 Depth=1
	v_accvgpr_read_b32 v0, a55
	v_add_u32_e32 v1, s92, v0
	v_cmp_gt_i32_e32 vcc, s76, v1
	v_mov_b32_e32 v0, 0x47
	s_and_saveexec_b64 s[50:51], vcc
	s_cbranch_execz .LBB30_383
; %bb.382:                              ;   in Loop: Header=BB30_16 Depth=1
	v_accvgpr_read_b32 v0, a86
	v_add_u32_e32 v0, 0, v0
	v_accvgpr_read_b32 v4, a85
	ds_read2_b32 v[2:3], v0 offset0:128 offset1:129
	ds_read_b32 v0, v0 offset:8960
	ds_read2st64_b32 v[6:7], v4 offset1:1
	ds_read_b32 v10, v4 offset:8448
	v_readlane_b32 s4, v254, 61
	v_mad_u64_u32 v[4:5], s[4:5], s4, v1, v[98:99]
	s_waitcnt lgkmcnt(1)
	v_cvt_f32_f16_sdwa v9, v6 dst_sel:DWORD dst_unused:UNUSED_PAD src0_sel:WORD_1
	v_cvt_f32_f16_e32 v8, v6
	v_ashrrev_i32_e32 v5, 31, v4
	s_waitcnt lgkmcnt(0)
	v_cvt_f32_f16_sdwa v11, v10 dst_sel:DWORD dst_unused:UNUSED_PAD src0_sel:WORD_1
	v_cvt_f32_f16_e32 v10, v10
	v_lshlrev_b64 v[4:5], 3, v[4:5]
	v_readlane_b32 s4, v255, 29
	v_add_co_u32_e32 v4, vcc, s4, v4
	v_readlane_b32 s4, v255, 30
	v_mov_b32_e32 v1, s4
	v_pk_fma_f32 v[8:9], v[2:3], v[8:9], 0 op_sel_hi:[0,1,0]
	v_pk_fma_f32 v[8:9], v[0:1], v[10:11], v[8:9] op_sel_hi:[0,1,1]
	v_addc_co_u32_e32 v5, vcc, v1, v5, vcc
	v_div_scale_f32 v1, s[4:5], v3, v3, v9
	v_rcp_f32_e32 v6, v1
	v_fma_f32 v10, -v1, v6, 1.0
	v_fmac_f32_e32 v6, v10, v6
	v_div_scale_f32 v10, vcc, v9, v3, v9
	v_mul_f32_e32 v11, v10, v6
	v_fma_f32 v12, -v1, v11, v10
	v_fmac_f32_e32 v11, v12, v6
	v_fma_f32 v1, -v1, v11, v10
	v_div_fmas_f32 v1, v1, v6, v11
	v_div_fixup_f32 v9, v1, v3, v9
	v_div_scale_f32 v1, s[4:5], v3, v3, v8
	v_rcp_f32_e32 v6, v1
	v_fma_f32 v10, -v1, v6, 1.0
	v_fmac_f32_e32 v6, v10, v6
	v_div_scale_f32 v10, vcc, v8, v3, v8
	v_mul_f32_e32 v11, v10, v6
	v_fma_f32 v12, -v1, v11, v10
	v_fmac_f32_e32 v11, v12, v6
	v_fma_f32 v1, -v1, v11, v10
	v_div_fmas_f32 v1, v1, v6, v11
	v_div_fixup_f32 v8, v1, v3, v8
	v_accvgpr_read_b32 v1, a87
	ds_read_b32 v1, v1 offset:8448
	global_store_dwordx2 v[4:5], v[8:9], off
	v_cvt_f32_f16_sdwa v9, v7 dst_sel:DWORD dst_unused:UNUSED_PAD src0_sel:WORD_1
	v_cvt_f32_f16_e32 v8, v7
	v_pk_fma_f32 v[6:7], v[2:3], v[8:9], 0 op_sel_hi:[0,1,0]
	s_waitcnt lgkmcnt(0)
	v_cvt_f32_f16_sdwa v9, v1 dst_sel:DWORD dst_unused:UNUSED_PAD src0_sel:WORD_1
	v_cvt_f32_f16_e32 v8, v1
	v_pk_fma_f32 v[0:1], v[0:1], v[8:9], v[6:7] op_sel_hi:[0,1,1]
	v_div_scale_f32 v2, s[4:5], v3, v3, v1
	v_rcp_f32_e32 v6, v2
	v_fma_f32 v7, -v2, v6, 1.0
	v_fmac_f32_e32 v6, v7, v6
	v_div_scale_f32 v7, vcc, v1, v3, v1
	v_mul_f32_e32 v8, v7, v6
	v_fma_f32 v9, -v2, v8, v7
	v_fmac_f32_e32 v8, v9, v6
	v_fma_f32 v2, -v2, v8, v7
	v_div_fmas_f32 v2, v2, v6, v8
	v_div_fixup_f32 v1, v2, v3, v1
	v_div_scale_f32 v2, s[4:5], v3, v3, v0
	v_rcp_f32_e32 v6, v2
	v_fma_f32 v7, -v2, v6, 1.0
	v_fmac_f32_e32 v6, v7, v6
	v_div_scale_f32 v7, vcc, v0, v3, v0
	v_mul_f32_e32 v8, v7, v6
	v_fma_f32 v9, -v2, v8, v7
	v_fmac_f32_e32 v8, v9, v6
	v_fma_f32 v2, -v2, v8, v7
	v_div_fmas_f32 v2, v2, v6, v8
	v_div_fixup_f32 v0, v2, v3, v0
	global_store_dwordx2 v[4:5], v[0:1], off offset:512
	v_mov_b32_e32 v0, 0
.LBB30_383:                             ;   in Loop: Header=BB30_16 Depth=1
	s_or_b64 exec, exec, s[50:51]
	s_movk_i32 s4, 0x47
	v_cmp_gt_i32_e32 vcc, s4, v0
	s_mov_b64 s[50:51], -1
	s_and_saveexec_b64 s[52:53], vcc
; %bb.384:                              ;   in Loop: Header=BB30_16 Depth=1
	v_cmp_eq_u32_e32 vcc, 0, v0
	s_orn2_b64 s[50:51], vcc, exec
; %bb.385:                              ;   in Loop: Header=BB30_16 Depth=1
	s_or_b64 exec, exec, s[52:53]
	s_and_b64 exec, exec, s[50:51]
	s_cbranch_execz .LBB30_14
; %bb.386:                              ;   in Loop: Header=BB30_16 Depth=1
	v_accvgpr_read_b32 v0, a56
	v_add_u32_e32 v1, s92, v0
	v_cmp_gt_i32_e32 vcc, s76, v1
	v_mov_b32_e32 v0, 0x47
	s_and_saveexec_b64 s[50:51], vcc
	s_cbranch_execz .LBB30_388
; %bb.387:                              ;   in Loop: Header=BB30_16 Depth=1
	v_accvgpr_read_b32 v0, a89
	v_add_u32_e32 v0, 0, v0
	v_accvgpr_read_b32 v4, a88
	ds_read2_b32 v[2:3], v0 offset0:128 offset1:129
	ds_read_b32 v0, v0 offset:8960
	ds_read2st64_b32 v[6:7], v4 offset1:1
	ds_read_b32 v10, v4 offset:8448
	v_readlane_b32 s4, v254, 61
	v_mad_u64_u32 v[4:5], s[4:5], s4, v1, v[98:99]
	s_waitcnt lgkmcnt(1)
	v_cvt_f32_f16_sdwa v9, v6 dst_sel:DWORD dst_unused:UNUSED_PAD src0_sel:WORD_1
	v_cvt_f32_f16_e32 v8, v6
	v_ashrrev_i32_e32 v5, 31, v4
	s_waitcnt lgkmcnt(0)
	v_cvt_f32_f16_sdwa v11, v10 dst_sel:DWORD dst_unused:UNUSED_PAD src0_sel:WORD_1
	v_cvt_f32_f16_e32 v10, v10
	v_lshlrev_b64 v[4:5], 3, v[4:5]
	v_readlane_b32 s4, v255, 29
	v_add_co_u32_e32 v4, vcc, s4, v4
	v_readlane_b32 s4, v255, 30
	v_mov_b32_e32 v1, s4
	v_pk_fma_f32 v[8:9], v[2:3], v[8:9], 0 op_sel_hi:[0,1,0]
	v_pk_fma_f32 v[8:9], v[0:1], v[10:11], v[8:9] op_sel_hi:[0,1,1]
	v_addc_co_u32_e32 v5, vcc, v1, v5, vcc
	v_div_scale_f32 v1, s[4:5], v3, v3, v9
	v_rcp_f32_e32 v6, v1
	v_fma_f32 v10, -v1, v6, 1.0
	v_fmac_f32_e32 v6, v10, v6
	v_div_scale_f32 v10, vcc, v9, v3, v9
	v_mul_f32_e32 v11, v10, v6
	v_fma_f32 v12, -v1, v11, v10
	v_fmac_f32_e32 v11, v12, v6
	v_fma_f32 v1, -v1, v11, v10
	v_div_fmas_f32 v1, v1, v6, v11
	v_div_fixup_f32 v9, v1, v3, v9
	v_div_scale_f32 v1, s[4:5], v3, v3, v8
	v_rcp_f32_e32 v6, v1
	v_fma_f32 v10, -v1, v6, 1.0
	v_fmac_f32_e32 v6, v10, v6
	v_div_scale_f32 v10, vcc, v8, v3, v8
	v_mul_f32_e32 v11, v10, v6
	v_fma_f32 v12, -v1, v11, v10
	v_fmac_f32_e32 v11, v12, v6
	v_fma_f32 v1, -v1, v11, v10
	v_div_fmas_f32 v1, v1, v6, v11
	v_div_fixup_f32 v8, v1, v3, v8
	v_accvgpr_read_b32 v1, a90
	ds_read_b32 v1, v1 offset:8448
	global_store_dwordx2 v[4:5], v[8:9], off
	v_cvt_f32_f16_sdwa v9, v7 dst_sel:DWORD dst_unused:UNUSED_PAD src0_sel:WORD_1
	v_cvt_f32_f16_e32 v8, v7
	v_pk_fma_f32 v[6:7], v[2:3], v[8:9], 0 op_sel_hi:[0,1,0]
	s_waitcnt lgkmcnt(0)
	v_cvt_f32_f16_sdwa v9, v1 dst_sel:DWORD dst_unused:UNUSED_PAD src0_sel:WORD_1
	v_cvt_f32_f16_e32 v8, v1
	v_pk_fma_f32 v[0:1], v[0:1], v[8:9], v[6:7] op_sel_hi:[0,1,1]
	v_div_scale_f32 v2, s[4:5], v3, v3, v1
	v_rcp_f32_e32 v6, v2
	v_fma_f32 v7, -v2, v6, 1.0
	v_fmac_f32_e32 v6, v7, v6
	v_div_scale_f32 v7, vcc, v1, v3, v1
	v_mul_f32_e32 v8, v7, v6
	v_fma_f32 v9, -v2, v8, v7
	v_fmac_f32_e32 v8, v9, v6
	v_fma_f32 v2, -v2, v8, v7
	v_div_fmas_f32 v2, v2, v6, v8
	v_div_fixup_f32 v1, v2, v3, v1
	v_div_scale_f32 v2, s[4:5], v3, v3, v0
	v_rcp_f32_e32 v6, v2
	v_fma_f32 v7, -v2, v6, 1.0
	v_fmac_f32_e32 v6, v7, v6
	v_div_scale_f32 v7, vcc, v0, v3, v0
	v_mul_f32_e32 v8, v7, v6
	v_fma_f32 v9, -v2, v8, v7
	v_fmac_f32_e32 v8, v9, v6
	v_fma_f32 v2, -v2, v8, v7
	v_div_fmas_f32 v2, v2, v6, v8
	v_div_fixup_f32 v0, v2, v3, v0
	global_store_dwordx2 v[4:5], v[0:1], off offset:512
	v_mov_b32_e32 v0, 0
.LBB30_388:                             ;   in Loop: Header=BB30_16 Depth=1
	s_or_b64 exec, exec, s[50:51]
	s_movk_i32 s4, 0x47
	v_cmp_gt_i32_e32 vcc, s4, v0
	s_mov_b64 s[50:51], -1
	s_and_saveexec_b64 s[52:53], vcc
; %bb.389:                              ;   in Loop: Header=BB30_16 Depth=1
	v_cmp_eq_u32_e32 vcc, 0, v0
	s_orn2_b64 s[50:51], vcc, exec
; %bb.390:                              ;   in Loop: Header=BB30_16 Depth=1
	s_or_b64 exec, exec, s[52:53]
	s_and_b64 exec, exec, s[50:51]
	s_cbranch_execz .LBB30_14
; %bb.391:                              ;   in Loop: Header=BB30_16 Depth=1
	v_accvgpr_read_b32 v0, a57
	v_add_u32_e32 v1, s92, v0
	v_cmp_gt_i32_e32 vcc, s76, v1
	v_mov_b32_e32 v0, 0x47
	s_and_saveexec_b64 s[50:51], vcc
	s_cbranch_execz .LBB30_393
; %bb.392:                              ;   in Loop: Header=BB30_16 Depth=1
	v_accvgpr_read_b32 v0, a92
	v_add_u32_e32 v0, 0, v0
	v_accvgpr_read_b32 v4, a91
	ds_read2_b32 v[2:3], v0 offset0:128 offset1:129
	ds_read_b32 v0, v0 offset:8960
	ds_read2st64_b32 v[6:7], v4 offset1:1
	ds_read_b32 v10, v4 offset:8448
	v_readlane_b32 s4, v254, 61
	v_mad_u64_u32 v[4:5], s[4:5], s4, v1, v[98:99]
	s_waitcnt lgkmcnt(1)
	v_cvt_f32_f16_sdwa v9, v6 dst_sel:DWORD dst_unused:UNUSED_PAD src0_sel:WORD_1
	v_cvt_f32_f16_e32 v8, v6
	v_ashrrev_i32_e32 v5, 31, v4
	s_waitcnt lgkmcnt(0)
	v_cvt_f32_f16_sdwa v11, v10 dst_sel:DWORD dst_unused:UNUSED_PAD src0_sel:WORD_1
	v_cvt_f32_f16_e32 v10, v10
	v_lshlrev_b64 v[4:5], 3, v[4:5]
	v_readlane_b32 s4, v255, 29
	v_add_co_u32_e32 v4, vcc, s4, v4
	v_readlane_b32 s4, v255, 30
	v_mov_b32_e32 v1, s4
	v_pk_fma_f32 v[8:9], v[2:3], v[8:9], 0 op_sel_hi:[0,1,0]
	v_pk_fma_f32 v[8:9], v[0:1], v[10:11], v[8:9] op_sel_hi:[0,1,1]
	v_addc_co_u32_e32 v5, vcc, v1, v5, vcc
	v_div_scale_f32 v1, s[4:5], v3, v3, v9
	v_rcp_f32_e32 v6, v1
	v_fma_f32 v10, -v1, v6, 1.0
	v_fmac_f32_e32 v6, v10, v6
	v_div_scale_f32 v10, vcc, v9, v3, v9
	v_mul_f32_e32 v11, v10, v6
	v_fma_f32 v12, -v1, v11, v10
	v_fmac_f32_e32 v11, v12, v6
	v_fma_f32 v1, -v1, v11, v10
	v_div_fmas_f32 v1, v1, v6, v11
	v_div_fixup_f32 v9, v1, v3, v9
	v_div_scale_f32 v1, s[4:5], v3, v3, v8
	v_rcp_f32_e32 v6, v1
	v_fma_f32 v10, -v1, v6, 1.0
	v_fmac_f32_e32 v6, v10, v6
	v_div_scale_f32 v10, vcc, v8, v3, v8
	v_mul_f32_e32 v11, v10, v6
	v_fma_f32 v12, -v1, v11, v10
	v_fmac_f32_e32 v11, v12, v6
	v_fma_f32 v1, -v1, v11, v10
	v_div_fmas_f32 v1, v1, v6, v11
	v_div_fixup_f32 v8, v1, v3, v8
	v_accvgpr_read_b32 v1, a93
	ds_read_b32 v1, v1 offset:8448
	global_store_dwordx2 v[4:5], v[8:9], off
	v_cvt_f32_f16_sdwa v9, v7 dst_sel:DWORD dst_unused:UNUSED_PAD src0_sel:WORD_1
	v_cvt_f32_f16_e32 v8, v7
	v_pk_fma_f32 v[6:7], v[2:3], v[8:9], 0 op_sel_hi:[0,1,0]
	s_waitcnt lgkmcnt(0)
	v_cvt_f32_f16_sdwa v9, v1 dst_sel:DWORD dst_unused:UNUSED_PAD src0_sel:WORD_1
	v_cvt_f32_f16_e32 v8, v1
	v_pk_fma_f32 v[0:1], v[0:1], v[8:9], v[6:7] op_sel_hi:[0,1,1]
	v_div_scale_f32 v2, s[4:5], v3, v3, v1
	v_rcp_f32_e32 v6, v2
	v_fma_f32 v7, -v2, v6, 1.0
	v_fmac_f32_e32 v6, v7, v6
	v_div_scale_f32 v7, vcc, v1, v3, v1
	v_mul_f32_e32 v8, v7, v6
	v_fma_f32 v9, -v2, v8, v7
	v_fmac_f32_e32 v8, v9, v6
	v_fma_f32 v2, -v2, v8, v7
	v_div_fmas_f32 v2, v2, v6, v8
	v_div_fixup_f32 v1, v2, v3, v1
	v_div_scale_f32 v2, s[4:5], v3, v3, v0
	v_rcp_f32_e32 v6, v2
	v_fma_f32 v7, -v2, v6, 1.0
	v_fmac_f32_e32 v6, v7, v6
	v_div_scale_f32 v7, vcc, v0, v3, v0
	v_mul_f32_e32 v8, v7, v6
	v_fma_f32 v9, -v2, v8, v7
	v_fmac_f32_e32 v8, v9, v6
	v_fma_f32 v2, -v2, v8, v7
	v_div_fmas_f32 v2, v2, v6, v8
	v_div_fixup_f32 v0, v2, v3, v0
	global_store_dwordx2 v[4:5], v[0:1], off offset:512
	v_mov_b32_e32 v0, 0
.LBB30_393:                             ;   in Loop: Header=BB30_16 Depth=1
	s_or_b64 exec, exec, s[50:51]
	s_movk_i32 s4, 0x47
	v_cmp_gt_i32_e32 vcc, s4, v0
	s_mov_b64 s[50:51], -1
	s_and_saveexec_b64 s[52:53], vcc
; %bb.394:                              ;   in Loop: Header=BB30_16 Depth=1
	v_cmp_eq_u32_e32 vcc, 0, v0
	s_orn2_b64 s[50:51], vcc, exec
; %bb.395:                              ;   in Loop: Header=BB30_16 Depth=1
	s_or_b64 exec, exec, s[52:53]
	s_and_b64 exec, exec, s[50:51]
	s_cbranch_execz .LBB30_14
; %bb.396:                              ;   in Loop: Header=BB30_16 Depth=1
	v_accvgpr_read_b32 v0, a58
	v_add_u32_e32 v1, s92, v0
	v_cmp_gt_i32_e32 vcc, s76, v1
	v_mov_b32_e32 v0, 0x47
	s_and_saveexec_b64 s[50:51], vcc
	s_cbranch_execz .LBB30_398
; %bb.397:                              ;   in Loop: Header=BB30_16 Depth=1
	v_accvgpr_read_b32 v0, a95
	v_add_u32_e32 v0, 0, v0
	v_accvgpr_read_b32 v4, a94
	ds_read2_b32 v[2:3], v0 offset0:128 offset1:129
	ds_read_b32 v0, v0 offset:8960
	ds_read2st64_b32 v[6:7], v4 offset1:1
	ds_read_b32 v10, v4 offset:8448
	v_readlane_b32 s4, v254, 61
	v_mad_u64_u32 v[4:5], s[4:5], s4, v1, v[98:99]
	s_waitcnt lgkmcnt(1)
	v_cvt_f32_f16_sdwa v9, v6 dst_sel:DWORD dst_unused:UNUSED_PAD src0_sel:WORD_1
	v_cvt_f32_f16_e32 v8, v6
	v_ashrrev_i32_e32 v5, 31, v4
	s_waitcnt lgkmcnt(0)
	v_cvt_f32_f16_sdwa v11, v10 dst_sel:DWORD dst_unused:UNUSED_PAD src0_sel:WORD_1
	v_cvt_f32_f16_e32 v10, v10
	v_lshlrev_b64 v[4:5], 3, v[4:5]
	v_readlane_b32 s4, v255, 29
	v_add_co_u32_e32 v4, vcc, s4, v4
	v_readlane_b32 s4, v255, 30
	v_mov_b32_e32 v1, s4
	v_pk_fma_f32 v[8:9], v[2:3], v[8:9], 0 op_sel_hi:[0,1,0]
	v_pk_fma_f32 v[8:9], v[0:1], v[10:11], v[8:9] op_sel_hi:[0,1,1]
	v_addc_co_u32_e32 v5, vcc, v1, v5, vcc
	v_div_scale_f32 v1, s[4:5], v3, v3, v9
	v_rcp_f32_e32 v6, v1
	v_fma_f32 v10, -v1, v6, 1.0
	v_fmac_f32_e32 v6, v10, v6
	v_div_scale_f32 v10, vcc, v9, v3, v9
	v_mul_f32_e32 v11, v10, v6
	v_fma_f32 v12, -v1, v11, v10
	v_fmac_f32_e32 v11, v12, v6
	v_fma_f32 v1, -v1, v11, v10
	v_div_fmas_f32 v1, v1, v6, v11
	v_div_fixup_f32 v9, v1, v3, v9
	v_div_scale_f32 v1, s[4:5], v3, v3, v8
	v_rcp_f32_e32 v6, v1
	v_fma_f32 v10, -v1, v6, 1.0
	v_fmac_f32_e32 v6, v10, v6
	v_div_scale_f32 v10, vcc, v8, v3, v8
	v_mul_f32_e32 v11, v10, v6
	v_fma_f32 v12, -v1, v11, v10
	v_fmac_f32_e32 v11, v12, v6
	v_fma_f32 v1, -v1, v11, v10
	v_div_fmas_f32 v1, v1, v6, v11
	v_div_fixup_f32 v8, v1, v3, v8
	v_accvgpr_read_b32 v1, a96
	ds_read_b32 v1, v1 offset:8448
	global_store_dwordx2 v[4:5], v[8:9], off
	v_cvt_f32_f16_sdwa v9, v7 dst_sel:DWORD dst_unused:UNUSED_PAD src0_sel:WORD_1
	v_cvt_f32_f16_e32 v8, v7
	v_pk_fma_f32 v[6:7], v[2:3], v[8:9], 0 op_sel_hi:[0,1,0]
	s_waitcnt lgkmcnt(0)
	v_cvt_f32_f16_sdwa v9, v1 dst_sel:DWORD dst_unused:UNUSED_PAD src0_sel:WORD_1
	v_cvt_f32_f16_e32 v8, v1
	v_pk_fma_f32 v[0:1], v[0:1], v[8:9], v[6:7] op_sel_hi:[0,1,1]
	v_div_scale_f32 v2, s[4:5], v3, v3, v1
	v_rcp_f32_e32 v6, v2
	v_fma_f32 v7, -v2, v6, 1.0
	v_fmac_f32_e32 v6, v7, v6
	v_div_scale_f32 v7, vcc, v1, v3, v1
	v_mul_f32_e32 v8, v7, v6
	v_fma_f32 v9, -v2, v8, v7
	v_fmac_f32_e32 v8, v9, v6
	v_fma_f32 v2, -v2, v8, v7
	v_div_fmas_f32 v2, v2, v6, v8
	v_div_fixup_f32 v1, v2, v3, v1
	v_div_scale_f32 v2, s[4:5], v3, v3, v0
	v_rcp_f32_e32 v6, v2
	v_fma_f32 v7, -v2, v6, 1.0
	v_fmac_f32_e32 v6, v7, v6
	v_div_scale_f32 v7, vcc, v0, v3, v0
	v_mul_f32_e32 v8, v7, v6
	v_fma_f32 v9, -v2, v8, v7
	v_fmac_f32_e32 v8, v9, v6
	v_fma_f32 v2, -v2, v8, v7
	v_div_fmas_f32 v2, v2, v6, v8
	v_div_fixup_f32 v0, v2, v3, v0
	global_store_dwordx2 v[4:5], v[0:1], off offset:512
	v_mov_b32_e32 v0, 0
.LBB30_398:                             ;   in Loop: Header=BB30_16 Depth=1
	s_or_b64 exec, exec, s[50:51]
	s_movk_i32 s4, 0x47
	v_cmp_gt_i32_e32 vcc, s4, v0
	s_mov_b64 s[50:51], -1
	s_and_saveexec_b64 s[52:53], vcc
; %bb.399:                              ;   in Loop: Header=BB30_16 Depth=1
	v_cmp_eq_u32_e32 vcc, 0, v0
	s_orn2_b64 s[50:51], vcc, exec
; %bb.400:                              ;   in Loop: Header=BB30_16 Depth=1
	s_or_b64 exec, exec, s[52:53]
	s_and_b64 exec, exec, s[50:51]
	s_cbranch_execz .LBB30_14
; %bb.401:                              ;   in Loop: Header=BB30_16 Depth=1
	v_accvgpr_read_b32 v0, a59
	v_add_u32_e32 v1, s92, v0
	v_cmp_gt_i32_e32 vcc, s76, v1
	v_mov_b32_e32 v0, 0x47
	s_and_saveexec_b64 s[50:51], vcc
	s_cbranch_execz .LBB30_403
; %bb.402:                              ;   in Loop: Header=BB30_16 Depth=1
	v_accvgpr_read_b32 v0, a98
	v_add_u32_e32 v0, 0, v0
	v_accvgpr_read_b32 v4, a97
	ds_read2_b32 v[2:3], v0 offset0:128 offset1:129
	ds_read_b32 v0, v0 offset:8960
	ds_read2st64_b32 v[6:7], v4 offset1:1
	ds_read_b32 v10, v4 offset:8448
	v_readlane_b32 s4, v254, 61
	v_mad_u64_u32 v[4:5], s[4:5], s4, v1, v[98:99]
	s_waitcnt lgkmcnt(1)
	v_cvt_f32_f16_sdwa v9, v6 dst_sel:DWORD dst_unused:UNUSED_PAD src0_sel:WORD_1
	v_cvt_f32_f16_e32 v8, v6
	v_ashrrev_i32_e32 v5, 31, v4
	s_waitcnt lgkmcnt(0)
	v_cvt_f32_f16_sdwa v11, v10 dst_sel:DWORD dst_unused:UNUSED_PAD src0_sel:WORD_1
	v_cvt_f32_f16_e32 v10, v10
	v_lshlrev_b64 v[4:5], 3, v[4:5]
	v_readlane_b32 s4, v255, 29
	v_add_co_u32_e32 v4, vcc, s4, v4
	v_readlane_b32 s4, v255, 30
	v_mov_b32_e32 v1, s4
	v_pk_fma_f32 v[8:9], v[2:3], v[8:9], 0 op_sel_hi:[0,1,0]
	v_pk_fma_f32 v[8:9], v[0:1], v[10:11], v[8:9] op_sel_hi:[0,1,1]
	v_addc_co_u32_e32 v5, vcc, v1, v5, vcc
	v_div_scale_f32 v1, s[4:5], v3, v3, v9
	v_rcp_f32_e32 v6, v1
	v_fma_f32 v10, -v1, v6, 1.0
	v_fmac_f32_e32 v6, v10, v6
	v_div_scale_f32 v10, vcc, v9, v3, v9
	v_mul_f32_e32 v11, v10, v6
	v_fma_f32 v12, -v1, v11, v10
	v_fmac_f32_e32 v11, v12, v6
	v_fma_f32 v1, -v1, v11, v10
	v_div_fmas_f32 v1, v1, v6, v11
	v_div_fixup_f32 v9, v1, v3, v9
	v_div_scale_f32 v1, s[4:5], v3, v3, v8
	v_rcp_f32_e32 v6, v1
	v_fma_f32 v10, -v1, v6, 1.0
	v_fmac_f32_e32 v6, v10, v6
	v_div_scale_f32 v10, vcc, v8, v3, v8
	v_mul_f32_e32 v11, v10, v6
	v_fma_f32 v12, -v1, v11, v10
	v_fmac_f32_e32 v11, v12, v6
	v_fma_f32 v1, -v1, v11, v10
	v_div_fmas_f32 v1, v1, v6, v11
	v_div_fixup_f32 v8, v1, v3, v8
	v_accvgpr_read_b32 v1, a99
	ds_read_b32 v1, v1 offset:8448
	global_store_dwordx2 v[4:5], v[8:9], off
	v_cvt_f32_f16_sdwa v9, v7 dst_sel:DWORD dst_unused:UNUSED_PAD src0_sel:WORD_1
	v_cvt_f32_f16_e32 v8, v7
	v_pk_fma_f32 v[6:7], v[2:3], v[8:9], 0 op_sel_hi:[0,1,0]
	s_waitcnt lgkmcnt(0)
	v_cvt_f32_f16_sdwa v9, v1 dst_sel:DWORD dst_unused:UNUSED_PAD src0_sel:WORD_1
	v_cvt_f32_f16_e32 v8, v1
	v_pk_fma_f32 v[0:1], v[0:1], v[8:9], v[6:7] op_sel_hi:[0,1,1]
	v_div_scale_f32 v2, s[4:5], v3, v3, v1
	v_rcp_f32_e32 v6, v2
	v_fma_f32 v7, -v2, v6, 1.0
	v_fmac_f32_e32 v6, v7, v6
	v_div_scale_f32 v7, vcc, v1, v3, v1
	v_mul_f32_e32 v8, v7, v6
	v_fma_f32 v9, -v2, v8, v7
	v_fmac_f32_e32 v8, v9, v6
	v_fma_f32 v2, -v2, v8, v7
	v_div_fmas_f32 v2, v2, v6, v8
	v_div_fixup_f32 v1, v2, v3, v1
	v_div_scale_f32 v2, s[4:5], v3, v3, v0
	v_rcp_f32_e32 v6, v2
	v_fma_f32 v7, -v2, v6, 1.0
	v_fmac_f32_e32 v6, v7, v6
	v_div_scale_f32 v7, vcc, v0, v3, v0
	v_mul_f32_e32 v8, v7, v6
	v_fma_f32 v9, -v2, v8, v7
	v_fmac_f32_e32 v8, v9, v6
	v_fma_f32 v2, -v2, v8, v7
	v_div_fmas_f32 v2, v2, v6, v8
	v_div_fixup_f32 v0, v2, v3, v0
	global_store_dwordx2 v[4:5], v[0:1], off offset:512
	v_mov_b32_e32 v0, 0
.LBB30_403:                             ;   in Loop: Header=BB30_16 Depth=1
	s_or_b64 exec, exec, s[50:51]
	s_movk_i32 s4, 0x47
	v_cmp_gt_i32_e32 vcc, s4, v0
	s_mov_b64 s[50:51], -1
	s_and_saveexec_b64 s[52:53], vcc
; %bb.404:                              ;   in Loop: Header=BB30_16 Depth=1
	v_cmp_eq_u32_e32 vcc, 0, v0
	s_orn2_b64 s[50:51], vcc, exec
; %bb.405:                              ;   in Loop: Header=BB30_16 Depth=1
	s_or_b64 exec, exec, s[52:53]
	s_and_b64 exec, exec, s[50:51]
	s_cbranch_execz .LBB30_14
; %bb.406:                              ;   in Loop: Header=BB30_16 Depth=1
	v_accvgpr_read_b32 v0, a60
	v_add_u32_e32 v1, s92, v0
	v_cmp_gt_i32_e32 vcc, s76, v1
	v_mov_b32_e32 v0, 0x47
	s_and_saveexec_b64 s[50:51], vcc
	s_cbranch_execz .LBB30_408
; %bb.407:                              ;   in Loop: Header=BB30_16 Depth=1
	v_accvgpr_read_b32 v0, a101
	v_add_u32_e32 v0, 0, v0
	v_accvgpr_read_b32 v4, a100
	ds_read2_b32 v[2:3], v0 offset0:128 offset1:129
	ds_read_b32 v0, v0 offset:8960
	ds_read2st64_b32 v[6:7], v4 offset1:1
	ds_read_b32 v10, v4 offset:8448
	v_readlane_b32 s4, v254, 61
	v_mad_u64_u32 v[4:5], s[4:5], s4, v1, v[98:99]
	s_waitcnt lgkmcnt(1)
	v_cvt_f32_f16_sdwa v9, v6 dst_sel:DWORD dst_unused:UNUSED_PAD src0_sel:WORD_1
	v_cvt_f32_f16_e32 v8, v6
	v_ashrrev_i32_e32 v5, 31, v4
	s_waitcnt lgkmcnt(0)
	v_cvt_f32_f16_sdwa v11, v10 dst_sel:DWORD dst_unused:UNUSED_PAD src0_sel:WORD_1
	v_cvt_f32_f16_e32 v10, v10
	v_lshlrev_b64 v[4:5], 3, v[4:5]
	v_readlane_b32 s4, v255, 29
	v_add_co_u32_e32 v4, vcc, s4, v4
	v_readlane_b32 s4, v255, 30
	v_mov_b32_e32 v1, s4
	v_pk_fma_f32 v[8:9], v[2:3], v[8:9], 0 op_sel_hi:[0,1,0]
	v_pk_fma_f32 v[8:9], v[0:1], v[10:11], v[8:9] op_sel_hi:[0,1,1]
	v_addc_co_u32_e32 v5, vcc, v1, v5, vcc
	v_div_scale_f32 v1, s[4:5], v3, v3, v9
	v_rcp_f32_e32 v6, v1
	v_fma_f32 v10, -v1, v6, 1.0
	v_fmac_f32_e32 v6, v10, v6
	v_div_scale_f32 v10, vcc, v9, v3, v9
	v_mul_f32_e32 v11, v10, v6
	v_fma_f32 v12, -v1, v11, v10
	v_fmac_f32_e32 v11, v12, v6
	v_fma_f32 v1, -v1, v11, v10
	v_div_fmas_f32 v1, v1, v6, v11
	v_div_fixup_f32 v9, v1, v3, v9
	v_div_scale_f32 v1, s[4:5], v3, v3, v8
	v_rcp_f32_e32 v6, v1
	v_fma_f32 v10, -v1, v6, 1.0
	v_fmac_f32_e32 v6, v10, v6
	v_div_scale_f32 v10, vcc, v8, v3, v8
	v_mul_f32_e32 v11, v10, v6
	v_fma_f32 v12, -v1, v11, v10
	v_fmac_f32_e32 v11, v12, v6
	v_fma_f32 v1, -v1, v11, v10
	v_div_fmas_f32 v1, v1, v6, v11
	v_div_fixup_f32 v8, v1, v3, v8
	v_accvgpr_read_b32 v1, a102
	ds_read_b32 v1, v1 offset:8448
	global_store_dwordx2 v[4:5], v[8:9], off
	v_cvt_f32_f16_sdwa v9, v7 dst_sel:DWORD dst_unused:UNUSED_PAD src0_sel:WORD_1
	v_cvt_f32_f16_e32 v8, v7
	v_pk_fma_f32 v[6:7], v[2:3], v[8:9], 0 op_sel_hi:[0,1,0]
	s_waitcnt lgkmcnt(0)
	v_cvt_f32_f16_sdwa v9, v1 dst_sel:DWORD dst_unused:UNUSED_PAD src0_sel:WORD_1
	v_cvt_f32_f16_e32 v8, v1
	v_pk_fma_f32 v[0:1], v[0:1], v[8:9], v[6:7] op_sel_hi:[0,1,1]
	v_div_scale_f32 v2, s[4:5], v3, v3, v1
	v_rcp_f32_e32 v6, v2
	v_fma_f32 v7, -v2, v6, 1.0
	v_fmac_f32_e32 v6, v7, v6
	v_div_scale_f32 v7, vcc, v1, v3, v1
	v_mul_f32_e32 v8, v7, v6
	v_fma_f32 v9, -v2, v8, v7
	v_fmac_f32_e32 v8, v9, v6
	v_fma_f32 v2, -v2, v8, v7
	v_div_fmas_f32 v2, v2, v6, v8
	v_div_fixup_f32 v1, v2, v3, v1
	v_div_scale_f32 v2, s[4:5], v3, v3, v0
	v_rcp_f32_e32 v6, v2
	v_fma_f32 v7, -v2, v6, 1.0
	v_fmac_f32_e32 v6, v7, v6
	v_div_scale_f32 v7, vcc, v0, v3, v0
	v_mul_f32_e32 v8, v7, v6
	v_fma_f32 v9, -v2, v8, v7
	v_fmac_f32_e32 v8, v9, v6
	v_fma_f32 v2, -v2, v8, v7
	v_div_fmas_f32 v2, v2, v6, v8
	v_div_fixup_f32 v0, v2, v3, v0
	global_store_dwordx2 v[4:5], v[0:1], off offset:512
	v_mov_b32_e32 v0, 0
.LBB30_408:                             ;   in Loop: Header=BB30_16 Depth=1
	s_or_b64 exec, exec, s[50:51]
	s_movk_i32 s4, 0x47
	v_cmp_gt_i32_e32 vcc, s4, v0
	s_mov_b64 s[50:51], -1
	s_and_saveexec_b64 s[52:53], vcc
; %bb.409:                              ;   in Loop: Header=BB30_16 Depth=1
	v_cmp_eq_u32_e32 vcc, 0, v0
	s_orn2_b64 s[50:51], vcc, exec
; %bb.410:                              ;   in Loop: Header=BB30_16 Depth=1
	s_or_b64 exec, exec, s[52:53]
	s_and_b64 exec, exec, s[50:51]
	s_cbranch_execz .LBB30_14
; %bb.411:                              ;   in Loop: Header=BB30_16 Depth=1
	v_accvgpr_read_b32 v0, a61
	v_add_u32_e32 v1, s92, v0
	v_cmp_gt_i32_e32 vcc, s76, v1
	v_mov_b32_e32 v0, 0x47
	s_and_saveexec_b64 s[50:51], vcc
	s_cbranch_execz .LBB30_413
; %bb.412:                              ;   in Loop: Header=BB30_16 Depth=1
	v_accvgpr_read_b32 v0, a104
	v_add_u32_e32 v0, 0, v0
	v_accvgpr_read_b32 v4, a103
	ds_read2_b32 v[2:3], v0 offset0:128 offset1:129
	ds_read_b32 v0, v0 offset:8960
	ds_read2st64_b32 v[6:7], v4 offset1:1
	ds_read_b32 v10, v4 offset:8448
	v_readlane_b32 s4, v254, 61
	v_mad_u64_u32 v[4:5], s[4:5], s4, v1, v[98:99]
	s_waitcnt lgkmcnt(1)
	v_cvt_f32_f16_sdwa v9, v6 dst_sel:DWORD dst_unused:UNUSED_PAD src0_sel:WORD_1
	v_cvt_f32_f16_e32 v8, v6
	v_ashrrev_i32_e32 v5, 31, v4
	s_waitcnt lgkmcnt(0)
	v_cvt_f32_f16_sdwa v11, v10 dst_sel:DWORD dst_unused:UNUSED_PAD src0_sel:WORD_1
	v_cvt_f32_f16_e32 v10, v10
	v_lshlrev_b64 v[4:5], 3, v[4:5]
	v_readlane_b32 s4, v255, 29
	v_add_co_u32_e32 v4, vcc, s4, v4
	v_readlane_b32 s4, v255, 30
	v_mov_b32_e32 v1, s4
	v_pk_fma_f32 v[8:9], v[2:3], v[8:9], 0 op_sel_hi:[0,1,0]
	v_pk_fma_f32 v[8:9], v[0:1], v[10:11], v[8:9] op_sel_hi:[0,1,1]
	v_addc_co_u32_e32 v5, vcc, v1, v5, vcc
	v_div_scale_f32 v1, s[4:5], v3, v3, v9
	v_rcp_f32_e32 v6, v1
	v_fma_f32 v10, -v1, v6, 1.0
	v_fmac_f32_e32 v6, v10, v6
	v_div_scale_f32 v10, vcc, v9, v3, v9
	v_mul_f32_e32 v11, v10, v6
	v_fma_f32 v12, -v1, v11, v10
	v_fmac_f32_e32 v11, v12, v6
	v_fma_f32 v1, -v1, v11, v10
	v_div_fmas_f32 v1, v1, v6, v11
	v_div_fixup_f32 v9, v1, v3, v9
	v_div_scale_f32 v1, s[4:5], v3, v3, v8
	v_rcp_f32_e32 v6, v1
	v_fma_f32 v10, -v1, v6, 1.0
	v_fmac_f32_e32 v6, v10, v6
	v_div_scale_f32 v10, vcc, v8, v3, v8
	v_mul_f32_e32 v11, v10, v6
	v_fma_f32 v12, -v1, v11, v10
	v_fmac_f32_e32 v11, v12, v6
	v_fma_f32 v1, -v1, v11, v10
	v_div_fmas_f32 v1, v1, v6, v11
	v_div_fixup_f32 v8, v1, v3, v8
	v_accvgpr_read_b32 v1, a105
	ds_read_b32 v1, v1 offset:8448
	global_store_dwordx2 v[4:5], v[8:9], off
	v_cvt_f32_f16_sdwa v9, v7 dst_sel:DWORD dst_unused:UNUSED_PAD src0_sel:WORD_1
	v_cvt_f32_f16_e32 v8, v7
	v_pk_fma_f32 v[6:7], v[2:3], v[8:9], 0 op_sel_hi:[0,1,0]
	s_waitcnt lgkmcnt(0)
	v_cvt_f32_f16_sdwa v9, v1 dst_sel:DWORD dst_unused:UNUSED_PAD src0_sel:WORD_1
	v_cvt_f32_f16_e32 v8, v1
	v_pk_fma_f32 v[0:1], v[0:1], v[8:9], v[6:7] op_sel_hi:[0,1,1]
	v_div_scale_f32 v2, s[4:5], v3, v3, v1
	v_rcp_f32_e32 v6, v2
	v_fma_f32 v7, -v2, v6, 1.0
	v_fmac_f32_e32 v6, v7, v6
	v_div_scale_f32 v7, vcc, v1, v3, v1
	v_mul_f32_e32 v8, v7, v6
	v_fma_f32 v9, -v2, v8, v7
	v_fmac_f32_e32 v8, v9, v6
	v_fma_f32 v2, -v2, v8, v7
	v_div_fmas_f32 v2, v2, v6, v8
	v_div_fixup_f32 v1, v2, v3, v1
	v_div_scale_f32 v2, s[4:5], v3, v3, v0
	v_rcp_f32_e32 v6, v2
	v_fma_f32 v7, -v2, v6, 1.0
	v_fmac_f32_e32 v6, v7, v6
	v_div_scale_f32 v7, vcc, v0, v3, v0
	v_mul_f32_e32 v8, v7, v6
	v_fma_f32 v9, -v2, v8, v7
	v_fmac_f32_e32 v8, v9, v6
	v_fma_f32 v2, -v2, v8, v7
	v_div_fmas_f32 v2, v2, v6, v8
	v_div_fixup_f32 v0, v2, v3, v0
	global_store_dwordx2 v[4:5], v[0:1], off offset:512
	v_mov_b32_e32 v0, 0
.LBB30_413:                             ;   in Loop: Header=BB30_16 Depth=1
	s_or_b64 exec, exec, s[50:51]
	s_movk_i32 s4, 0x47
	v_cmp_gt_i32_e32 vcc, s4, v0
	s_mov_b64 s[50:51], -1
	s_and_saveexec_b64 s[52:53], vcc
; %bb.414:                              ;   in Loop: Header=BB30_16 Depth=1
	v_cmp_eq_u32_e32 vcc, 0, v0
	s_orn2_b64 s[50:51], vcc, exec
; %bb.415:                              ;   in Loop: Header=BB30_16 Depth=1
	s_or_b64 exec, exec, s[52:53]
	s_and_b64 exec, exec, s[50:51]
	s_cbranch_execz .LBB30_14
; %bb.416:                              ;   in Loop: Header=BB30_16 Depth=1
	v_accvgpr_read_b32 v0, a81
	v_add_u32_e32 v1, s92, v0
	v_cmp_gt_i32_e32 vcc, s76, v1
	v_mov_b32_e32 v0, 0x47
	s_and_saveexec_b64 s[50:51], vcc
	s_cbranch_execz .LBB30_418
; %bb.417:                              ;   in Loop: Header=BB30_16 Depth=1
	v_accvgpr_read_b32 v0, a107
	v_add_u32_e32 v0, 0, v0
	v_accvgpr_read_b32 v4, a106
	ds_read2_b32 v[2:3], v0 offset0:128 offset1:129
	ds_read_b32 v0, v0 offset:8960
	ds_read2st64_b32 v[6:7], v4 offset1:1
	ds_read_b32 v10, v4 offset:8448
	v_readlane_b32 s4, v254, 61
	v_mad_u64_u32 v[4:5], s[4:5], s4, v1, v[98:99]
	s_waitcnt lgkmcnt(1)
	v_cvt_f32_f16_sdwa v9, v6 dst_sel:DWORD dst_unused:UNUSED_PAD src0_sel:WORD_1
	v_cvt_f32_f16_e32 v8, v6
	v_ashrrev_i32_e32 v5, 31, v4
	s_waitcnt lgkmcnt(0)
	v_cvt_f32_f16_sdwa v11, v10 dst_sel:DWORD dst_unused:UNUSED_PAD src0_sel:WORD_1
	v_cvt_f32_f16_e32 v10, v10
	v_lshlrev_b64 v[4:5], 3, v[4:5]
	v_readlane_b32 s4, v255, 29
	v_add_co_u32_e32 v4, vcc, s4, v4
	v_readlane_b32 s4, v255, 30
	v_mov_b32_e32 v1, s4
	v_pk_fma_f32 v[8:9], v[2:3], v[8:9], 0 op_sel_hi:[0,1,0]
	v_pk_fma_f32 v[8:9], v[0:1], v[10:11], v[8:9] op_sel_hi:[0,1,1]
	v_addc_co_u32_e32 v5, vcc, v1, v5, vcc
	v_div_scale_f32 v1, s[4:5], v3, v3, v9
	v_rcp_f32_e32 v6, v1
	v_fma_f32 v10, -v1, v6, 1.0
	v_fmac_f32_e32 v6, v10, v6
	v_div_scale_f32 v10, vcc, v9, v3, v9
	v_mul_f32_e32 v11, v10, v6
	v_fma_f32 v12, -v1, v11, v10
	v_fmac_f32_e32 v11, v12, v6
	v_fma_f32 v1, -v1, v11, v10
	v_div_fmas_f32 v1, v1, v6, v11
	v_div_fixup_f32 v9, v1, v3, v9
	v_div_scale_f32 v1, s[4:5], v3, v3, v8
	v_rcp_f32_e32 v6, v1
	v_fma_f32 v10, -v1, v6, 1.0
	v_fmac_f32_e32 v6, v10, v6
	v_div_scale_f32 v10, vcc, v8, v3, v8
	v_mul_f32_e32 v11, v10, v6
	v_fma_f32 v12, -v1, v11, v10
	v_fmac_f32_e32 v11, v12, v6
	v_fma_f32 v1, -v1, v11, v10
	v_div_fmas_f32 v1, v1, v6, v11
	v_div_fixup_f32 v8, v1, v3, v8
	v_accvgpr_read_b32 v1, a108
	ds_read_b32 v1, v1 offset:8448
	global_store_dwordx2 v[4:5], v[8:9], off
	v_cvt_f32_f16_sdwa v9, v7 dst_sel:DWORD dst_unused:UNUSED_PAD src0_sel:WORD_1
	v_cvt_f32_f16_e32 v8, v7
	v_pk_fma_f32 v[6:7], v[2:3], v[8:9], 0 op_sel_hi:[0,1,0]
	s_waitcnt lgkmcnt(0)
	v_cvt_f32_f16_sdwa v9, v1 dst_sel:DWORD dst_unused:UNUSED_PAD src0_sel:WORD_1
	v_cvt_f32_f16_e32 v8, v1
	v_pk_fma_f32 v[0:1], v[0:1], v[8:9], v[6:7] op_sel_hi:[0,1,1]
	v_div_scale_f32 v2, s[4:5], v3, v3, v1
	v_rcp_f32_e32 v6, v2
	v_fma_f32 v7, -v2, v6, 1.0
	v_fmac_f32_e32 v6, v7, v6
	v_div_scale_f32 v7, vcc, v1, v3, v1
	v_mul_f32_e32 v8, v7, v6
	v_fma_f32 v9, -v2, v8, v7
	v_fmac_f32_e32 v8, v9, v6
	v_fma_f32 v2, -v2, v8, v7
	v_div_fmas_f32 v2, v2, v6, v8
	v_div_fixup_f32 v1, v2, v3, v1
	v_div_scale_f32 v2, s[4:5], v3, v3, v0
	v_rcp_f32_e32 v6, v2
	v_fma_f32 v7, -v2, v6, 1.0
	v_fmac_f32_e32 v6, v7, v6
	v_div_scale_f32 v7, vcc, v0, v3, v0
	v_mul_f32_e32 v8, v7, v6
	v_fma_f32 v9, -v2, v8, v7
	v_fmac_f32_e32 v8, v9, v6
	v_fma_f32 v2, -v2, v8, v7
	v_div_fmas_f32 v2, v2, v6, v8
	v_div_fixup_f32 v0, v2, v3, v0
	global_store_dwordx2 v[4:5], v[0:1], off offset:512
	v_mov_b32_e32 v0, 0
.LBB30_418:                             ;   in Loop: Header=BB30_16 Depth=1
	s_or_b64 exec, exec, s[50:51]
	s_movk_i32 s4, 0x47
	v_cmp_gt_i32_e32 vcc, s4, v0
	s_mov_b64 s[50:51], -1
	s_and_saveexec_b64 s[52:53], vcc
; %bb.419:                              ;   in Loop: Header=BB30_16 Depth=1
	v_cmp_eq_u32_e32 vcc, 0, v0
	s_orn2_b64 s[50:51], vcc, exec
; %bb.420:                              ;   in Loop: Header=BB30_16 Depth=1
	s_or_b64 exec, exec, s[52:53]
	s_and_b64 exec, exec, s[50:51]
	s_cbranch_execz .LBB30_14
; %bb.421:                              ;   in Loop: Header=BB30_16 Depth=1
	v_accvgpr_read_b32 v0, a62
	v_add_u32_e32 v1, s92, v0
	v_cmp_gt_i32_e32 vcc, s76, v1
	v_mov_b32_e32 v0, 0x47
	s_and_saveexec_b64 s[50:51], vcc
	s_cbranch_execz .LBB30_423
; %bb.422:                              ;   in Loop: Header=BB30_16 Depth=1
	v_accvgpr_read_b32 v0, a110
	v_add_u32_e32 v0, 0, v0
	v_accvgpr_read_b32 v4, a109
	ds_read2_b32 v[2:3], v0 offset0:128 offset1:129
	ds_read_b32 v0, v0 offset:8960
	ds_read2st64_b32 v[6:7], v4 offset1:1
	ds_read_b32 v10, v4 offset:8448
	v_readlane_b32 s4, v254, 61
	v_mad_u64_u32 v[4:5], s[4:5], s4, v1, v[98:99]
	s_waitcnt lgkmcnt(1)
	v_cvt_f32_f16_sdwa v9, v6 dst_sel:DWORD dst_unused:UNUSED_PAD src0_sel:WORD_1
	v_cvt_f32_f16_e32 v8, v6
	v_ashrrev_i32_e32 v5, 31, v4
	s_waitcnt lgkmcnt(0)
	v_cvt_f32_f16_sdwa v11, v10 dst_sel:DWORD dst_unused:UNUSED_PAD src0_sel:WORD_1
	v_cvt_f32_f16_e32 v10, v10
	v_lshlrev_b64 v[4:5], 3, v[4:5]
	v_readlane_b32 s4, v255, 29
	v_add_co_u32_e32 v4, vcc, s4, v4
	v_readlane_b32 s4, v255, 30
	v_mov_b32_e32 v1, s4
	v_pk_fma_f32 v[8:9], v[2:3], v[8:9], 0 op_sel_hi:[0,1,0]
	v_pk_fma_f32 v[8:9], v[0:1], v[10:11], v[8:9] op_sel_hi:[0,1,1]
	v_addc_co_u32_e32 v5, vcc, v1, v5, vcc
	v_div_scale_f32 v1, s[4:5], v3, v3, v9
	v_rcp_f32_e32 v6, v1
	v_fma_f32 v10, -v1, v6, 1.0
	v_fmac_f32_e32 v6, v10, v6
	v_div_scale_f32 v10, vcc, v9, v3, v9
	v_mul_f32_e32 v11, v10, v6
	v_fma_f32 v12, -v1, v11, v10
	v_fmac_f32_e32 v11, v12, v6
	v_fma_f32 v1, -v1, v11, v10
	v_div_fmas_f32 v1, v1, v6, v11
	v_div_fixup_f32 v9, v1, v3, v9
	v_div_scale_f32 v1, s[4:5], v3, v3, v8
	v_rcp_f32_e32 v6, v1
	v_fma_f32 v10, -v1, v6, 1.0
	v_fmac_f32_e32 v6, v10, v6
	v_div_scale_f32 v10, vcc, v8, v3, v8
	v_mul_f32_e32 v11, v10, v6
	v_fma_f32 v12, -v1, v11, v10
	v_fmac_f32_e32 v11, v12, v6
	v_fma_f32 v1, -v1, v11, v10
	v_div_fmas_f32 v1, v1, v6, v11
	v_div_fixup_f32 v8, v1, v3, v8
	v_accvgpr_read_b32 v1, a111
	ds_read_b32 v1, v1 offset:8448
	global_store_dwordx2 v[4:5], v[8:9], off
	v_cvt_f32_f16_sdwa v9, v7 dst_sel:DWORD dst_unused:UNUSED_PAD src0_sel:WORD_1
	v_cvt_f32_f16_e32 v8, v7
	v_pk_fma_f32 v[6:7], v[2:3], v[8:9], 0 op_sel_hi:[0,1,0]
	s_waitcnt lgkmcnt(0)
	v_cvt_f32_f16_sdwa v9, v1 dst_sel:DWORD dst_unused:UNUSED_PAD src0_sel:WORD_1
	v_cvt_f32_f16_e32 v8, v1
	v_pk_fma_f32 v[0:1], v[0:1], v[8:9], v[6:7] op_sel_hi:[0,1,1]
	v_div_scale_f32 v2, s[4:5], v3, v3, v1
	v_rcp_f32_e32 v6, v2
	v_fma_f32 v7, -v2, v6, 1.0
	v_fmac_f32_e32 v6, v7, v6
	v_div_scale_f32 v7, vcc, v1, v3, v1
	v_mul_f32_e32 v8, v7, v6
	v_fma_f32 v9, -v2, v8, v7
	v_fmac_f32_e32 v8, v9, v6
	v_fma_f32 v2, -v2, v8, v7
	v_div_fmas_f32 v2, v2, v6, v8
	v_div_fixup_f32 v1, v2, v3, v1
	v_div_scale_f32 v2, s[4:5], v3, v3, v0
	v_rcp_f32_e32 v6, v2
	v_fma_f32 v7, -v2, v6, 1.0
	v_fmac_f32_e32 v6, v7, v6
	v_div_scale_f32 v7, vcc, v0, v3, v0
	v_mul_f32_e32 v8, v7, v6
	v_fma_f32 v9, -v2, v8, v7
	v_fmac_f32_e32 v8, v9, v6
	v_fma_f32 v2, -v2, v8, v7
	v_div_fmas_f32 v2, v2, v6, v8
	v_div_fixup_f32 v0, v2, v3, v0
	global_store_dwordx2 v[4:5], v[0:1], off offset:512
	v_mov_b32_e32 v0, 0
.LBB30_423:                             ;   in Loop: Header=BB30_16 Depth=1
	s_or_b64 exec, exec, s[50:51]
	s_movk_i32 s4, 0x47
	v_cmp_gt_i32_e32 vcc, s4, v0
	s_mov_b64 s[50:51], -1
	s_and_saveexec_b64 s[52:53], vcc
; %bb.424:                              ;   in Loop: Header=BB30_16 Depth=1
	v_cmp_eq_u32_e32 vcc, 0, v0
	s_orn2_b64 s[50:51], vcc, exec
; %bb.425:                              ;   in Loop: Header=BB30_16 Depth=1
	s_or_b64 exec, exec, s[52:53]
	s_and_b64 exec, exec, s[50:51]
	s_cbranch_execz .LBB30_14
; %bb.426:                              ;   in Loop: Header=BB30_16 Depth=1
	v_accvgpr_read_b32 v0, a63
	v_add_u32_e32 v1, s92, v0
	v_cmp_gt_i32_e32 vcc, s76, v1
	v_mov_b32_e32 v0, 0x47
	s_and_saveexec_b64 s[50:51], vcc
	s_cbranch_execz .LBB30_428
; %bb.427:                              ;   in Loop: Header=BB30_16 Depth=1
	v_accvgpr_read_b32 v0, a113
	v_add_u32_e32 v0, 0, v0
	v_accvgpr_read_b32 v4, a112
	ds_read2_b32 v[2:3], v0 offset0:128 offset1:129
	ds_read_b32 v0, v0 offset:8960
	ds_read2st64_b32 v[6:7], v4 offset1:1
	ds_read_b32 v10, v4 offset:8448
	v_readlane_b32 s4, v254, 61
	v_mad_u64_u32 v[4:5], s[4:5], s4, v1, v[98:99]
	s_waitcnt lgkmcnt(1)
	v_cvt_f32_f16_sdwa v9, v6 dst_sel:DWORD dst_unused:UNUSED_PAD src0_sel:WORD_1
	v_cvt_f32_f16_e32 v8, v6
	v_ashrrev_i32_e32 v5, 31, v4
	s_waitcnt lgkmcnt(0)
	v_cvt_f32_f16_sdwa v11, v10 dst_sel:DWORD dst_unused:UNUSED_PAD src0_sel:WORD_1
	v_cvt_f32_f16_e32 v10, v10
	v_lshlrev_b64 v[4:5], 3, v[4:5]
	v_readlane_b32 s4, v255, 29
	v_add_co_u32_e32 v4, vcc, s4, v4
	v_readlane_b32 s4, v255, 30
	v_mov_b32_e32 v1, s4
	v_pk_fma_f32 v[8:9], v[2:3], v[8:9], 0 op_sel_hi:[0,1,0]
	v_pk_fma_f32 v[8:9], v[0:1], v[10:11], v[8:9] op_sel_hi:[0,1,1]
	v_addc_co_u32_e32 v5, vcc, v1, v5, vcc
	v_div_scale_f32 v1, s[4:5], v3, v3, v9
	v_rcp_f32_e32 v6, v1
	v_fma_f32 v10, -v1, v6, 1.0
	v_fmac_f32_e32 v6, v10, v6
	v_div_scale_f32 v10, vcc, v9, v3, v9
	v_mul_f32_e32 v11, v10, v6
	v_fma_f32 v12, -v1, v11, v10
	v_fmac_f32_e32 v11, v12, v6
	v_fma_f32 v1, -v1, v11, v10
	v_div_fmas_f32 v1, v1, v6, v11
	v_div_fixup_f32 v9, v1, v3, v9
	v_div_scale_f32 v1, s[4:5], v3, v3, v8
	v_rcp_f32_e32 v6, v1
	v_fma_f32 v10, -v1, v6, 1.0
	v_fmac_f32_e32 v6, v10, v6
	v_div_scale_f32 v10, vcc, v8, v3, v8
	v_mul_f32_e32 v11, v10, v6
	v_fma_f32 v12, -v1, v11, v10
	v_fmac_f32_e32 v11, v12, v6
	v_fma_f32 v1, -v1, v11, v10
	v_div_fmas_f32 v1, v1, v6, v11
	v_div_fixup_f32 v8, v1, v3, v8
	v_accvgpr_read_b32 v1, a114
	ds_read_b32 v1, v1 offset:8448
	global_store_dwordx2 v[4:5], v[8:9], off
	v_cvt_f32_f16_sdwa v9, v7 dst_sel:DWORD dst_unused:UNUSED_PAD src0_sel:WORD_1
	v_cvt_f32_f16_e32 v8, v7
	v_pk_fma_f32 v[6:7], v[2:3], v[8:9], 0 op_sel_hi:[0,1,0]
	s_waitcnt lgkmcnt(0)
	v_cvt_f32_f16_sdwa v9, v1 dst_sel:DWORD dst_unused:UNUSED_PAD src0_sel:WORD_1
	v_cvt_f32_f16_e32 v8, v1
	v_pk_fma_f32 v[0:1], v[0:1], v[8:9], v[6:7] op_sel_hi:[0,1,1]
	v_div_scale_f32 v2, s[4:5], v3, v3, v1
	v_rcp_f32_e32 v6, v2
	v_fma_f32 v7, -v2, v6, 1.0
	v_fmac_f32_e32 v6, v7, v6
	v_div_scale_f32 v7, vcc, v1, v3, v1
	v_mul_f32_e32 v8, v7, v6
	v_fma_f32 v9, -v2, v8, v7
	v_fmac_f32_e32 v8, v9, v6
	v_fma_f32 v2, -v2, v8, v7
	v_div_fmas_f32 v2, v2, v6, v8
	v_div_fixup_f32 v1, v2, v3, v1
	v_div_scale_f32 v2, s[4:5], v3, v3, v0
	v_rcp_f32_e32 v6, v2
	v_fma_f32 v7, -v2, v6, 1.0
	v_fmac_f32_e32 v6, v7, v6
	v_div_scale_f32 v7, vcc, v0, v3, v0
	v_mul_f32_e32 v8, v7, v6
	v_fma_f32 v9, -v2, v8, v7
	v_fmac_f32_e32 v8, v9, v6
	v_fma_f32 v2, -v2, v8, v7
	v_div_fmas_f32 v2, v2, v6, v8
	v_div_fixup_f32 v0, v2, v3, v0
	global_store_dwordx2 v[4:5], v[0:1], off offset:512
	v_mov_b32_e32 v0, 0
.LBB30_428:                             ;   in Loop: Header=BB30_16 Depth=1
	s_or_b64 exec, exec, s[50:51]
	s_movk_i32 s4, 0x47
	v_cmp_gt_i32_e32 vcc, s4, v0
	s_mov_b64 s[50:51], -1
	s_and_saveexec_b64 s[52:53], vcc
; %bb.429:                              ;   in Loop: Header=BB30_16 Depth=1
	v_cmp_eq_u32_e32 vcc, 0, v0
	s_orn2_b64 s[50:51], vcc, exec
; %bb.430:                              ;   in Loop: Header=BB30_16 Depth=1
	s_or_b64 exec, exec, s[52:53]
	s_and_b64 exec, exec, s[50:51]
	s_cbranch_execz .LBB30_14
; %bb.431:                              ;   in Loop: Header=BB30_16 Depth=1
	v_accvgpr_read_b32 v0, a64
	v_add_u32_e32 v1, s92, v0
	v_cmp_gt_i32_e32 vcc, s76, v1
	v_mov_b32_e32 v0, 0x47
	s_and_saveexec_b64 s[50:51], vcc
	s_cbranch_execz .LBB30_433
; %bb.432:                              ;   in Loop: Header=BB30_16 Depth=1
	v_accvgpr_read_b32 v0, a116
	v_add_u32_e32 v0, 0, v0
	v_accvgpr_read_b32 v4, a115
	ds_read2_b32 v[2:3], v0 offset0:128 offset1:129
	ds_read_b32 v0, v0 offset:8960
	ds_read2st64_b32 v[6:7], v4 offset1:1
	ds_read_b32 v10, v4 offset:8448
	v_readlane_b32 s4, v254, 61
	v_mad_u64_u32 v[4:5], s[4:5], s4, v1, v[98:99]
	s_waitcnt lgkmcnt(1)
	v_cvt_f32_f16_sdwa v9, v6 dst_sel:DWORD dst_unused:UNUSED_PAD src0_sel:WORD_1
	v_cvt_f32_f16_e32 v8, v6
	v_ashrrev_i32_e32 v5, 31, v4
	s_waitcnt lgkmcnt(0)
	v_cvt_f32_f16_sdwa v11, v10 dst_sel:DWORD dst_unused:UNUSED_PAD src0_sel:WORD_1
	v_cvt_f32_f16_e32 v10, v10
	v_lshlrev_b64 v[4:5], 3, v[4:5]
	v_readlane_b32 s4, v255, 29
	v_add_co_u32_e32 v4, vcc, s4, v4
	v_readlane_b32 s4, v255, 30
	v_mov_b32_e32 v1, s4
	v_pk_fma_f32 v[8:9], v[2:3], v[8:9], 0 op_sel_hi:[0,1,0]
	v_pk_fma_f32 v[8:9], v[0:1], v[10:11], v[8:9] op_sel_hi:[0,1,1]
	v_addc_co_u32_e32 v5, vcc, v1, v5, vcc
	v_div_scale_f32 v1, s[4:5], v3, v3, v9
	v_rcp_f32_e32 v6, v1
	v_fma_f32 v10, -v1, v6, 1.0
	v_fmac_f32_e32 v6, v10, v6
	v_div_scale_f32 v10, vcc, v9, v3, v9
	v_mul_f32_e32 v11, v10, v6
	v_fma_f32 v12, -v1, v11, v10
	v_fmac_f32_e32 v11, v12, v6
	v_fma_f32 v1, -v1, v11, v10
	v_div_fmas_f32 v1, v1, v6, v11
	v_div_fixup_f32 v9, v1, v3, v9
	v_div_scale_f32 v1, s[4:5], v3, v3, v8
	v_rcp_f32_e32 v6, v1
	v_fma_f32 v10, -v1, v6, 1.0
	v_fmac_f32_e32 v6, v10, v6
	v_div_scale_f32 v10, vcc, v8, v3, v8
	v_mul_f32_e32 v11, v10, v6
	v_fma_f32 v12, -v1, v11, v10
	v_fmac_f32_e32 v11, v12, v6
	v_fma_f32 v1, -v1, v11, v10
	v_div_fmas_f32 v1, v1, v6, v11
	v_div_fixup_f32 v8, v1, v3, v8
	v_accvgpr_read_b32 v1, a117
	ds_read_b32 v1, v1 offset:8448
	global_store_dwordx2 v[4:5], v[8:9], off
	v_cvt_f32_f16_sdwa v9, v7 dst_sel:DWORD dst_unused:UNUSED_PAD src0_sel:WORD_1
	v_cvt_f32_f16_e32 v8, v7
	v_pk_fma_f32 v[6:7], v[2:3], v[8:9], 0 op_sel_hi:[0,1,0]
	s_waitcnt lgkmcnt(0)
	v_cvt_f32_f16_sdwa v9, v1 dst_sel:DWORD dst_unused:UNUSED_PAD src0_sel:WORD_1
	v_cvt_f32_f16_e32 v8, v1
	v_pk_fma_f32 v[0:1], v[0:1], v[8:9], v[6:7] op_sel_hi:[0,1,1]
	v_div_scale_f32 v2, s[4:5], v3, v3, v1
	v_rcp_f32_e32 v6, v2
	v_fma_f32 v7, -v2, v6, 1.0
	v_fmac_f32_e32 v6, v7, v6
	v_div_scale_f32 v7, vcc, v1, v3, v1
	v_mul_f32_e32 v8, v7, v6
	v_fma_f32 v9, -v2, v8, v7
	v_fmac_f32_e32 v8, v9, v6
	v_fma_f32 v2, -v2, v8, v7
	v_div_fmas_f32 v2, v2, v6, v8
	v_div_fixup_f32 v1, v2, v3, v1
	v_div_scale_f32 v2, s[4:5], v3, v3, v0
	v_rcp_f32_e32 v6, v2
	v_fma_f32 v7, -v2, v6, 1.0
	v_fmac_f32_e32 v6, v7, v6
	v_div_scale_f32 v7, vcc, v0, v3, v0
	v_mul_f32_e32 v8, v7, v6
	v_fma_f32 v9, -v2, v8, v7
	v_fmac_f32_e32 v8, v9, v6
	v_fma_f32 v2, -v2, v8, v7
	v_div_fmas_f32 v2, v2, v6, v8
	v_div_fixup_f32 v0, v2, v3, v0
	global_store_dwordx2 v[4:5], v[0:1], off offset:512
	v_mov_b32_e32 v0, 0
.LBB30_433:                             ;   in Loop: Header=BB30_16 Depth=1
	s_or_b64 exec, exec, s[50:51]
	s_movk_i32 s4, 0x47
	v_cmp_gt_i32_e32 vcc, s4, v0
	s_mov_b64 s[50:51], -1
	s_and_saveexec_b64 s[52:53], vcc
; %bb.434:                              ;   in Loop: Header=BB30_16 Depth=1
	v_cmp_eq_u32_e32 vcc, 0, v0
	s_orn2_b64 s[50:51], vcc, exec
; %bb.435:                              ;   in Loop: Header=BB30_16 Depth=1
	s_or_b64 exec, exec, s[52:53]
	s_and_b64 exec, exec, s[50:51]
	s_cbranch_execz .LBB30_14
; %bb.436:                              ;   in Loop: Header=BB30_16 Depth=1
	v_accvgpr_read_b32 v0, a65
	v_add_u32_e32 v1, s92, v0
	v_cmp_gt_i32_e32 vcc, s76, v1
	v_mov_b32_e32 v0, 0x47
	s_and_saveexec_b64 s[50:51], vcc
	s_cbranch_execz .LBB30_438
; %bb.437:                              ;   in Loop: Header=BB30_16 Depth=1
	v_accvgpr_read_b32 v0, a119
	v_add_u32_e32 v0, 0, v0
	v_accvgpr_read_b32 v4, a118
	ds_read2_b32 v[2:3], v0 offset0:128 offset1:129
	ds_read_b32 v0, v0 offset:8960
	ds_read2st64_b32 v[6:7], v4 offset1:1
	ds_read_b32 v10, v4 offset:8448
	v_readlane_b32 s4, v254, 61
	v_mad_u64_u32 v[4:5], s[4:5], s4, v1, v[98:99]
	s_waitcnt lgkmcnt(1)
	v_cvt_f32_f16_sdwa v9, v6 dst_sel:DWORD dst_unused:UNUSED_PAD src0_sel:WORD_1
	v_cvt_f32_f16_e32 v8, v6
	v_ashrrev_i32_e32 v5, 31, v4
	s_waitcnt lgkmcnt(0)
	v_cvt_f32_f16_sdwa v11, v10 dst_sel:DWORD dst_unused:UNUSED_PAD src0_sel:WORD_1
	v_cvt_f32_f16_e32 v10, v10
	v_lshlrev_b64 v[4:5], 3, v[4:5]
	v_readlane_b32 s4, v255, 29
	v_add_co_u32_e32 v4, vcc, s4, v4
	v_readlane_b32 s4, v255, 30
	v_mov_b32_e32 v1, s4
	v_pk_fma_f32 v[8:9], v[2:3], v[8:9], 0 op_sel_hi:[0,1,0]
	v_pk_fma_f32 v[8:9], v[0:1], v[10:11], v[8:9] op_sel_hi:[0,1,1]
	v_addc_co_u32_e32 v5, vcc, v1, v5, vcc
	v_div_scale_f32 v1, s[4:5], v3, v3, v9
	v_rcp_f32_e32 v6, v1
	v_fma_f32 v10, -v1, v6, 1.0
	v_fmac_f32_e32 v6, v10, v6
	v_div_scale_f32 v10, vcc, v9, v3, v9
	v_mul_f32_e32 v11, v10, v6
	v_fma_f32 v12, -v1, v11, v10
	v_fmac_f32_e32 v11, v12, v6
	v_fma_f32 v1, -v1, v11, v10
	v_div_fmas_f32 v1, v1, v6, v11
	v_div_fixup_f32 v9, v1, v3, v9
	v_div_scale_f32 v1, s[4:5], v3, v3, v8
	v_rcp_f32_e32 v6, v1
	v_fma_f32 v10, -v1, v6, 1.0
	v_fmac_f32_e32 v6, v10, v6
	v_div_scale_f32 v10, vcc, v8, v3, v8
	v_mul_f32_e32 v11, v10, v6
	v_fma_f32 v12, -v1, v11, v10
	v_fmac_f32_e32 v11, v12, v6
	v_fma_f32 v1, -v1, v11, v10
	v_div_fmas_f32 v1, v1, v6, v11
	v_div_fixup_f32 v8, v1, v3, v8
	v_accvgpr_read_b32 v1, a120
	ds_read_b32 v1, v1 offset:8448
	global_store_dwordx2 v[4:5], v[8:9], off
	v_cvt_f32_f16_sdwa v9, v7 dst_sel:DWORD dst_unused:UNUSED_PAD src0_sel:WORD_1
	v_cvt_f32_f16_e32 v8, v7
	v_pk_fma_f32 v[6:7], v[2:3], v[8:9], 0 op_sel_hi:[0,1,0]
	s_waitcnt lgkmcnt(0)
	v_cvt_f32_f16_sdwa v9, v1 dst_sel:DWORD dst_unused:UNUSED_PAD src0_sel:WORD_1
	v_cvt_f32_f16_e32 v8, v1
	v_pk_fma_f32 v[0:1], v[0:1], v[8:9], v[6:7] op_sel_hi:[0,1,1]
	v_div_scale_f32 v2, s[4:5], v3, v3, v1
	v_rcp_f32_e32 v6, v2
	v_fma_f32 v7, -v2, v6, 1.0
	v_fmac_f32_e32 v6, v7, v6
	v_div_scale_f32 v7, vcc, v1, v3, v1
	v_mul_f32_e32 v8, v7, v6
	v_fma_f32 v9, -v2, v8, v7
	v_fmac_f32_e32 v8, v9, v6
	v_fma_f32 v2, -v2, v8, v7
	v_div_fmas_f32 v2, v2, v6, v8
	v_div_fixup_f32 v1, v2, v3, v1
	v_div_scale_f32 v2, s[4:5], v3, v3, v0
	v_rcp_f32_e32 v6, v2
	v_fma_f32 v7, -v2, v6, 1.0
	v_fmac_f32_e32 v6, v7, v6
	v_div_scale_f32 v7, vcc, v0, v3, v0
	v_mul_f32_e32 v8, v7, v6
	v_fma_f32 v9, -v2, v8, v7
	v_fmac_f32_e32 v8, v9, v6
	v_fma_f32 v2, -v2, v8, v7
	v_div_fmas_f32 v2, v2, v6, v8
	v_div_fixup_f32 v0, v2, v3, v0
	global_store_dwordx2 v[4:5], v[0:1], off offset:512
	v_mov_b32_e32 v0, 0
.LBB30_438:                             ;   in Loop: Header=BB30_16 Depth=1
	s_or_b64 exec, exec, s[50:51]
	s_movk_i32 s4, 0x47
	v_cmp_gt_i32_e32 vcc, s4, v0
	s_mov_b64 s[50:51], -1
	s_and_saveexec_b64 s[52:53], vcc
; %bb.439:                              ;   in Loop: Header=BB30_16 Depth=1
	v_cmp_eq_u32_e32 vcc, 0, v0
	s_orn2_b64 s[50:51], vcc, exec
; %bb.440:                              ;   in Loop: Header=BB30_16 Depth=1
	s_or_b64 exec, exec, s[52:53]
	s_and_b64 exec, exec, s[50:51]
	s_cbranch_execz .LBB30_14
; %bb.441:                              ;   in Loop: Header=BB30_16 Depth=1
	v_accvgpr_read_b32 v0, a66
	v_add_u32_e32 v1, s92, v0
	v_cmp_gt_i32_e32 vcc, s76, v1
	v_mov_b32_e32 v0, 0x47
	s_and_saveexec_b64 s[50:51], vcc
	s_cbranch_execz .LBB30_443
; %bb.442:                              ;   in Loop: Header=BB30_16 Depth=1
	v_accvgpr_read_b32 v0, a122
	v_add_u32_e32 v0, 0, v0
	v_accvgpr_read_b32 v4, a121
	ds_read2_b32 v[2:3], v0 offset0:128 offset1:129
	ds_read_b32 v0, v0 offset:8960
	ds_read2st64_b32 v[6:7], v4 offset1:1
	ds_read_b32 v10, v4 offset:8448
	v_readlane_b32 s4, v254, 61
	v_mad_u64_u32 v[4:5], s[4:5], s4, v1, v[98:99]
	s_waitcnt lgkmcnt(1)
	v_cvt_f32_f16_sdwa v9, v6 dst_sel:DWORD dst_unused:UNUSED_PAD src0_sel:WORD_1
	v_cvt_f32_f16_e32 v8, v6
	v_ashrrev_i32_e32 v5, 31, v4
	s_waitcnt lgkmcnt(0)
	v_cvt_f32_f16_sdwa v11, v10 dst_sel:DWORD dst_unused:UNUSED_PAD src0_sel:WORD_1
	v_cvt_f32_f16_e32 v10, v10
	v_lshlrev_b64 v[4:5], 3, v[4:5]
	v_readlane_b32 s4, v255, 29
	v_add_co_u32_e32 v4, vcc, s4, v4
	v_readlane_b32 s4, v255, 30
	v_mov_b32_e32 v1, s4
	v_pk_fma_f32 v[8:9], v[2:3], v[8:9], 0 op_sel_hi:[0,1,0]
	v_pk_fma_f32 v[8:9], v[0:1], v[10:11], v[8:9] op_sel_hi:[0,1,1]
	v_addc_co_u32_e32 v5, vcc, v1, v5, vcc
	v_div_scale_f32 v1, s[4:5], v3, v3, v9
	v_rcp_f32_e32 v6, v1
	v_fma_f32 v10, -v1, v6, 1.0
	v_fmac_f32_e32 v6, v10, v6
	v_div_scale_f32 v10, vcc, v9, v3, v9
	v_mul_f32_e32 v11, v10, v6
	v_fma_f32 v12, -v1, v11, v10
	v_fmac_f32_e32 v11, v12, v6
	v_fma_f32 v1, -v1, v11, v10
	v_div_fmas_f32 v1, v1, v6, v11
	v_div_fixup_f32 v9, v1, v3, v9
	v_div_scale_f32 v1, s[4:5], v3, v3, v8
	v_rcp_f32_e32 v6, v1
	v_fma_f32 v10, -v1, v6, 1.0
	v_fmac_f32_e32 v6, v10, v6
	v_div_scale_f32 v10, vcc, v8, v3, v8
	v_mul_f32_e32 v11, v10, v6
	v_fma_f32 v12, -v1, v11, v10
	v_fmac_f32_e32 v11, v12, v6
	v_fma_f32 v1, -v1, v11, v10
	v_div_fmas_f32 v1, v1, v6, v11
	v_div_fixup_f32 v8, v1, v3, v8
	v_accvgpr_read_b32 v1, a123
	ds_read_b32 v1, v1 offset:8448
	global_store_dwordx2 v[4:5], v[8:9], off
	v_cvt_f32_f16_sdwa v9, v7 dst_sel:DWORD dst_unused:UNUSED_PAD src0_sel:WORD_1
	v_cvt_f32_f16_e32 v8, v7
	v_pk_fma_f32 v[6:7], v[2:3], v[8:9], 0 op_sel_hi:[0,1,0]
	s_waitcnt lgkmcnt(0)
	v_cvt_f32_f16_sdwa v9, v1 dst_sel:DWORD dst_unused:UNUSED_PAD src0_sel:WORD_1
	v_cvt_f32_f16_e32 v8, v1
	v_pk_fma_f32 v[0:1], v[0:1], v[8:9], v[6:7] op_sel_hi:[0,1,1]
	v_div_scale_f32 v2, s[4:5], v3, v3, v1
	v_rcp_f32_e32 v6, v2
	v_fma_f32 v7, -v2, v6, 1.0
	v_fmac_f32_e32 v6, v7, v6
	v_div_scale_f32 v7, vcc, v1, v3, v1
	v_mul_f32_e32 v8, v7, v6
	v_fma_f32 v9, -v2, v8, v7
	v_fmac_f32_e32 v8, v9, v6
	v_fma_f32 v2, -v2, v8, v7
	v_div_fmas_f32 v2, v2, v6, v8
	v_div_fixup_f32 v1, v2, v3, v1
	v_div_scale_f32 v2, s[4:5], v3, v3, v0
	v_rcp_f32_e32 v6, v2
	v_fma_f32 v7, -v2, v6, 1.0
	v_fmac_f32_e32 v6, v7, v6
	v_div_scale_f32 v7, vcc, v0, v3, v0
	v_mul_f32_e32 v8, v7, v6
	v_fma_f32 v9, -v2, v8, v7
	v_fmac_f32_e32 v8, v9, v6
	v_fma_f32 v2, -v2, v8, v7
	v_div_fmas_f32 v2, v2, v6, v8
	v_div_fixup_f32 v0, v2, v3, v0
	global_store_dwordx2 v[4:5], v[0:1], off offset:512
	v_mov_b32_e32 v0, 0
.LBB30_443:                             ;   in Loop: Header=BB30_16 Depth=1
	s_or_b64 exec, exec, s[50:51]
	s_movk_i32 s4, 0x47
	v_cmp_gt_i32_e32 vcc, s4, v0
	s_mov_b64 s[50:51], -1
	s_and_saveexec_b64 s[52:53], vcc
; %bb.444:                              ;   in Loop: Header=BB30_16 Depth=1
	v_cmp_eq_u32_e32 vcc, 0, v0
	s_orn2_b64 s[50:51], vcc, exec
; %bb.445:                              ;   in Loop: Header=BB30_16 Depth=1
	s_or_b64 exec, exec, s[52:53]
	s_and_b64 exec, exec, s[50:51]
	s_cbranch_execz .LBB30_14
; %bb.446:                              ;   in Loop: Header=BB30_16 Depth=1
	v_accvgpr_read_b32 v0, a67
	v_add_u32_e32 v1, s92, v0
	v_cmp_gt_i32_e32 vcc, s76, v1
	v_mov_b32_e32 v0, 0x47
	s_and_saveexec_b64 s[50:51], vcc
	s_cbranch_execz .LBB30_448
; %bb.447:                              ;   in Loop: Header=BB30_16 Depth=1
	v_accvgpr_read_b32 v0, a125
	v_add_u32_e32 v0, 0, v0
	v_accvgpr_read_b32 v4, a124
	ds_read2_b32 v[2:3], v0 offset0:128 offset1:129
	ds_read_b32 v0, v0 offset:8960
	ds_read2st64_b32 v[6:7], v4 offset1:1
	ds_read_b32 v10, v4 offset:8448
	v_readlane_b32 s4, v254, 61
	v_mad_u64_u32 v[4:5], s[4:5], s4, v1, v[98:99]
	s_waitcnt lgkmcnt(1)
	v_cvt_f32_f16_sdwa v9, v6 dst_sel:DWORD dst_unused:UNUSED_PAD src0_sel:WORD_1
	v_cvt_f32_f16_e32 v8, v6
	v_ashrrev_i32_e32 v5, 31, v4
	s_waitcnt lgkmcnt(0)
	v_cvt_f32_f16_sdwa v11, v10 dst_sel:DWORD dst_unused:UNUSED_PAD src0_sel:WORD_1
	v_cvt_f32_f16_e32 v10, v10
	v_lshlrev_b64 v[4:5], 3, v[4:5]
	v_readlane_b32 s4, v255, 29
	v_add_co_u32_e32 v4, vcc, s4, v4
	v_readlane_b32 s4, v255, 30
	v_mov_b32_e32 v1, s4
	v_pk_fma_f32 v[8:9], v[2:3], v[8:9], 0 op_sel_hi:[0,1,0]
	v_pk_fma_f32 v[8:9], v[0:1], v[10:11], v[8:9] op_sel_hi:[0,1,1]
	v_addc_co_u32_e32 v5, vcc, v1, v5, vcc
	v_div_scale_f32 v1, s[4:5], v3, v3, v9
	v_rcp_f32_e32 v6, v1
	v_fma_f32 v10, -v1, v6, 1.0
	v_fmac_f32_e32 v6, v10, v6
	v_div_scale_f32 v10, vcc, v9, v3, v9
	v_mul_f32_e32 v11, v10, v6
	v_fma_f32 v12, -v1, v11, v10
	v_fmac_f32_e32 v11, v12, v6
	v_fma_f32 v1, -v1, v11, v10
	v_div_fmas_f32 v1, v1, v6, v11
	v_div_fixup_f32 v9, v1, v3, v9
	v_div_scale_f32 v1, s[4:5], v3, v3, v8
	v_rcp_f32_e32 v6, v1
	v_fma_f32 v10, -v1, v6, 1.0
	v_fmac_f32_e32 v6, v10, v6
	v_div_scale_f32 v10, vcc, v8, v3, v8
	v_mul_f32_e32 v11, v10, v6
	v_fma_f32 v12, -v1, v11, v10
	v_fmac_f32_e32 v11, v12, v6
	v_fma_f32 v1, -v1, v11, v10
	v_div_fmas_f32 v1, v1, v6, v11
	v_div_fixup_f32 v8, v1, v3, v8
	v_accvgpr_read_b32 v1, a126
	ds_read_b32 v1, v1 offset:8448
	global_store_dwordx2 v[4:5], v[8:9], off
	v_cvt_f32_f16_sdwa v9, v7 dst_sel:DWORD dst_unused:UNUSED_PAD src0_sel:WORD_1
	v_cvt_f32_f16_e32 v8, v7
	v_pk_fma_f32 v[6:7], v[2:3], v[8:9], 0 op_sel_hi:[0,1,0]
	s_waitcnt lgkmcnt(0)
	v_cvt_f32_f16_sdwa v9, v1 dst_sel:DWORD dst_unused:UNUSED_PAD src0_sel:WORD_1
	v_cvt_f32_f16_e32 v8, v1
	v_pk_fma_f32 v[0:1], v[0:1], v[8:9], v[6:7] op_sel_hi:[0,1,1]
	v_div_scale_f32 v2, s[4:5], v3, v3, v1
	v_rcp_f32_e32 v6, v2
	v_fma_f32 v7, -v2, v6, 1.0
	v_fmac_f32_e32 v6, v7, v6
	v_div_scale_f32 v7, vcc, v1, v3, v1
	v_mul_f32_e32 v8, v7, v6
	v_fma_f32 v9, -v2, v8, v7
	v_fmac_f32_e32 v8, v9, v6
	v_fma_f32 v2, -v2, v8, v7
	v_div_fmas_f32 v2, v2, v6, v8
	v_div_fixup_f32 v1, v2, v3, v1
	v_div_scale_f32 v2, s[4:5], v3, v3, v0
	v_rcp_f32_e32 v6, v2
	v_fma_f32 v7, -v2, v6, 1.0
	v_fmac_f32_e32 v6, v7, v6
	v_div_scale_f32 v7, vcc, v0, v3, v0
	v_mul_f32_e32 v8, v7, v6
	v_fma_f32 v9, -v2, v8, v7
	v_fmac_f32_e32 v8, v9, v6
	v_fma_f32 v2, -v2, v8, v7
	v_div_fmas_f32 v2, v2, v6, v8
	v_div_fixup_f32 v0, v2, v3, v0
	global_store_dwordx2 v[4:5], v[0:1], off offset:512
	v_mov_b32_e32 v0, 0
.LBB30_448:                             ;   in Loop: Header=BB30_16 Depth=1
	s_or_b64 exec, exec, s[50:51]
	s_movk_i32 s4, 0x47
	v_cmp_gt_i32_e32 vcc, s4, v0
	s_mov_b64 s[50:51], -1
	s_and_saveexec_b64 s[52:53], vcc
; %bb.449:                              ;   in Loop: Header=BB30_16 Depth=1
	v_cmp_eq_u32_e32 vcc, 0, v0
	s_orn2_b64 s[50:51], vcc, exec
; %bb.450:                              ;   in Loop: Header=BB30_16 Depth=1
	s_or_b64 exec, exec, s[52:53]
	s_and_b64 exec, exec, s[50:51]
	s_cbranch_execz .LBB30_14
; %bb.451:                              ;   in Loop: Header=BB30_16 Depth=1
	v_accvgpr_read_b32 v0, a68
	v_add_u32_e32 v0, s92, v0
	v_cmp_gt_i32_e32 vcc, s76, v0
	s_and_b64 exec, exec, vcc
	s_cbranch_execz .LBB30_14
; %bb.452:                              ;   in Loop: Header=BB30_16 Depth=1
	v_accvgpr_read_b32 v1, a127
	v_add_u32_e32 v1, 0, v1
	ds_read2_b32 v[2:3], v1 offset0:128 offset1:129
	ds_read_b32 v6, v1 offset:8960
	v_accvgpr_read_b32 v1, a128
	v_readlane_b32 s4, v254, 61
	ds_read2st64_b32 v[8:9], v1 offset1:1
	ds_read_b32 v7, v1 offset:8448
	v_mad_u64_u32 v[0:1], s[4:5], s4, v0, v[98:99]
	v_ashrrev_i32_e32 v1, 31, v0
	v_lshlrev_b64 v[0:1], 3, v[0:1]
	v_readlane_b32 s4, v255, 29
	v_add_co_u32_e32 v4, vcc, s4, v0
	v_readlane_b32 s4, v255, 30
	v_mov_b32_e32 v0, s4
	v_addc_co_u32_e32 v5, vcc, v0, v1, vcc
	s_waitcnt lgkmcnt(1)
	v_cvt_f32_f16_sdwa v1, v8 dst_sel:DWORD dst_unused:UNUSED_PAD src0_sel:WORD_1
	v_cvt_f32_f16_e32 v0, v8
	s_waitcnt lgkmcnt(0)
	v_cvt_f32_f16_sdwa v11, v7 dst_sel:DWORD dst_unused:UNUSED_PAD src0_sel:WORD_1
	v_cvt_f32_f16_e32 v10, v7
	v_pk_fma_f32 v[0:1], v[2:3], v[0:1], 0 op_sel_hi:[0,1,0]
	v_pk_fma_f32 v[0:1], v[6:7], v[10:11], v[0:1] op_sel_hi:[0,1,1]
	v_div_scale_f32 v7, s[4:5], v3, v3, v1
	v_rcp_f32_e32 v8, v7
	v_fma_f32 v10, -v7, v8, 1.0
	v_fmac_f32_e32 v8, v10, v8
	v_div_scale_f32 v10, vcc, v1, v3, v1
	v_mul_f32_e32 v11, v10, v8
	v_fma_f32 v12, -v7, v11, v10
	v_fmac_f32_e32 v11, v12, v8
	v_fma_f32 v7, -v7, v11, v10
	v_div_fmas_f32 v7, v7, v8, v11
	v_div_fixup_f32 v1, v7, v3, v1
	v_div_scale_f32 v7, s[4:5], v3, v3, v0
	v_rcp_f32_e32 v8, v7
	v_fma_f32 v10, -v7, v8, 1.0
	v_fmac_f32_e32 v8, v10, v8
	v_div_scale_f32 v10, vcc, v0, v3, v0
	v_mul_f32_e32 v11, v10, v8
	v_fma_f32 v12, -v7, v11, v10
	v_fmac_f32_e32 v11, v12, v8
	v_fma_f32 v7, -v7, v11, v10
	v_div_fmas_f32 v7, v7, v8, v11
	v_div_fixup_f32 v0, v7, v3, v0
	global_store_dwordx2 v[4:5], v[0:1], off
	v_accvgpr_read_b32 v0, a129
	ds_read_b32 v7, v0 offset:8448
	v_cvt_f32_f16_sdwa v1, v9 dst_sel:DWORD dst_unused:UNUSED_PAD src0_sel:WORD_1
	v_cvt_f32_f16_e32 v0, v9
	s_waitcnt lgkmcnt(0)
	v_cvt_f32_f16_sdwa v9, v7 dst_sel:DWORD dst_unused:UNUSED_PAD src0_sel:WORD_1
	v_cvt_f32_f16_e32 v8, v7
	v_pk_fma_f32 v[0:1], v[2:3], v[0:1], 0 op_sel_hi:[0,1,0]
	v_pk_fma_f32 v[0:1], v[6:7], v[8:9], v[0:1] op_sel_hi:[0,1,1]
	v_div_scale_f32 v2, s[4:5], v3, v3, v1
	v_rcp_f32_e32 v6, v2
	v_fma_f32 v7, -v2, v6, 1.0
	v_fmac_f32_e32 v6, v7, v6
	v_div_scale_f32 v7, vcc, v1, v3, v1
	v_mul_f32_e32 v8, v7, v6
	v_fma_f32 v9, -v2, v8, v7
	v_fmac_f32_e32 v8, v9, v6
	v_fma_f32 v2, -v2, v8, v7
	v_div_fmas_f32 v2, v2, v6, v8
	v_div_fixup_f32 v1, v2, v3, v1
	v_div_scale_f32 v2, s[4:5], v3, v3, v0
	v_rcp_f32_e32 v6, v2
	v_fma_f32 v7, -v2, v6, 1.0
	v_fmac_f32_e32 v6, v7, v6
	v_div_scale_f32 v7, vcc, v0, v3, v0
	v_mul_f32_e32 v8, v7, v6
	v_fma_f32 v9, -v2, v8, v7
	v_fmac_f32_e32 v8, v9, v6
	v_fma_f32 v2, -v2, v8, v7
	v_div_fmas_f32 v2, v2, v6, v8
	v_div_fixup_f32 v0, v2, v3, v0
	global_store_dwordx2 v[4:5], v[0:1], off offset:512
	s_branch .LBB30_14
.LBB30_453:                             ;   in Loop: Header=BB30_16 Depth=1
                                        ; implicit-def: $vgpr6_vgpr7_vgpr8_vgpr9
                                        ; implicit-def: $vgpr2_vgpr3_vgpr4_vgpr5
	s_branch .LBB30_148
.LBB30_454:                             ;   in Loop: Header=BB30_16 Depth=1
                                        ; implicit-def: $vgpr6_vgpr7_vgpr8_vgpr9
                                        ; implicit-def: $vgpr2_vgpr3_vgpr4_vgpr5
	s_branch .LBB30_364
.LBB30_455:
	v_readlane_b32 s12, v254, 26
	v_readlane_b32 s60, v254, 53
	;; [unrolled: 1-line block ×11, first 2 shown]
	v_accvgpr_read_b32 v94, a9
	v_accvgpr_read_b32 v95, a10
	;; [unrolled: 1-line block ×4, first 2 shown]
	v_readlane_b32 s13, v254, 27
	v_readlane_b32 s14, v254, 28
	;; [unrolled: 1-line block ×15, first 2 shown]
	s_andn2_b64 vcc, exec, s[48:49]
	s_cbranch_vccnz .LBB30_12
.LBB30_456:
	v_readlane_b32 s10, v254, 7
	s_abs_i32 s4, s10
	v_cvt_f32_u32_e32 v0, s4
	s_sub_i32 s7, 0, s4
	s_abs_i32 s6, s80
	s_xor_b32 s5, s80, s10
	v_rcp_iflag_f32_e32 v0, v0
	s_ashr_i32 s5, s5, 31
	v_readlane_b32 s12, v254, 6
	v_readlane_b32 s13, v254, 3
	v_mul_f32_e32 v0, 0x4f7ffffe, v0
	v_cvt_u32_f32_e32 v0, v0
	s_mov_b64 s[42:43], 0
	v_readfirstlane_b32 s8, v0
	s_mul_i32 s7, s7, s8
	s_mul_hi_u32 s7, s8, s7
	s_add_i32 s8, s8, s7
	s_mul_hi_u32 s7, s6, s8
	s_mul_i32 s8, s7, s4
	s_sub_i32 s6, s6, s8
	s_add_i32 s9, s7, 1
	s_sub_i32 s8, s6, s4
	s_cmp_ge_u32 s6, s4
	s_cselect_b32 s7, s9, s7
	s_cselect_b32 s6, s8, s6
	s_add_i32 s8, s7, 1
	s_cmp_ge_u32 s6, s4
	s_cselect_b32 s4, s8, s7
	s_abs_i32 s6, s12
	v_cvt_f32_u32_e32 v0, s6
	s_xor_b32 s4, s4, s5
	s_sub_i32 s8, s4, s5
	s_sub_i32 s7, 0, s6
	v_rcp_iflag_f32_e32 v0, v0
	s_mul_i32 s4, s8, s10
	s_sub_i32 s4, s80, s4
	s_abs_i32 s9, s4
	v_mul_f32_e32 v0, 0x4f7ffffe, v0
	v_cvt_u32_f32_e32 v0, v0
	s_xor_b32 s5, s4, s12
	s_ashr_i32 s5, s5, 31
	v_readfirstlane_b32 s10, v0
	s_mul_i32 s7, s7, s10
	s_mul_hi_u32 s7, s10, s7
	s_add_i32 s10, s10, s7
	s_mul_hi_u32 s7, s9, s10
	s_mul_i32 s10, s7, s6
	s_sub_i32 s9, s9, s10
	s_add_i32 s11, s7, 1
	s_sub_i32 s10, s9, s6
	s_cmp_ge_u32 s9, s6
	s_cselect_b32 s7, s11, s7
	s_cselect_b32 s9, s10, s9
	s_add_i32 s10, s7, 1
	s_cmp_ge_u32 s9, s6
	s_cselect_b32 s6, s10, s7
	s_abs_i32 s7, s13
	v_cvt_f32_u32_e32 v0, s7
	s_xor_b32 s6, s6, s5
	s_sub_i32 s10, 0, s7
	s_sub_i32 s9, s6, s5
	v_rcp_iflag_f32_e32 v0, v0
	s_mul_i32 s5, s9, s12
	s_sub_i32 s5, s4, s5
	s_abs_i32 s6, s5
	v_mul_f32_e32 v0, 0x4f7ffffe, v0
	v_cvt_u32_f32_e32 v0, v0
	s_xor_b32 s4, s5, s13
	s_ashr_i32 s4, s4, 31
	v_readfirstlane_b32 s11, v0
	s_mul_i32 s10, s10, s11
	s_mul_hi_u32 s10, s11, s10
	s_add_i32 s11, s11, s10
	s_mul_hi_u32 s10, s6, s11
	s_mul_i32 s11, s10, s7
	s_sub_i32 s6, s6, s11
	s_add_i32 s12, s10, 1
	s_sub_i32 s11, s6, s7
	s_cmp_ge_u32 s6, s7
	s_cselect_b32 s10, s12, s10
	s_cselect_b32 s6, s11, s6
	s_add_i32 s11, s10, 1
	s_cmp_ge_u32 s6, s7
	s_cselect_b32 s6, s11, s10
	s_xor_b32 s6, s6, s4
	s_sub_i32 s4, s6, s4
	s_mul_i32 s6, s4, s13
	s_sub_i32 s5, s5, s6
	s_abs_i32 s14, s5
	s_ashr_i32 s12, s8, 31
	s_mul_hi_u32 s13, s14, s58
	s_cmp_eq_u64 s[18:19], 0
	s_cbranch_scc1 .LBB30_458
; %bb.457:
	s_abs_i32 s6, s30
	v_cvt_f32_u32_e32 v0, s6
	s_sub_i32 s10, 0, s6
	s_abs_i32 s7, s8
	v_readlane_b32 s16, v254, 16
	v_rcp_iflag_f32_e32 v0, v0
	v_readlane_b32 s17, v254, 17
	v_mul_f32_e32 v0, 0x4f7ffffe, v0
	v_cvt_u32_f32_e32 v0, v0
	v_readfirstlane_b32 s11, v0
	s_mul_i32 s10, s10, s11
	s_mul_hi_u32 s10, s11, s10
	s_add_i32 s11, s11, s10
	s_mul_hi_u32 s10, s7, s11
	s_mul_i32 s10, s10, s6
	s_sub_i32 s7, s7, s10
	s_sub_i32 s10, s7, s6
	s_cmp_ge_u32 s7, s6
	s_cselect_b32 s7, s10, s7
	s_sub_i32 s10, s7, s6
	s_cmp_ge_u32 s7, s6
	s_cselect_b32 s6, s10, s7
	s_xor_b32 s6, s6, s12
	s_sub_i32 s6, s6, s12
	s_ashr_i32 s7, s6, 31
	s_mul_i32 s10, s6, s17
	s_mul_hi_u32 s11, s6, s16
	s_add_i32 s10, s11, s10
	s_mul_i32 s7, s7, s16
	s_add_i32 s10, s10, s7
	s_mul_i32 s6, s6, s16
	s_add_u32 s42, s18, s6
	s_addc_u32 s43, s19, s10
.LBB30_458:
	s_ashr_i32 s16, s5, 31
	v_readlane_b32 s5, v254, 2
	s_mul_i32 s15, s9, s5
	s_add_i32 s15, s15, s4
	v_cmp_le_f32_e64 s[4:5], s61, 0
	s_and_b64 vcc, exec, s[4:5]
	v_mov_b32_e32 v48, 1.0
	s_cbranch_vccnz .LBB30_460
; %bb.459:
	s_sub_i32 s4, s15, s96
	s_lshl_b32 s4, s4, 1
	s_add_i32 s6, s15, 1
	s_or_b32 s7, s4, 1
	s_cmp_lt_u32 s15, s96
	s_cselect_b64 vcc, -1, 0
	s_and_b64 s[4:5], vcc, exec
	v_mov_b32_e32 v0, s63
	v_mov_b32_e32 v1, s62
	s_cselect_b32 s4, s6, s7
	v_cndmask_b32_e32 v16, v0, v1, vcc
	v_cvt_f32_i32_e32 v0, s4
	v_cmp_neq_f32_e32 vcc, 1.0, v16
	s_mov_b32 s4, 0x3f2aaaab
	s_movk_i32 s6, 0x204
	v_cndmask_b32_e32 v17, 1.0, v0, vcc
	v_cmp_eq_f32_e32 vcc, 0, v17
	v_cndmask_b32_e64 v18, |v16|, 1.0, vcc
	v_frexp_mant_f32_e32 v0, v18
	v_cmp_gt_f32_e64 s[4:5], s4, v0
	v_cndmask_b32_e64 v1, 1.0, 2.0, s[4:5]
	v_mul_f32_e32 v0, v0, v1
	v_add_f32_e32 v3, 1.0, v0
	v_rcp_f32_e32 v8, v3
	v_add_f32_e32 v1, -1.0, v3
	v_sub_f32_e32 v5, v0, v1
	v_add_f32_e32 v1, -1.0, v0
	v_mul_f32_e32 v9, v1, v8
	v_mul_f32_e32 v2, v3, v9
	v_fma_f32 v4, v9, v3, -v2
	v_fmac_f32_e32 v4, v9, v5
	v_add_f32_e32 v0, v2, v4
	v_sub_f32_e32 v3, v1, v0
	v_pk_add_f32 v[6:7], v[0:1], v[2:3] neg_lo:[0,1] neg_hi:[0,1]
	v_mov_b32_e32 v5, v0
	v_pk_add_f32 v[0:1], v[6:7], v[4:5] neg_lo:[0,1] neg_hi:[0,1]
	v_add_f32_e32 v0, v0, v1
	v_add_f32_e32 v0, v3, v0
	v_mul_f32_e32 v1, v8, v0
	v_add_f32_e32 v0, v9, v1
	v_sub_f32_e32 v2, v0, v9
	v_sub_f32_e32 v10, v1, v2
	v_mul_f32_e32 v1, v0, v0
	v_fma_f32 v3, v0, v0, -v1
	v_add_f32_e32 v2, v10, v10
	v_fmac_f32_e32 v3, v0, v2
	v_add_f32_e32 v2, v1, v3
	v_mov_b32_e32 v4, 0x3e91f4c4
	v_fmac_f32_e32 v4, 0x3e76c4e1, v2
	v_mov_b32_e32 v5, 0x3ecccdef
	v_fmac_f32_e32 v5, v2, v4
	v_sub_f32_e32 v1, v2, v1
	v_sub_f32_e32 v11, v3, v1
	v_mul_f32_e32 v1, v2, v5
	v_fma_f32 v3, v2, v5, -v1
	v_fmac_f32_e32 v3, v11, v5
	v_add_f32_e32 v4, v1, v3
	v_add_f32_e32 v5, 0x3f2aaaaa, v4
	v_sub_f32_e32 v1, v4, v1
	v_sub_f32_e32 v1, v3, v1
	v_add_f32_e32 v3, 0xbf2aaaaa, v5
	v_add_f32_e32 v1, 0x31739010, v1
	v_sub_f32_e32 v3, v4, v3
	v_pk_mul_f32 v[6:7], v[0:1], v[2:3]
	v_fma_f32 v4, v2, v0, -v6
	v_pk_add_f32 v[8:9], v[0:1], v[2:3]
	v_fmac_f32_e32 v4, v2, v10
	v_mov_b32_e32 v7, v9
	v_fmac_f32_e32 v4, v11, v0
	v_pk_add_f32 v[2:3], v[6:7], v[4:5]
	v_sub_f32_e32 v1, v2, v6
	v_sub_f32_e32 v1, v4, v1
	;; [unrolled: 1-line block ×3, first 2 shown]
	v_add_f32_e32 v7, v9, v4
	v_mov_b32_e32 v4, v3
	v_pk_mul_f32 v[4:5], v[2:3], v[4:5]
	v_cvt_f64_f32_e32 v[8:9], v18
	v_frexp_exp_i32_f64_e32 v5, v[8:9]
	v_subbrev_co_u32_e64 v5, s[4:5], 0, v5, s[4:5]
	v_cvt_f32_i32_e32 v5, v5
	v_fma_f32 v6, v2, v3, -v4
	v_fmac_f32_e32 v6, v2, v7
	s_mov_b32 s4, 0x3f317218
	v_mul_f32_e32 v2, 0x3f317218, v5
	v_fmac_f32_e32 v6, v1, v3
	v_fma_f32 v8, v5, s4, -v2
	v_fmac_f32_e32 v8, 0xb102e308, v5
	v_ldexp_f32 v9, v0, 1
	v_add_f32_e32 v3, v4, v6
	v_pk_add_f32 v[0:1], v[2:3], v[8:9]
	v_ldexp_f32 v12, v10, 1
	v_mov_b32_e32 v10, v3
	v_mov_b32_e32 v11, v1
	;; [unrolled: 1-line block ×3, first 2 shown]
	v_pk_add_f32 v[4:5], v[10:11], v[4:5] neg_lo:[0,1] neg_hi:[0,1]
	v_mov_b32_e32 v7, v3
	v_pk_add_f32 v[4:5], v[6:7], v[4:5] neg_lo:[0,1] neg_hi:[0,1]
	v_add_f32_e32 v3, v12, v4
	v_add_f32_e32 v3, v3, v5
	v_pk_add_f32 v[4:5], v[0:1], v[2:3] neg_lo:[0,1] neg_hi:[0,1]
	v_pk_add_f32 v[6:7], v[0:1], v[2:3]
	v_mov_b32_e32 v10, v4
	v_mov_b32_e32 v11, v7
	;; [unrolled: 1-line block ×3, first 2 shown]
	v_pk_add_f32 v[10:11], v[8:9], v[10:11]
	v_mov_b32_e32 v2, v11
	v_pk_add_f32 v[12:13], v[2:3], v[0:1] neg_lo:[0,1] neg_hi:[0,1]
	v_mov_b32_e32 v13, v12
	v_mov_b32_e32 v10, v7
	;; [unrolled: 1-line block ×4, first 2 shown]
	v_pk_add_f32 v[4:5], v[8:9], v[4:5] neg_lo:[0,1] neg_hi:[0,1]
	v_pk_add_f32 v[14:15], v[6:7], v[12:13] neg_lo:[0,1] neg_hi:[0,1]
	;; [unrolled: 1-line block ×3, first 2 shown]
	v_mov_b32_e32 v8, v3
	v_pk_add_f32 v[0:1], v[8:9], v[0:1] neg_lo:[0,1] neg_hi:[0,1]
	v_mov_b32_e32 v14, v4
	v_pk_add_f32 v[6:7], v[14:15], v[0:1]
	v_mov_b32_e32 v8, v7
	v_pk_add_f32 v[8:9], v[6:7], v[8:9]
	v_pk_add_f32 v[2:3], v[2:3], v[8:9]
	v_mov_b32_e32 v5, v11
	v_mov_b32_e32 v7, v2
	v_pk_add_f32 v[10:11], v[6:7], v[4:5] neg_lo:[0,1] neg_hi:[0,1]
	v_mov_b32_e32 v1, v8
	v_sub_f32_e32 v3, v6, v10
	v_pk_add_f32 v[0:1], v[0:1], v[10:11] neg_lo:[0,1] neg_hi:[0,1]
	v_sub_f32_e32 v3, v4, v3
	v_add_f32_e32 v0, v0, v3
	v_add_f32_e32 v0, v0, v1
	v_add_f32_e32 v1, v2, v0
	v_sub_f32_e32 v2, v1, v2
	v_sub_f32_e32 v0, v0, v2
	v_mul_f32_e32 v2, v17, v1
	v_fma_f32 v1, v17, v1, -v2
	v_fmac_f32_e32 v1, v17, v0
	v_add_f32_e32 v0, v2, v1
	v_cmp_class_f32_e64 s[4:5], v2, s6
	v_sub_f32_e32 v3, v0, v2
	v_cndmask_b32_e64 v0, v0, v2, s[4:5]
	s_mov_b32 s10, 0x42b17218
	v_mov_b32_e32 v2, 0x37000000
	v_cmp_eq_f32_e64 s[4:5], s10, v0
	v_cndmask_b32_e64 v2, 0, v2, s[4:5]
	v_sub_f32_e32 v1, v1, v3
	v_sub_f32_e32 v3, v0, v2
	s_mov_b32 s4, 0x3fb8aa3b
	v_mul_f32_e32 v4, 0x3fb8aa3b, v3
	v_fma_f32 v5, v3, s4, -v4
	v_rndne_f32_e32 v6, v4
	v_fmac_f32_e32 v5, 0x32a5705f, v3
	v_sub_f32_e32 v4, v4, v6
	v_add_f32_e32 v4, v4, v5
	v_exp_f32_e32 v4, v4
	v_cvt_i32_f32_e32 v5, v6
	s_mov_b32 s7, 0x7f800000
	v_cmp_neq_f32_e64 s[4:5], |v0|, s7
	v_cndmask_b32_e64 v0, 0, v1, s[4:5]
	s_mov_b32 s4, 0xc2ce8ed0
	v_ldexp_f32 v1, v4, v5
	v_cmp_ngt_f32_e64 s[4:5], s4, v3
	v_add_f32_e32 v0, v2, v0
	v_cndmask_b32_e64 v1, 0, v1, s[4:5]
	v_mov_b32_e32 v2, 0x7f800000
	v_cmp_nlt_f32_e64 s[4:5], s10, v3
	v_cndmask_b32_e64 v1, v2, v1, s[4:5]
	v_fma_f32 v0, v1, v0, v1
	v_cmp_class_f32_e64 s[4:5], v1, s6
	v_trunc_f32_e32 v3, v17
	v_cndmask_b32_e64 v0, v0, v1, s[4:5]
	v_cndmask_b32_e64 v1, v16, 1.0, vcc
	v_cmp_eq_f32_e32 vcc, v3, v17
	v_mul_f32_e32 v3, 0.5, v17
	v_trunc_f32_e32 v5, v3
	v_cmp_neq_f32_e64 s[4:5], v5, v3
	s_and_b64 s[4:5], vcc, s[4:5]
	v_cndmask_b32_e64 v3, 1.0, v1, s[4:5]
	s_brev_b32 s17, -2
	v_mov_b32_e32 v4, 0x7fc00000
	v_bfi_b32 v0, s17, v0, v3
	v_cndmask_b32_e32 v3, v4, v0, vcc
	v_cmp_gt_f32_e32 vcc, 0, v1
	v_cndmask_b32_e32 v0, v0, v3, vcc
	v_cmp_eq_f32_e32 vcc, s7, v18
	v_cmp_eq_f32_e64 s[6:7], 0, v1
	v_cmp_gt_f32_e64 s[10:11], 0, v17
	s_xor_b64 s[10:11], s[10:11], s[6:7]
	v_cndmask_b32_e64 v2, v2, 0, s[10:11]
	v_cndmask_b32_e64 v3, 0, v1, s[4:5]
	v_bfi_b32 v2, s17, v2, v3
	s_or_b64 vcc, vcc, s[6:7]
	v_cndmask_b32_e32 v0, v0, v2, vcc
	v_cmp_o_f32_e32 vcc, v1, v1
	v_cndmask_b32_e32 v48, v4, v0, vcc
.LBB30_460:
	s_mul_i32 s5, s13, s55
	v_readlane_b32 s4, v254, 25
	s_sub_i32 s5, s14, s5
	s_xor_b32 s4, s16, s4
	s_add_i32 s6, s13, 1
	s_sub_i32 s7, s5, s55
	s_cmp_ge_u32 s5, s55
	s_cselect_b32 s6, s6, s13
	s_cselect_b32 s5, s7, s5
	s_add_i32 s7, s6, 1
	s_cmp_ge_u32 s5, s55
	s_cselect_b32 s5, s7, s6
	s_xor_b32 s5, s5, s4
	v_readlane_b32 s16, v254, 26
	s_sub_i32 s4, s5, s4
	v_readlane_b32 s26, v254, 36
	v_readlane_b32 s27, v254, 37
	;; [unrolled: 1-line block ×7, first 2 shown]
	s_cmp_eq_u64 s[26:27], 0
	v_mov_b32_e32 v32, s92
	v_readlane_b32 s22, v254, 32
	v_readlane_b32 s23, v254, 33
	;; [unrolled: 1-line block ×8, first 2 shown]
	s_cbranch_scc1 .LBB30_462
; %bb.461:
	v_readlane_b32 s5, v254, 0
	s_mul_i32 s5, s8, s5
	s_add_i32 s6, s4, s5
	s_ashr_i32 s7, s6, 31
	s_lshl_b64 s[6:7], s[6:7], 2
	s_add_u32 s6, s26, s6
	s_addc_u32 s7, s27, s7
	v_mov_b32_e32 v0, 0
	global_load_dword v0, v0, s[6:7]
	s_waitcnt vmcnt(0)
	v_ashrrev_i32_e32 v1, 31, v0
	v_lshrrev_b32_e32 v1, 26, v1
	v_add_u32_e32 v0, v0, v1
	v_ashrrev_i32_e32 v0, 6, v0
	v_min_i32_e32 v32, s92, v0
.LBB30_462:
	v_readlane_b32 s10, v254, 8
	v_readlane_b32 s11, v254, 9
	s_mul_i32 s5, s8, s11
	s_ashr_i32 s6, s5, 31
	s_add_u32 s5, s16, s5
	s_mul_i32 s15, s15, s10
	s_addc_u32 s7, s17, s6
	s_ashr_i32 s10, s15, 31
	s_add_u32 s6, s5, s15
	s_addc_u32 s7, s7, s10
	s_lshl_b32 s10, s4, 5
	v_add_u32_e32 v37, s10, v173
	v_and_b32_e32 v64, 0x3ff, v19
	v_cmp_le_i32_e32 vcc, s76, v37
	s_and_saveexec_b64 s[4:5], vcc
	s_xor_b64 s[4:5], exec, s[4:5]
	s_cbranch_execz .LBB30_464
; %bb.463:
	s_movk_i32 s11, 0x84
	v_mad_u32_u24 v0, v173, s11, v64
	v_lshl_add_u32 v0, v0, 2, 0
	v_mov_b32_e32 v1, 0
	ds_write2st64_b32 v0, v1, v1 offset1:1
.LBB30_464:
	s_andn2_saveexec_b64 s[4:5], s[4:5]
	s_cbranch_execz .LBB30_466
; %bb.465:
	v_readlane_b32 s11, v254, 18
	v_mad_u64_u32 v[0:1], s[14:15], v37, s11, v[64:65]
	v_ashrrev_i32_e32 v1, 31, v0
	v_lshlrev_b64 v[0:1], 3, v[0:1]
	v_mov_b32_e32 v2, s7
	v_add_co_u32_e32 v0, vcc, s6, v0
	v_addc_co_u32_e32 v1, vcc, v2, v1, vcc
	global_load_dwordx2 v[2:3], v[0:1], off
	global_load_dwordx2 v[4:5], v[0:1], off offset:512
	s_movk_i32 s11, 0x84
	s_waitcnt vmcnt(1)
	v_cvt_f16_f32_e32 v0, v2
	v_cvt_f16_f32_e32 v1, v3
	s_waitcnt vmcnt(0)
	v_cvt_f16_f32_e32 v2, v4
	v_cvt_f16_f32_e32 v3, v5
	v_mad_u32_u24 v4, v173, s11, v64
	v_pack_b32_f16 v0, v0, v1
	v_lshl_add_u32 v4, v4, 2, 0
	v_pack_b32_f16 v1, v2, v3
	v_pk_mul_f16 v0, v174, v0
	v_pk_mul_f16 v1, v174, v1
	ds_write2st64_b32 v4, v0, v1 offset1:1
.LBB30_466:
	s_or_b64 exec, exec, s[4:5]
	v_add_u32_e32 v38, s10, v182
	v_cmp_le_i32_e32 vcc, s76, v38
	s_and_saveexec_b64 s[4:5], vcc
	s_xor_b64 s[4:5], exec, s[4:5]
	s_cbranch_execz .LBB30_468
; %bb.467:
	s_movk_i32 s11, 0x84
	v_mad_u32_u24 v0, v182, s11, v64
	v_lshl_add_u32 v0, v0, 2, 0
	v_mov_b32_e32 v1, 0
	ds_write2st64_b32 v0, v1, v1 offset1:1
                                        ; implicit-def: $vgpr182
.LBB30_468:
	s_andn2_saveexec_b64 s[4:5], s[4:5]
	s_cbranch_execz .LBB30_470
; %bb.469:
	v_readlane_b32 s11, v254, 18
	v_mad_u64_u32 v[0:1], s[14:15], v38, s11, v[64:65]
	v_ashrrev_i32_e32 v1, 31, v0
	v_lshlrev_b64 v[0:1], 3, v[0:1]
	v_mov_b32_e32 v2, s7
	v_add_co_u32_e32 v0, vcc, s6, v0
	v_addc_co_u32_e32 v1, vcc, v2, v1, vcc
	global_load_dwordx2 v[2:3], v[0:1], off
	global_load_dwordx2 v[4:5], v[0:1], off offset:512
	s_movk_i32 s11, 0x84
	s_waitcnt vmcnt(1)
	v_cvt_f16_f32_e32 v0, v2
	v_cvt_f16_f32_e32 v1, v3
	s_waitcnt vmcnt(0)
	v_cvt_f16_f32_e32 v2, v4
	v_cvt_f16_f32_e32 v3, v5
	v_mad_u32_u24 v4, v182, s11, v64
	v_pack_b32_f16 v0, v0, v1
	v_lshl_add_u32 v4, v4, 2, 0
	v_pack_b32_f16 v1, v2, v3
	v_pk_mul_f16 v0, v174, v0
	v_pk_mul_f16 v1, v174, v1
	ds_write2st64_b32 v4, v0, v1 offset1:1
.LBB30_470:
	s_or_b64 exec, exec, s[4:5]
	v_add_u32_e32 v39, s10, v181
	v_cmp_le_i32_e32 vcc, s76, v39
	s_and_saveexec_b64 s[4:5], vcc
	s_xor_b64 s[4:5], exec, s[4:5]
	s_cbranch_execz .LBB30_472
; %bb.471:
	s_movk_i32 s11, 0x84
	v_mad_u32_u24 v0, v181, s11, v64
	v_lshl_add_u32 v0, v0, 2, 0
	v_mov_b32_e32 v1, 0
	ds_write2st64_b32 v0, v1, v1 offset1:1
                                        ; implicit-def: $vgpr181
.LBB30_472:
	s_andn2_saveexec_b64 s[4:5], s[4:5]
	s_cbranch_execz .LBB30_474
; %bb.473:
	v_readlane_b32 s11, v254, 18
	v_mad_u64_u32 v[0:1], s[14:15], v39, s11, v[64:65]
	v_ashrrev_i32_e32 v1, 31, v0
	v_lshlrev_b64 v[0:1], 3, v[0:1]
	v_mov_b32_e32 v2, s7
	v_add_co_u32_e32 v0, vcc, s6, v0
	v_addc_co_u32_e32 v1, vcc, v2, v1, vcc
	global_load_dwordx2 v[2:3], v[0:1], off
	global_load_dwordx2 v[4:5], v[0:1], off offset:512
	s_movk_i32 s11, 0x84
	s_waitcnt vmcnt(1)
	v_cvt_f16_f32_e32 v0, v2
	v_cvt_f16_f32_e32 v1, v3
	s_waitcnt vmcnt(0)
	v_cvt_f16_f32_e32 v2, v4
	v_cvt_f16_f32_e32 v3, v5
	v_mad_u32_u24 v4, v181, s11, v64
	v_pack_b32_f16 v0, v0, v1
	v_lshl_add_u32 v4, v4, 2, 0
	v_pack_b32_f16 v1, v2, v3
	v_pk_mul_f16 v0, v174, v0
	v_pk_mul_f16 v1, v174, v1
	ds_write2st64_b32 v4, v0, v1 offset1:1
.LBB30_474:
	s_or_b64 exec, exec, s[4:5]
	v_add_u32_e32 v40, s10, v180
	v_cmp_le_i32_e32 vcc, s76, v40
	s_and_saveexec_b64 s[4:5], vcc
	s_xor_b64 s[4:5], exec, s[4:5]
	s_cbranch_execz .LBB30_476
; %bb.475:
	s_movk_i32 s11, 0x84
	v_mad_u32_u24 v0, v180, s11, v64
	v_lshl_add_u32 v0, v0, 2, 0
	v_mov_b32_e32 v1, 0
	ds_write2st64_b32 v0, v1, v1 offset1:1
                                        ; implicit-def: $vgpr180
.LBB30_476:
	s_andn2_saveexec_b64 s[4:5], s[4:5]
	s_cbranch_execz .LBB30_478
; %bb.477:
	v_readlane_b32 s11, v254, 18
	v_mad_u64_u32 v[0:1], s[14:15], v40, s11, v[64:65]
	v_ashrrev_i32_e32 v1, 31, v0
	v_lshlrev_b64 v[0:1], 3, v[0:1]
	v_mov_b32_e32 v2, s7
	v_add_co_u32_e32 v0, vcc, s6, v0
	v_addc_co_u32_e32 v1, vcc, v2, v1, vcc
	global_load_dwordx2 v[2:3], v[0:1], off
	global_load_dwordx2 v[4:5], v[0:1], off offset:512
	s_movk_i32 s11, 0x84
	s_waitcnt vmcnt(1)
	v_cvt_f16_f32_e32 v0, v2
	v_cvt_f16_f32_e32 v1, v3
	s_waitcnt vmcnt(0)
	v_cvt_f16_f32_e32 v2, v4
	v_cvt_f16_f32_e32 v3, v5
	v_mad_u32_u24 v4, v180, s11, v64
	v_pack_b32_f16 v0, v0, v1
	v_lshl_add_u32 v4, v4, 2, 0
	v_pack_b32_f16 v1, v2, v3
	v_pk_mul_f16 v0, v174, v0
	v_pk_mul_f16 v1, v174, v1
	ds_write2st64_b32 v4, v0, v1 offset1:1
.LBB30_478:
	s_or_b64 exec, exec, s[4:5]
	v_add_u32_e32 v41, s10, v179
	v_cmp_le_i32_e32 vcc, s76, v41
	s_and_saveexec_b64 s[4:5], vcc
	s_xor_b64 s[4:5], exec, s[4:5]
	s_cbranch_execz .LBB30_480
; %bb.479:
	s_movk_i32 s11, 0x84
	v_mad_u32_u24 v0, v179, s11, v64
	v_lshl_add_u32 v0, v0, 2, 0
	v_mov_b32_e32 v1, 0
	ds_write2st64_b32 v0, v1, v1 offset1:1
                                        ; implicit-def: $vgpr179
.LBB30_480:
	s_andn2_saveexec_b64 s[4:5], s[4:5]
	s_cbranch_execz .LBB30_482
; %bb.481:
	v_readlane_b32 s11, v254, 18
	v_mad_u64_u32 v[0:1], s[14:15], v41, s11, v[64:65]
	v_ashrrev_i32_e32 v1, 31, v0
	v_lshlrev_b64 v[0:1], 3, v[0:1]
	v_mov_b32_e32 v2, s7
	v_add_co_u32_e32 v0, vcc, s6, v0
	v_addc_co_u32_e32 v1, vcc, v2, v1, vcc
	global_load_dwordx2 v[2:3], v[0:1], off
	global_load_dwordx2 v[4:5], v[0:1], off offset:512
	s_movk_i32 s11, 0x84
	s_waitcnt vmcnt(1)
	v_cvt_f16_f32_e32 v0, v2
	v_cvt_f16_f32_e32 v1, v3
	s_waitcnt vmcnt(0)
	v_cvt_f16_f32_e32 v2, v4
	v_cvt_f16_f32_e32 v3, v5
	v_mad_u32_u24 v4, v179, s11, v64
	v_pack_b32_f16 v0, v0, v1
	v_lshl_add_u32 v4, v4, 2, 0
	v_pack_b32_f16 v1, v2, v3
	v_pk_mul_f16 v0, v174, v0
	v_pk_mul_f16 v1, v174, v1
	ds_write2st64_b32 v4, v0, v1 offset1:1
.LBB30_482:
	s_or_b64 exec, exec, s[4:5]
	v_add_u32_e32 v43, s10, v178
	v_cmp_le_i32_e32 vcc, s76, v43
	s_and_saveexec_b64 s[4:5], vcc
	s_xor_b64 s[4:5], exec, s[4:5]
	s_cbranch_execz .LBB30_484
; %bb.483:
	s_movk_i32 s11, 0x84
	v_mad_u32_u24 v0, v178, s11, v64
	v_lshl_add_u32 v0, v0, 2, 0
	v_mov_b32_e32 v1, 0
	ds_write2st64_b32 v0, v1, v1 offset1:1
                                        ; implicit-def: $vgpr178
.LBB30_484:
	s_andn2_saveexec_b64 s[4:5], s[4:5]
	s_cbranch_execz .LBB30_486
; %bb.485:
	v_readlane_b32 s11, v254, 18
	v_mad_u64_u32 v[0:1], s[14:15], v43, s11, v[64:65]
	v_ashrrev_i32_e32 v1, 31, v0
	v_lshlrev_b64 v[0:1], 3, v[0:1]
	v_mov_b32_e32 v2, s7
	v_add_co_u32_e32 v0, vcc, s6, v0
	v_addc_co_u32_e32 v1, vcc, v2, v1, vcc
	global_load_dwordx2 v[2:3], v[0:1], off
	global_load_dwordx2 v[4:5], v[0:1], off offset:512
	s_movk_i32 s11, 0x84
	s_waitcnt vmcnt(1)
	v_cvt_f16_f32_e32 v0, v2
	v_cvt_f16_f32_e32 v1, v3
	s_waitcnt vmcnt(0)
	v_cvt_f16_f32_e32 v2, v4
	v_cvt_f16_f32_e32 v3, v5
	v_mad_u32_u24 v4, v178, s11, v64
	v_pack_b32_f16 v0, v0, v1
	v_lshl_add_u32 v4, v4, 2, 0
	v_pack_b32_f16 v1, v2, v3
	v_pk_mul_f16 v0, v174, v0
	v_pk_mul_f16 v1, v174, v1
	ds_write2st64_b32 v4, v0, v1 offset1:1
.LBB30_486:
	s_or_b64 exec, exec, s[4:5]
	v_add_u32_e32 v45, s10, v177
	v_cmp_le_i32_e32 vcc, s76, v45
	s_and_saveexec_b64 s[4:5], vcc
	s_xor_b64 s[4:5], exec, s[4:5]
	s_cbranch_execz .LBB30_488
; %bb.487:
	s_movk_i32 s11, 0x84
	v_mad_u32_u24 v0, v177, s11, v64
	v_lshl_add_u32 v0, v0, 2, 0
	v_mov_b32_e32 v1, 0
	ds_write2st64_b32 v0, v1, v1 offset1:1
                                        ; implicit-def: $vgpr177
.LBB30_488:
	s_andn2_saveexec_b64 s[4:5], s[4:5]
	s_cbranch_execz .LBB30_490
; %bb.489:
	v_readlane_b32 s11, v254, 18
	v_mad_u64_u32 v[0:1], s[14:15], v45, s11, v[64:65]
	v_ashrrev_i32_e32 v1, 31, v0
	v_lshlrev_b64 v[0:1], 3, v[0:1]
	v_mov_b32_e32 v2, s7
	v_add_co_u32_e32 v0, vcc, s6, v0
	v_addc_co_u32_e32 v1, vcc, v2, v1, vcc
	global_load_dwordx2 v[2:3], v[0:1], off
	global_load_dwordx2 v[4:5], v[0:1], off offset:512
	s_movk_i32 s11, 0x84
	s_waitcnt vmcnt(1)
	v_cvt_f16_f32_e32 v0, v2
	v_cvt_f16_f32_e32 v1, v3
	s_waitcnt vmcnt(0)
	v_cvt_f16_f32_e32 v2, v4
	v_cvt_f16_f32_e32 v3, v5
	v_mad_u32_u24 v4, v177, s11, v64
	v_pack_b32_f16 v0, v0, v1
	v_lshl_add_u32 v4, v4, 2, 0
	v_pack_b32_f16 v1, v2, v3
	v_pk_mul_f16 v0, v174, v0
	v_pk_mul_f16 v1, v174, v1
	ds_write2st64_b32 v4, v0, v1 offset1:1
.LBB30_490:
	s_or_b64 exec, exec, s[4:5]
	v_add_u32_e32 v49, s10, v176
	v_cmp_le_i32_e32 vcc, s76, v49
	s_and_saveexec_b64 s[4:5], vcc
	s_xor_b64 s[4:5], exec, s[4:5]
	s_cbranch_execz .LBB30_492
; %bb.491:
	s_movk_i32 s10, 0x84
	v_mad_u32_u24 v0, v176, s10, v64
	v_lshl_add_u32 v0, v0, 2, 0
	v_mov_b32_e32 v1, 0
	ds_write2st64_b32 v0, v1, v1 offset1:1
                                        ; implicit-def: $vgpr174
                                        ; implicit-def: $vgpr176
.LBB30_492:
	s_andn2_saveexec_b64 s[4:5], s[4:5]
	s_cbranch_execz .LBB30_494
; %bb.493:
	v_readlane_b32 s10, v254, 18
	v_mad_u64_u32 v[0:1], s[10:11], v49, s10, v[64:65]
	v_ashrrev_i32_e32 v1, 31, v0
	v_lshlrev_b64 v[0:1], 3, v[0:1]
	v_mov_b32_e32 v2, s7
	v_add_co_u32_e32 v0, vcc, s6, v0
	v_addc_co_u32_e32 v1, vcc, v2, v1, vcc
	global_load_dwordx2 v[2:3], v[0:1], off
	global_load_dwordx2 v[4:5], v[0:1], off offset:512
	s_movk_i32 s6, 0x84
	s_waitcnt vmcnt(1)
	v_cvt_f16_f32_e32 v0, v2
	v_cvt_f16_f32_e32 v1, v3
	s_waitcnt vmcnt(0)
	v_cvt_f16_f32_e32 v2, v4
	v_cvt_f16_f32_e32 v3, v5
	v_mad_u32_u24 v4, v176, s6, v64
	v_pack_b32_f16 v0, v0, v1
	v_lshl_add_u32 v4, v4, 2, 0
	v_pack_b32_f16 v1, v2, v3
	v_pk_mul_f16 v0, v174, v0
	v_pk_mul_f16 v1, v174, v1
	ds_write2st64_b32 v4, v0, v1 offset1:1
.LBB30_494:
	s_or_b64 exec, exec, s[4:5]
	v_readlane_b32 s6, v254, 14
	v_readlane_b32 s7, v254, 15
	s_mul_i32 s4, s8, s7
	s_mul_hi_u32 s5, s8, s6
	s_add_i32 s4, s5, s4
	s_mul_i32 s5, s12, s6
	s_add_i32 s4, s4, s5
	s_mul_i32 s5, s8, s6
	s_add_u32 s5, s20, s5
	s_addc_u32 s4, s21, s4
	v_readlane_b32 s20, v254, 21
	v_readlane_b32 s23, v254, 24
	s_mul_i32 s6, s9, s23
	s_ashr_i32 s7, s6, 31
	v_readlane_b32 s21, v254, 22
	s_add_u32 s33, s5, s6
	s_addc_u32 s52, s4, s7
	s_mul_i32 s4, s8, s21
	s_mul_hi_u32 s5, s8, s20
	s_add_i32 s4, s5, s4
	s_mul_i32 s12, s12, s20
	v_readlane_b32 s6, v254, 19
	s_add_i32 s4, s4, s12
	s_mul_i32 s8, s8, s20
	v_readlane_b32 s7, v254, 20
	s_add_u32 s5, s18, s8
	s_mul_i32 s9, s9, s7
	s_addc_u32 s4, s19, s4
	s_ashr_i32 s6, s9, 31
	s_add_u32 s8, s5, s9
	v_lshrrev_b32_e32 v1, 3, v64
	s_addc_u32 s9, s4, s6
	v_and_b32_e32 v33, 0x1ff0, v95
	s_movk_i32 s4, 0x210
	v_and_b32_e32 v174, 15, v64
	v_and_b32_e32 v98, 0x7e, v1
	v_mad_u32_u24 v0, v33, s4, 0
	v_mul_u32_u24_e32 v53, 0x210, v174
	v_lshlrev_b32_e32 v55, 2, v98
	v_add3_u32 v0, v0, v53, v55
	s_waitcnt lgkmcnt(0)
	s_barrier
	ds_read2_b64 v[28:31], v0 offset1:4
	ds_read2_b64 v[24:27], v0 offset0:8 offset1:12
	ds_read2_b64 v[20:23], v0 offset0:16 offset1:20
	;; [unrolled: 1-line block ×7, first 2 shown]
	v_add_u32_e32 v129, -1, v32
	v_cmp_ge_i32_e32 vcc, s56, v129
	s_mov_b32 s53, 0
	s_and_b64 vcc, exec, vcc
	v_mov_b32_e32 v109, 0
	v_or_b32_e32 v54, v33, v174
	v_lshlrev_b32_e32 v35, 1, v64
	v_mbcnt_lo_u32_b32 v52, -1, 0
	v_lshrrev_b32_e32 v56, 5, v64
	v_lshlrev_b32_e32 v97, 2, v64
	v_lshrrev_b32_e32 v50, 2, v64
	v_and_b32_e32 v105, 8, v95
	v_lshlrev_b32_e32 v104, 1, v174
	v_readlane_b32 s22, v254, 23
	s_waitcnt lgkmcnt(0)
	s_barrier
	s_cbranch_vccnz .LBB30_539
; %bb.495:
	v_readlane_b32 s10, v254, 10
	v_mul_hi_u32 v46, s10, v49
	v_readlane_b32 s11, v254, 11
	v_add_u32_e32 v46, v49, v46
	v_lshrrev_b32_e32 v46, s11, v46
	v_mul_lo_u32 v46, v46, s76
	v_accvgpr_write_b32 a27, v49
	v_sub_u32_e32 v46, v49, v46
	v_mbcnt_hi_u32_b32 v49, -1, v52
	v_accvgpr_write_b32 a16, v50
	v_mov_b32_e32 v32, s43
	v_add_co_u32_e32 v133, vcc, s42, v35
	v_and_b32_e32 v50, 64, v49
	v_addc_co_u32_e32 v134, vcc, 0, v32, vcc
	v_add_u32_e32 v50, 64, v50
	v_xor_b32_e32 v51, 32, v49
	v_cmp_lt_i32_e32 vcc, v51, v50
	v_cndmask_b32_e32 v51, v49, v51, vcc
	v_lshlrev_b32_e32 v143, 2, v51
	v_xor_b32_e32 v51, 16, v49
	v_cmp_lt_i32_e32 vcc, v51, v50
	v_cndmask_b32_e32 v49, v49, v51, vcc
	s_cmp_lg_u64 s[42:43], 0
	v_lshlrev_b32_e32 v144, 2, v49
	v_lshl_add_u32 v49, v173, 1, v56
	s_cselect_b64 s[44:45], -1, 0
	v_mul_lo_u32 v70, s86, v49
	s_lshl_b32 s23, s86, 3
	v_add_u32_e32 v74, s23, v70
	v_add_u32_e32 v76, s23, v74
	;; [unrolled: 1-line block ×3, first 2 shown]
	v_mul_u32_u24_e32 v34, 0x90, v173
	v_add_u32_e32 v80, s23, v78
	v_add3_u32 v135, 0, v34, v35
	v_mul_hi_u32 v34, s10, v38
	v_add_u32_e32 v82, s23, v80
	v_add_u32_e32 v34, v38, v34
	;; [unrolled: 1-line block ×3, first 2 shown]
	v_lshrrev_b32_e32 v34, s11, v34
	v_add_u32_e32 v86, s23, v84
	s_add_i32 s23, 0, 0x60
	v_mul_lo_u32 v34, v34, s76
	v_mov_b32_e32 v57, s23
	s_add_i32 s23, 0, 0x80
	v_accvgpr_write_b32 a19, v38
	v_sub_u32_e32 v34, v38, v34
	v_add_u32_e32 v38, 0x480, v135
	v_mov_b32_e32 v59, s23
	s_add_i32 s23, 0, 0xa0
	v_accvgpr_write_b32 a31, v38
	v_mul_hi_u32 v38, s10, v40
	v_mov_b32_e32 v61, s23
	s_add_i32 s23, 0, 0xc0
	v_add_u32_e32 v38, v40, v38
	v_mov_b32_e32 v63, s23
	s_add_i32 s23, 0, 0xe0
	s_movk_i32 s22, 0x90
	v_lshrrev_b32_e32 v38, s11, v38
	v_mov_b32_e32 v67, s23
	s_add_i32 s23, 0, 0x100
	v_mul_lo_u32 v38, v38, s76
	v_accvgpr_write_b32 a17, v54
	v_mad_u32_u24 v54, v54, s22, 0
	v_mul_lo_u32 v88, s82, v49
	s_lshl_b32 s22, s82, 3
	v_mov_b32_e32 v69, s23
	s_add_i32 s23, 0, 0x120
	v_add_u32_e32 v36, 0x240, v135
	v_accvgpr_write_b32 a23, v40
	v_sub_u32_e32 v38, v40, v38
	v_add_u32_e32 v40, 0x6c0, v135
	v_add_u32_e32 v42, 0x900, v135
	v_and_b32_e32 v72, 0x7c, v97
	v_add_u32_e32 v90, s22, v88
	v_mov_b32_e32 v116, s23
	s_add_i32 s23, 0, 0x140
	v_mul_hi_u32 v32, s10, v37
	v_accvgpr_write_b32 a30, v36
	v_mul_hi_u32 v36, s10, v39
	v_accvgpr_write_b32 a32, v40
	;; [unrolled: 2-line block ×3, first 2 shown]
	v_mul_hi_u32 v42, s10, v43
	v_mul_hi_u32 v44, s10, v45
	v_mul_u32_u24_e32 v50, 0x210, v49
	v_lshlrev_b32_e32 v51, 2, v72
	v_add_u32_e32 v92, s22, v90
	v_mov_b32_e32 v120, s23
	s_add_i32 s23, 0, 0x160
	v_add_u32_e32 v32, v37, v32
	v_add_u32_e32 v36, v39, v36
	v_add_u32_e32 v40, v41, v40
	v_add_u32_e32 v42, v43, v42
	v_add_u32_e32 v44, v45, v44
	v_add3_u32 v145, 0, v50, v51
	v_accvgpr_write_b32 a9, v94
	v_and_b32_e32 v50, 16, v94
	v_lshrrev_b32_e32 v51, 2, v64
	v_add_u32_e32 v94, s22, v92
	v_mov_b32_e32 v124, s23
	s_add_i32 s23, 0, 0x180
	v_accvgpr_write_b32 a11, v96
	v_lshrrev_b32_e32 v32, s11, v32
	v_lshrrev_b32_e32 v36, s11, v36
	;; [unrolled: 1-line block ×5, first 2 shown]
	v_accvgpr_write_b32 a15, v52
	v_and_b32_e32 v52, 0xfc, v51
	v_add_u32_e32 v96, s22, v94
	v_mov_b32_e32 v127, s23
	s_add_i32 s23, 0, 0x1a0
	v_accvgpr_write_b32 a14, v98
	v_mul_lo_u32 v32, v32, s76
	v_mul_lo_u32 v36, v36, s76
	;; [unrolled: 1-line block ×5, first 2 shown]
	v_accvgpr_write_b32 a21, v53
	v_add3_u32 v106, 0, v53, v55
	v_mul_u32_u24_e32 v107, 0x210, v50
	v_add_u32_e32 v53, v50, v52
	v_add_u16_e32 v50, v50, v52
	v_add_u32_e32 v98, s22, v96
	v_mov_b32_e32 v131, s23
	s_add_i32 s23, 0, 0x1c0
	v_sub_u32_e32 v32, v37, v32
	v_sub_u32_e32 v36, v39, v36
	;; [unrolled: 1-line block ×5, first 2 shown]
	v_lshrrev_b16_e32 v50, 1, v50
	v_add_u32_e32 v100, s22, v98
	v_mov_b32_e32 v138, s23
	s_add_i32 s23, 0, 0x1e0
	v_accvgpr_write_b32 a18, v37
	v_mad_i64_i32 v[32:33], s[6:7], v32, s78, 0
	v_accvgpr_write_b32 a29, v35
	v_mad_i64_i32 v[34:35], s[6:7], v34, s78, 0
	;; [unrolled: 2-line block ×3, first 2 shown]
	v_mad_i64_i32 v[38:39], s[6:7], v38, s78, 0
	v_accvgpr_write_b32 a24, v41
	v_mad_i64_i32 v[40:41], s[6:7], v40, s78, 0
	v_accvgpr_write_b32 a25, v43
	;; [unrolled: 2-line block ×3, first 2 shown]
	v_mad_i64_i32 v[44:45], s[6:7], v44, s78, 0
	v_mad_i64_i32 v[46:47], s[6:7], v46, s78, 0
	v_lshl_add_u32 v108, v50, 2, v54
	v_lshl_add_u32 v50, v53, 1, v54
	v_add_u32_e32 v102, s22, v100
	s_movk_i32 s22, 0x420
	v_mov_b32_e32 v141, s23
	v_cmp_gt_u32_e64 s[6:7], 64, v49
	v_cmp_gt_u32_e64 s[40:41], 56, v49
	;; [unrolled: 1-line block ×8, first 2 shown]
	v_add_u32_e32 v153, 64, v50
	v_add_u32_e32 v154, 0x44, v50
	v_mul_u32_u24_e32 v49, 0x420, v105
	v_mad_u32_u24 v50, v105, s22, 0
	v_mad_u32_u24 v57, v105, s22, v57
	;; [unrolled: 1-line block ×14, first 2 shown]
	v_cmp_gt_u32_e64 s[22:23], 64, v53
	v_cmp_gt_u32_e64 s[24:25], 63, v53
	;; [unrolled: 1-line block ×8, first 2 shown]
	v_mul_u32_u24_e32 v53, 0x108, v52
	v_add3_u32 v54, 0, 32, v49
	v_add3_u32 v49, 0, 64, v49
	v_or_b32_e32 v176, v53, v174
	v_or_b32_e32 v51, 3, v51
	v_accvgpr_write_b32 a28, v56
	v_accvgpr_write_b32 a22, v55
	v_add_u32_e32 v157, v50, v104
	v_add_u32_e32 v55, 0x4200, v54
	;; [unrolled: 1-line block ×16, first 2 shown]
	v_mul_u32_u24_e32 v175, 0x210, v51
	v_lshlrev_b32_e32 v51, 1, v176
	v_accvgpr_write_b32 a10, v95
	s_mov_b64 s[46:47], src_private_base
	v_accvgpr_write_b32 a12, v97
	v_ashrrev_i32_e32 v71, 31, v70
	v_ashrrev_i32_e32 v75, 31, v74
	;; [unrolled: 1-line block ×16, first 2 shown]
	v_add_u32_e32 v158, 0x4200, v157
	v_add_u32_e32 v159, 32, v157
	;; [unrolled: 1-line block ×31, first 2 shown]
	v_accvgpr_write_b32 a13, v174
	v_mul_u32_u24_e32 v174, 0x210, v52
	v_add_u32_e32 v176, v50, v51
	v_lshlrev_b32_e32 v50, 1, v53
	v_cmp_lt_u32_e64 s[4:5], 63, v64
	v_mov_b32_e32 v132, 0
	v_add_u32_e32 v122, 0xb40, v135
	v_add_u32_e32 v65, 0xd80, v135
	;; [unrolled: 1-line block ×3, first 2 shown]
	s_mov_b32 s46, 0
	v_add_u32_e32 v146, 0x1080, v145
	v_add_u32_e32 v147, 0x2100, v145
	;; [unrolled: 1-line block ×54, first 2 shown]
	v_mov_b32_e32 v50, v48
	v_mov_b32_e32 v51, v48
	s_lshl_b32 s48, s56, 6
	v_mov_b32_e32 v116, 0xfeffffff
	v_lshlrev_b64 v[52:53], 1, v[32:33]
	v_lshlrev_b64 v[54:55], 1, v[34:35]
	;; [unrolled: 1-line block ×9, first 2 shown]
	v_lshlrev_b32_e32 v226, 2, v72
	v_lshlrev_b64 v[72:73], 2, v[74:75]
	v_lshlrev_b64 v[74:75], 2, v[76:77]
	;; [unrolled: 1-line block ×7, first 2 shown]
	v_add_u32_e32 v227, v106, v107
	s_mov_b32 s54, 0x3f200000
	s_mov_b32 s55, 0x3fb8aa3b
	;; [unrolled: 1-line block ×4, first 2 shown]
	v_mov_b32_e32 v228, 0xbd5c1c4e
	v_mov_b32_e32 v229, 0x3e088382
	;; [unrolled: 1-line block ×3, first 2 shown]
	s_brev_b32 s59, -2
	v_add_u32_e32 v231, 0x8400, v108
	s_mov_b32 s60, 0xc1a00000
	v_lshlrev_b64 v[86:87], 2, v[88:89]
	v_lshlrev_b64 v[88:89], 2, v[90:91]
	;; [unrolled: 1-line block ×8, first 2 shown]
	s_mov_b32 s61, 0x5040100
	v_add_u32_e32 v232, v109, v174
	v_add_u32_e32 v233, v110, v174
	;; [unrolled: 1-line block ×15, first 2 shown]
	v_mov_b32_e32 v247, 0x7f800000
	v_mov_b32_e32 v117, 0
	;; [unrolled: 1-line block ×34, first 2 shown]
	s_andn2_b64 vcc, exec, s[44:45]
	s_ashr_i32 s49, s48, 31
	s_cbranch_vccnz .LBB30_501
.LBB30_496:
                                        ; implicit-def: $sgpr62
	s_and_saveexec_b64 s[50:51], s[4:5]
	s_xor_b64 s[50:51], exec, s[50:51]
	s_cbranch_execz .LBB30_498
; %bb.497:
	v_accvgpr_read_b32 v32, a30
	ds_write_b16 v32, v132 offset:33792
	v_accvgpr_read_b32 v32, a31
	ds_write_b16 v32, v132 offset:33792
	;; [unrolled: 2-line block ×3, first 2 shown]
	ds_write_b16 v32, v132 offset:33792
	s_mov_b32 s62, 0
.LBB30_498:
	s_or_saveexec_b64 s[50:51], s[50:51]
	v_mov_b32_e32 v32, s62
	v_mov_b32_e32 v33, s62
	;; [unrolled: 1-line block ×4, first 2 shown]
	s_xor_b64 exec, exec, s[50:51]
	s_cbranch_execz .LBB30_500
; %bb.499:
	s_lshl_b64 s[62:63], s[48:49], 1
	v_add_co_u32_e32 v36, vcc, s62, v133
	v_mov_b32_e32 v32, s63
	v_addc_co_u32_e32 v37, vcc, v134, v32, vcc
	v_add_co_u32_e32 v32, vcc, v36, v52
	v_addc_co_u32_e32 v33, vcc, v37, v53, vcc
	flat_load_ushort v34, v[32:33]
	v_add_co_u32_e32 v32, vcc, v36, v54
	v_addc_co_u32_e32 v33, vcc, v37, v55, vcc
	flat_load_ushort v35, v[32:33]
	;; [unrolled: 3-line block ×4, first 2 shown]
	v_accvgpr_read_b32 v33, a30
	s_waitcnt vmcnt(0) lgkmcnt(0)
	ds_write_b16 v135, v34 offset:33792
	ds_write_b16 v33, v35 offset:33792
	v_accvgpr_read_b32 v33, a31
	ds_write_b16 v33, v38 offset:33792
	v_accvgpr_read_b32 v33, a32
	ds_write_b16 v33, v32 offset:33792
	v_add_co_u32_e32 v32, vcc, v36, v60
	v_addc_co_u32_e32 v33, vcc, v37, v61, vcc
	v_add_co_u32_e32 v34, vcc, v36, v62
	v_addc_co_u32_e32 v35, vcc, v37, v63, vcc
	flat_load_ushort v32, v[32:33]
	s_nop 0
	flat_load_ushort v33, v[34:35]
	v_add_co_u32_e32 v34, vcc, v36, v66
	v_addc_co_u32_e32 v35, vcc, v37, v67, vcc
	v_add_co_u32_e32 v36, vcc, v36, v68
	v_addc_co_u32_e32 v37, vcc, v37, v69, vcc
	flat_load_ushort v34, v[34:35]
	s_nop 0
	flat_load_ushort v35, v[36:37]
.LBB30_500:
	s_or_b64 exec, exec, s[50:51]
	v_accvgpr_read_b32 v36, a33
	s_waitcnt vmcnt(0) lgkmcnt(0)
	ds_write_b16 v36, v32 offset:33792
	ds_write_b16 v122, v33 offset:33792
	;; [unrolled: 1-line block ×4, first 2 shown]
.LBB30_501:                             ; =>This Inner Loop Header: Depth=1
	s_mul_hi_i32 s51, s48, s86
	s_mul_i32 s50, s48, s86
	s_lshl_b64 s[50:51], s[50:51], 2
	s_add_u32 s50, s8, s50
	s_addc_u32 s49, s9, s51
	v_add_co_u32_e32 v32, vcc, s50, v70
	v_mov_b32_e32 v33, s49
	v_addc_co_u32_e32 v33, vcc, v33, v71, vcc
	v_add_co_u32_e32 v32, vcc, v32, v226
	v_addc_co_u32_e32 v33, vcc, 0, v33, vcc
	v_mov_b32_e32 v36, s47
	v_mov_b32_e32 v37, s46
	buffer_store_dword v132, off, s[0:3], 0
	buffer_store_dword v132, off, s[0:3], 0 offset:4
	buffer_store_dword v132, off, s[0:3], 0 offset:8
	;; [unrolled: 1-line block ×3, first 2 shown]
	v_cndmask_b32_e64 v33, v36, v33, s[6:7]
	v_cndmask_b32_e64 v32, v37, v32, s[6:7]
	flat_load_dwordx4 v[32:35], v[32:33]
                                        ; implicit-def: $vgpr44
	s_waitcnt vmcnt(0) lgkmcnt(0)
	ds_write_b128 v145, v[32:35]
	v_add_co_u32_e32 v32, vcc, s50, v72
	v_mov_b32_e32 v33, s49
	v_addc_co_u32_e32 v33, vcc, v33, v73, vcc
	v_add_co_u32_e32 v32, vcc, v32, v226
	v_addc_co_u32_e32 v33, vcc, 0, v33, vcc
	v_cndmask_b32_e64 v33, v36, v33, s[40:41]
	v_cndmask_b32_e64 v32, v37, v32, s[40:41]
	flat_load_dwordx4 v[32:35], v[32:33]
	s_waitcnt vmcnt(0) lgkmcnt(0)
	ds_write_b128 v146, v[32:35]
	v_add_co_u32_e32 v32, vcc, s50, v74
	v_mov_b32_e32 v33, s49
	v_addc_co_u32_e32 v33, vcc, v33, v75, vcc
	v_add_co_u32_e32 v32, vcc, v32, v226
	v_addc_co_u32_e32 v33, vcc, 0, v33, vcc
	v_cndmask_b32_e64 v33, v36, v33, s[10:11]
	v_cndmask_b32_e64 v32, v37, v32, s[10:11]
	flat_load_dwordx4 v[32:35], v[32:33]
	;; [unrolled: 10-line block ×7, first 2 shown]
	v_add_u32_e32 v36, 0x4000, v227
	s_waitcnt vmcnt(0) lgkmcnt(0)
	ds_write_b128 v152, v[32:35]
	s_waitcnt lgkmcnt(0)
	s_barrier
	ds_read2_b64 v[32:35], v227 offset1:4
	s_waitcnt lgkmcnt(0)
	v_mfma_f32_16x16x16f16 a[0:3], v[32:33], v[28:29], 0
	v_mfma_f32_16x16x16f16 a[0:3], v[34:35], v[30:31], a[0:3]
	ds_read2_b64 v[32:35], v227 offset0:8 offset1:12
	s_waitcnt lgkmcnt(0)
	v_mfma_f32_16x16x16f16 a[0:3], v[32:33], v[24:25], a[0:3]
	v_mfma_f32_16x16x16f16 a[0:3], v[34:35], v[26:27], a[0:3]
	ds_read2_b64 v[32:35], v227 offset0:16 offset1:20
	s_waitcnt lgkmcnt(0)
	v_mfma_f32_16x16x16f16 a[0:3], v[32:33], v[20:21], a[0:3]
	v_mfma_f32_16x16x16f16 a[0:3], v[34:35], v[22:23], a[0:3]
	ds_read2_b64 v[32:35], v227 offset0:24 offset1:28
	s_waitcnt lgkmcnt(0)
	v_mfma_f32_16x16x16f16 a[0:3], v[32:33], v[16:17], a[0:3]
	v_mfma_f32_16x16x16f16 a[0:3], v[34:35], v[18:19], a[0:3]
	ds_read2_b64 v[32:35], v227 offset0:32 offset1:36
	s_waitcnt lgkmcnt(0)
	v_mfma_f32_16x16x16f16 a[0:3], v[32:33], v[12:13], a[0:3]
	v_mfma_f32_16x16x16f16 a[0:3], v[34:35], v[14:15], a[0:3]
	ds_read2_b64 v[32:35], v227 offset0:40 offset1:44
	s_waitcnt lgkmcnt(0)
	v_mfma_f32_16x16x16f16 a[0:3], v[32:33], v[8:9], a[0:3]
	v_mfma_f32_16x16x16f16 a[0:3], v[34:35], v[10:11], a[0:3]
	ds_read2_b64 v[32:35], v227 offset0:48 offset1:52
	s_waitcnt lgkmcnt(0)
	v_mfma_f32_16x16x16f16 a[0:3], v[32:33], v[4:5], a[0:3]
	v_mfma_f32_16x16x16f16 a[0:3], v[34:35], v[6:7], a[0:3]
	ds_read2_b64 v[32:35], v227 offset0:56 offset1:60
	s_waitcnt lgkmcnt(0)
	v_mfma_f32_16x16x16f16 a[0:3], v[32:33], v[0:1], a[0:3]
	v_mfma_f32_16x16x16f16 a[0:3], v[34:35], v[2:3], a[0:3]
	ds_read2_b64 v[32:35], v36 offset0:64 offset1:68
	s_waitcnt lgkmcnt(0)
	v_mfma_f32_16x16x16f16 a[4:7], v[32:33], v[28:29], 0
	s_nop 7
	v_accvgpr_read_b32 v43, a0
	v_cmp_nlt_f32_e64 s[50:51], |v43|, s54
	v_mfma_f32_16x16x16f16 a[4:7], v[34:35], v[30:31], a[4:7]
	ds_read2_b64 v[32:35], v36 offset0:72 offset1:76
	s_waitcnt lgkmcnt(0)
	v_mfma_f32_16x16x16f16 a[4:7], v[32:33], v[24:25], a[4:7]
	v_mfma_f32_16x16x16f16 a[4:7], v[34:35], v[26:27], a[4:7]
	ds_read2_b64 v[32:35], v36 offset0:80 offset1:84
	s_waitcnt lgkmcnt(0)
	v_mfma_f32_16x16x16f16 a[4:7], v[32:33], v[20:21], a[4:7]
	;; [unrolled: 4-line block ×6, first 2 shown]
	v_mfma_f32_16x16x16f16 a[4:7], v[34:35], v[6:7], a[4:7]
	ds_read2_b64 v[32:35], v36 offset0:120 offset1:124
	s_waitcnt lgkmcnt(0)
	s_barrier
	v_mfma_f32_16x16x16f16 a[4:7], v[32:33], v[0:1], a[4:7]
	v_mfma_f32_16x16x16f16 a[4:7], v[34:35], v[2:3], a[4:7]
	s_and_saveexec_b64 s[62:63], s[50:51]
	s_xor_b64 s[50:51], exec, s[62:63]
	s_cbranch_execz .LBB30_503
; %bb.502:                              ;   in Loop: Header=BB30_501 Depth=1
	v_add_f32_e64 v32, |v43|, |v43|
	v_mul_f32_e32 v33, 0x3fb8aa3b, v32
	v_rndne_f32_e32 v34, v33
	v_sub_f32_e32 v35, v33, v34
	v_fma_f32 v33, v32, s55, -v33
	v_fmac_f32_e32 v33, 0x32a5705f, v32
	v_add_f32_e32 v33, v35, v33
	v_cvt_i32_f32_e32 v34, v34
	v_exp_f32_e32 v33, v33
	v_cmp_ngt_f32_e32 vcc, s57, v32
	v_ldexp_f32 v33, v33, v34
	v_cndmask_b32_e32 v33, 0, v33, vcc
	v_cmp_nlt_f32_e32 vcc, s58, v32
	v_cndmask_b32_e32 v32, v247, v33, vcc
	v_add_f32_e32 v32, 1.0, v32
	v_rcp_f32_e32 v32, v32
	v_fma_f32 v44, v32, -2.0, 1.0
.LBB30_503:                             ;   in Loop: Header=BB30_501 Depth=1
	s_andn2_saveexec_b64 s[50:51], s[50:51]
; %bb.504:                              ;   in Loop: Header=BB30_501 Depth=1
	v_mul_f32_e32 v32, v43, v43
	v_mov_b32_e32 v33, 0x3ca908c9
	v_fmac_f32_e32 v33, 0xbbbac73d, v32
	v_fma_f32 v33, v32, v33, v228
	v_fma_f32 v33, v32, v33, v229
	;; [unrolled: 1-line block ×3, first 2 shown]
	v_mul_f32_e64 v33, |v43|, v33
	v_fma_f32 v44, v32, v33, |v43|
; %bb.505:                              ;   in Loop: Header=BB30_501 Depth=1
	s_or_b64 exec, exec, s[50:51]
	v_accvgpr_read_b32 v35, a3
	v_accvgpr_read_b32 v33, a1
	;; [unrolled: 1-line block ×4, first 2 shown]
	v_cmp_nlt_f32_e64 s[50:51], |v33|, s54
                                        ; implicit-def: $vgpr32
	s_and_saveexec_b64 s[62:63], s[50:51]
	s_xor_b64 s[50:51], exec, s[62:63]
	s_cbranch_execz .LBB30_507
; %bb.506:                              ;   in Loop: Header=BB30_501 Depth=1
	v_add_f32_e64 v32, |v33|, |v33|
	v_mul_f32_e32 v36, 0x3fb8aa3b, v32
	v_rndne_f32_e32 v37, v36
	v_sub_f32_e32 v38, v36, v37
	v_fma_f32 v36, v32, s55, -v36
	v_fmac_f32_e32 v36, 0x32a5705f, v32
	v_add_f32_e32 v36, v38, v36
	v_cvt_i32_f32_e32 v37, v37
	v_exp_f32_e32 v36, v36
	v_cmp_ngt_f32_e32 vcc, s57, v32
	v_ldexp_f32 v36, v36, v37
	v_cndmask_b32_e32 v36, 0, v36, vcc
	v_cmp_nlt_f32_e32 vcc, s58, v32
	v_cndmask_b32_e32 v32, v247, v36, vcc
	v_add_f32_e32 v32, 1.0, v32
	v_rcp_f32_e32 v32, v32
	v_fma_f32 v32, v32, -2.0, 1.0
.LBB30_507:                             ;   in Loop: Header=BB30_501 Depth=1
	s_andn2_saveexec_b64 s[50:51], s[50:51]
; %bb.508:                              ;   in Loop: Header=BB30_501 Depth=1
	v_mul_f32_e32 v32, v33, v33
	v_mov_b32_e32 v36, 0x3ca908c9
	v_fmac_f32_e32 v36, 0xbbbac73d, v32
	v_fma_f32 v36, v32, v36, v228
	v_fma_f32 v36, v32, v36, v229
	;; [unrolled: 1-line block ×3, first 2 shown]
	v_mul_f32_e64 v36, |v33|, v36
	v_fma_f32 v32, v32, v36, |v33|
; %bb.509:                              ;   in Loop: Header=BB30_501 Depth=1
	s_or_b64 exec, exec, s[50:51]
	v_cmp_nlt_f32_e64 s[50:51], |v34|, s54
                                        ; implicit-def: $vgpr46
	s_and_saveexec_b64 s[62:63], s[50:51]
	s_xor_b64 s[50:51], exec, s[62:63]
	s_cbranch_execz .LBB30_511
; %bb.510:                              ;   in Loop: Header=BB30_501 Depth=1
	v_add_f32_e64 v36, |v34|, |v34|
	v_mul_f32_e32 v37, 0x3fb8aa3b, v36
	v_rndne_f32_e32 v38, v37
	v_sub_f32_e32 v39, v37, v38
	v_fma_f32 v37, v36, s55, -v37
	v_fmac_f32_e32 v37, 0x32a5705f, v36
	v_add_f32_e32 v37, v39, v37
	v_cvt_i32_f32_e32 v38, v38
	v_exp_f32_e32 v37, v37
	v_cmp_ngt_f32_e32 vcc, s57, v36
	v_ldexp_f32 v37, v37, v38
	v_cndmask_b32_e32 v37, 0, v37, vcc
	v_cmp_nlt_f32_e32 vcc, s58, v36
	v_cndmask_b32_e32 v36, v247, v37, vcc
	v_add_f32_e32 v36, 1.0, v36
	v_rcp_f32_e32 v36, v36
	v_fma_f32 v46, v36, -2.0, 1.0
.LBB30_511:                             ;   in Loop: Header=BB30_501 Depth=1
	s_andn2_saveexec_b64 s[50:51], s[50:51]
; %bb.512:                              ;   in Loop: Header=BB30_501 Depth=1
	v_mul_f32_e32 v36, v34, v34
	v_mov_b32_e32 v37, 0x3ca908c9
	v_fmac_f32_e32 v37, 0xbbbac73d, v36
	v_fma_f32 v37, v36, v37, v228
	v_fma_f32 v37, v36, v37, v229
	;; [unrolled: 1-line block ×3, first 2 shown]
	v_mul_f32_e64 v37, |v34|, v37
	v_fma_f32 v46, v36, v37, |v34|
; %bb.513:                              ;   in Loop: Header=BB30_501 Depth=1
	s_or_b64 exec, exec, s[50:51]
	v_cmp_nlt_f32_e64 s[50:51], |v35|, s54
                                        ; implicit-def: $vgpr47
	s_and_saveexec_b64 s[62:63], s[50:51]
	s_xor_b64 s[50:51], exec, s[62:63]
	s_cbranch_execz .LBB30_515
; %bb.514:                              ;   in Loop: Header=BB30_501 Depth=1
	v_add_f32_e64 v36, |v35|, |v35|
	v_mul_f32_e32 v37, 0x3fb8aa3b, v36
	v_rndne_f32_e32 v38, v37
	v_sub_f32_e32 v39, v37, v38
	v_fma_f32 v37, v36, s55, -v37
	v_fmac_f32_e32 v37, 0x32a5705f, v36
	v_add_f32_e32 v37, v39, v37
	v_cvt_i32_f32_e32 v38, v38
	v_exp_f32_e32 v37, v37
	v_cmp_ngt_f32_e32 vcc, s57, v36
	v_ldexp_f32 v37, v37, v38
	v_cndmask_b32_e32 v37, 0, v37, vcc
	v_cmp_nlt_f32_e32 vcc, s58, v36
	v_cndmask_b32_e32 v36, v247, v37, vcc
	v_add_f32_e32 v36, 1.0, v36
	v_rcp_f32_e32 v36, v36
	v_fma_f32 v47, v36, -2.0, 1.0
.LBB30_515:                             ;   in Loop: Header=BB30_501 Depth=1
	s_andn2_saveexec_b64 s[50:51], s[50:51]
; %bb.516:                              ;   in Loop: Header=BB30_501 Depth=1
	v_mul_f32_e32 v36, v35, v35
	v_mov_b32_e32 v37, 0x3ca908c9
	v_fmac_f32_e32 v37, 0xbbbac73d, v36
	v_fma_f32 v37, v36, v37, v228
	v_fma_f32 v37, v36, v37, v229
	;; [unrolled: 1-line block ×3, first 2 shown]
	v_mul_f32_e64 v37, |v35|, v37
	v_fma_f32 v47, v36, v37, |v35|
; %bb.517:                              ;   in Loop: Header=BB30_501 Depth=1
	s_or_b64 exec, exec, s[50:51]
	v_accvgpr_read_b32 v39, a7
	v_accvgpr_read_b32 v36, a4
	;; [unrolled: 1-line block ×4, first 2 shown]
	v_cmp_nlt_f32_e64 s[50:51], |v36|, s54
                                        ; implicit-def: $vgpr40
	s_and_saveexec_b64 s[62:63], s[50:51]
	s_xor_b64 s[50:51], exec, s[62:63]
	s_cbranch_execz .LBB30_519
; %bb.518:                              ;   in Loop: Header=BB30_501 Depth=1
	v_add_f32_e64 v40, |v36|, |v36|
	v_mul_f32_e32 v41, 0x3fb8aa3b, v40
	v_rndne_f32_e32 v42, v41
	v_sub_f32_e32 v45, v41, v42
	v_fma_f32 v41, v40, s55, -v41
	v_fmac_f32_e32 v41, 0x32a5705f, v40
	v_add_f32_e32 v41, v45, v41
	v_cvt_i32_f32_e32 v42, v42
	v_exp_f32_e32 v41, v41
	v_cmp_ngt_f32_e32 vcc, s57, v40
	v_ldexp_f32 v41, v41, v42
	v_cndmask_b32_e32 v41, 0, v41, vcc
	v_cmp_nlt_f32_e32 vcc, s58, v40
	v_cndmask_b32_e32 v40, v247, v41, vcc
	v_add_f32_e32 v40, 1.0, v40
	v_rcp_f32_e32 v40, v40
	v_fma_f32 v40, v40, -2.0, 1.0
.LBB30_519:                             ;   in Loop: Header=BB30_501 Depth=1
	s_andn2_saveexec_b64 s[50:51], s[50:51]
; %bb.520:                              ;   in Loop: Header=BB30_501 Depth=1
	v_mul_f32_e32 v40, v36, v36
	v_mov_b32_e32 v41, 0x3ca908c9
	v_fmac_f32_e32 v41, 0xbbbac73d, v40
	v_fma_f32 v41, v40, v41, v228
	v_fma_f32 v41, v40, v41, v229
	;; [unrolled: 1-line block ×3, first 2 shown]
	v_mul_f32_e64 v41, |v36|, v41
	v_fma_f32 v40, v40, v41, |v36|
; %bb.521:                              ;   in Loop: Header=BB30_501 Depth=1
	s_or_b64 exec, exec, s[50:51]
	v_cmp_nlt_f32_e64 s[50:51], |v37|, s54
                                        ; implicit-def: $vgpr41
	s_and_saveexec_b64 s[62:63], s[50:51]
	s_xor_b64 s[50:51], exec, s[62:63]
	s_cbranch_execz .LBB30_523
; %bb.522:                              ;   in Loop: Header=BB30_501 Depth=1
	v_add_f32_e64 v41, |v37|, |v37|
	v_mul_f32_e32 v42, 0x3fb8aa3b, v41
	v_rndne_f32_e32 v45, v42
	v_sub_f32_e32 v49, v42, v45
	v_fma_f32 v42, v41, s55, -v42
	v_fmac_f32_e32 v42, 0x32a5705f, v41
	v_add_f32_e32 v42, v49, v42
	v_cvt_i32_f32_e32 v45, v45
	v_exp_f32_e32 v42, v42
	v_cmp_ngt_f32_e32 vcc, s57, v41
	v_ldexp_f32 v42, v42, v45
	v_cndmask_b32_e32 v42, 0, v42, vcc
	v_cmp_nlt_f32_e32 vcc, s58, v41
	v_cndmask_b32_e32 v41, v247, v42, vcc
	v_add_f32_e32 v41, 1.0, v41
	v_rcp_f32_e32 v41, v41
	v_fma_f32 v41, v41, -2.0, 1.0
.LBB30_523:                             ;   in Loop: Header=BB30_501 Depth=1
	s_andn2_saveexec_b64 s[50:51], s[50:51]
; %bb.524:                              ;   in Loop: Header=BB30_501 Depth=1
	v_mul_f32_e32 v41, v37, v37
	v_mov_b32_e32 v42, 0x3ca908c9
	v_fmac_f32_e32 v42, 0xbbbac73d, v41
	v_fma_f32 v42, v41, v42, v228
	v_fma_f32 v42, v41, v42, v229
	;; [unrolled: 1-line block ×3, first 2 shown]
	v_mul_f32_e64 v42, |v37|, v42
	v_fma_f32 v41, v41, v42, |v37|
; %bb.525:                              ;   in Loop: Header=BB30_501 Depth=1
	s_or_b64 exec, exec, s[50:51]
	v_cmp_nlt_f32_e64 s[50:51], |v38|, s54
                                        ; implicit-def: $vgpr42
	s_and_saveexec_b64 s[62:63], s[50:51]
	s_xor_b64 s[50:51], exec, s[62:63]
	s_cbranch_execz .LBB30_527
; %bb.526:                              ;   in Loop: Header=BB30_501 Depth=1
	v_add_f32_e64 v42, |v38|, |v38|
	v_mul_f32_e32 v45, 0x3fb8aa3b, v42
	v_rndne_f32_e32 v49, v45
	v_sub_f32_e32 v118, v45, v49
	v_fma_f32 v45, v42, s55, -v45
	v_fmac_f32_e32 v45, 0x32a5705f, v42
	v_add_f32_e32 v45, v118, v45
	v_cvt_i32_f32_e32 v49, v49
	v_exp_f32_e32 v45, v45
	v_cmp_ngt_f32_e32 vcc, s57, v42
	v_ldexp_f32 v45, v45, v49
	v_cndmask_b32_e32 v45, 0, v45, vcc
	v_cmp_nlt_f32_e32 vcc, s58, v42
	v_cndmask_b32_e32 v42, v247, v45, vcc
	v_add_f32_e32 v42, 1.0, v42
	v_rcp_f32_e32 v42, v42
	v_fma_f32 v42, v42, -2.0, 1.0
.LBB30_527:                             ;   in Loop: Header=BB30_501 Depth=1
	s_andn2_saveexec_b64 s[50:51], s[50:51]
; %bb.528:                              ;   in Loop: Header=BB30_501 Depth=1
	v_mul_f32_e32 v42, v38, v38
	v_mov_b32_e32 v45, 0x3ca908c9
	v_fmac_f32_e32 v45, 0xbbbac73d, v42
	v_fma_f32 v45, v42, v45, v228
	v_fma_f32 v45, v42, v45, v229
	;; [unrolled: 1-line block ×3, first 2 shown]
	v_mul_f32_e64 v45, |v38|, v45
	v_fma_f32 v42, v42, v45, |v38|
; %bb.529:                              ;   in Loop: Header=BB30_501 Depth=1
	s_or_b64 exec, exec, s[50:51]
	v_cmp_nlt_f32_e64 s[50:51], |v39|, s54
                                        ; implicit-def: $vgpr49
	s_and_saveexec_b64 s[62:63], s[50:51]
	s_xor_b64 s[50:51], exec, s[62:63]
	s_cbranch_execz .LBB30_531
; %bb.530:                              ;   in Loop: Header=BB30_501 Depth=1
	v_add_f32_e64 v45, |v39|, |v39|
	v_mul_f32_e32 v49, 0x3fb8aa3b, v45
	v_rndne_f32_e32 v118, v49
	v_sub_f32_e32 v119, v49, v118
	v_fma_f32 v49, v45, s55, -v49
	v_fmac_f32_e32 v49, 0x32a5705f, v45
	v_add_f32_e32 v49, v119, v49
	v_cvt_i32_f32_e32 v118, v118
	v_exp_f32_e32 v49, v49
	v_cmp_ngt_f32_e32 vcc, s57, v45
	v_ldexp_f32 v49, v49, v118
	v_cndmask_b32_e32 v49, 0, v49, vcc
	v_cmp_nlt_f32_e32 vcc, s58, v45
	v_cndmask_b32_e32 v45, v247, v49, vcc
	v_add_f32_e32 v45, 1.0, v45
	v_rcp_f32_e32 v45, v45
	v_fma_f32 v49, v45, -2.0, 1.0
.LBB30_531:                             ;   in Loop: Header=BB30_501 Depth=1
	s_andn2_saveexec_b64 s[50:51], s[50:51]
; %bb.532:                              ;   in Loop: Header=BB30_501 Depth=1
	v_mul_f32_e32 v45, v39, v39
	v_mov_b32_e32 v49, 0x3ca908c9
	v_fmac_f32_e32 v49, 0xbbbac73d, v45
	v_fma_f32 v49, v45, v49, v228
	v_fma_f32 v49, v45, v49, v229
	;; [unrolled: 1-line block ×3, first 2 shown]
	v_mul_f32_e64 v49, |v39|, v49
	v_fma_f32 v49, v45, v49, |v39|
; %bb.533:                              ;   in Loop: Header=BB30_501 Depth=1
	s_or_b64 exec, exec, s[50:51]
	v_bfi_b32 v36, s59, v40, v36
	v_bfi_b32 v32, s59, v32, v33
	v_mul_f32_e32 v40, s97, v36
	v_bfi_b32 v36, s59, v41, v37
	v_mul_f32_e32 v45, s97, v32
	v_bfi_b32 v32, s59, v46, v34
	v_mul_f32_e32 v41, s97, v36
	v_bfi_b32 v36, s59, v42, v38
	v_mul_f32_e32 v46, s97, v32
	v_bfi_b32 v32, s59, v47, v35
	v_mul_f32_e32 v42, s97, v36
	v_bfi_b32 v36, s59, v44, v43
	v_mul_f32_e32 v47, s97, v32
	v_bfi_b32 v32, s59, v49, v39
	v_mul_f32_e32 v44, s97, v36
	v_mul_f32_e32 v43, s97, v32
	s_and_b64 vcc, exec, s[44:45]
	s_cbranch_vccz .LBB30_538
; %bb.534:                              ;   in Loop: Header=BB30_501 Depth=1
	ds_read2_b32 v[32:33], v231 offset1:1
	ds_read_b32 v36, v153 offset:33792
	ds_read_b32 v37, v154 offset:33792
	v_mov_b32_e32 v49, v48
	s_waitcnt lgkmcnt(2)
	v_cvt_f32_f16_e32 v34, v32
	v_cvt_f32_f16_sdwa v35, v32 dst_sel:DWORD dst_unused:UNUSED_PAD src0_sel:WORD_1
	v_cvt_f32_f16_e32 v32, v33
	v_cvt_f32_f16_sdwa v33, v33 dst_sel:DWORD dst_unused:UNUSED_PAD src0_sel:WORD_1
	s_waitcnt lgkmcnt(1)
	v_cvt_f32_f16_sdwa v137, v36 dst_sel:DWORD dst_unused:UNUSED_PAD src0_sel:WORD_1
	s_waitcnt lgkmcnt(0)
	v_cvt_f32_f16_sdwa v139, v37 dst_sel:DWORD dst_unused:UNUSED_PAD src0_sel:WORD_1
	v_cvt_f32_f16_e32 v138, v37
	v_cvt_f32_f16_e32 v136, v36
	v_pk_fma_f32 v[38:39], v[48:49], v[32:33], v[46:47]
	v_pk_fma_f32 v[36:37], v[50:51], v[34:35], v[44:45]
	;; [unrolled: 1-line block ×4, first 2 shown]
	s_cbranch_execnz .LBB30_536
.LBB30_535:                             ;   in Loop: Header=BB30_501 Depth=1
	v_pk_mov_b32 v[32:33], v[40:41], v[40:41] op_sel:[0,1]
	v_pk_mov_b32 v[36:37], v[44:45], v[44:45] op_sel:[0,1]
	;; [unrolled: 1-line block ×4, first 2 shown]
.LBB30_536:                             ;   in Loop: Header=BB30_501 Depth=1
	v_add_f32_e32 v40, 0x40051340, v36
	v_max_f32_e32 v41, v116, v116
	v_max_f32_e32 v40, v41, v40
	v_cndmask_b32_e64 v40, v116, v40, s[22:23]
	v_add_f32_e32 v41, 0x40051340, v37
	v_max_f32_e32 v42, v40, v40
	v_max_f32_e32 v41, v42, v41
	v_cndmask_b32_e64 v40, v40, v41, s[24:25]
	;; [unrolled: 4-line block ×8, first 2 shown]
	ds_bpermute_b32 v41, v143, v40
	v_max_f32_e32 v40, v40, v40
	v_cndmask_b32_e64 v38, v38, v38, s[24:25]
	v_cndmask_b32_e64 v39, v39, v39, s[24:25]
	;; [unrolled: 1-line block ×3, first 2 shown]
	s_waitcnt lgkmcnt(0)
	v_max_f32_e32 v41, v41, v41
	v_max_f32_e32 v40, v40, v41
	ds_bpermute_b32 v41, v144, v40
	v_cndmask_b32_e64 v34, v34, v34, s[30:31]
	v_cndmask_b32_e64 v35, v35, v35, s[30:31]
	s_mul_hi_i32 s51, s48, s82
	s_mul_i32 s50, s48, s82
	s_waitcnt lgkmcnt(0)
	v_max_f32_e32 v41, v41, v41
	v_max_f32_e32 v47, v40, v41
	v_sub_f32_e32 v36, v36, v47
	v_mul_f32_e32 v40, 0x3fb8aa3b, v36
	v_fma_f32 v41, v36, s55, -v40
	v_rndne_f32_e32 v42, v40
	v_fmac_f32_e32 v41, 0x32a5705f, v36
	v_sub_f32_e32 v40, v40, v42
	v_add_f32_e32 v40, v40, v41
	v_exp_f32_e32 v40, v40
	v_cvt_i32_f32_e32 v41, v42
	v_cmp_ngt_f32_e32 vcc, s57, v36
	v_sub_f32_e32 v37, v37, v47
	v_sub_f32_e32 v38, v38, v47
	v_ldexp_f32 v40, v40, v41
	v_cndmask_b32_e32 v40, 0, v40, vcc
	v_cmp_nlt_f32_e32 vcc, s58, v36
	v_cndmask_b32_e32 v36, v247, v40, vcc
	v_mul_f32_e32 v40, 0x3fb8aa3b, v37
	v_fma_f32 v41, v37, s55, -v40
	v_rndne_f32_e32 v42, v40
	v_fmac_f32_e32 v41, 0x32a5705f, v37
	v_sub_f32_e32 v40, v40, v42
	v_add_f32_e32 v40, v40, v41
	v_exp_f32_e32 v40, v40
	v_cvt_i32_f32_e32 v41, v42
	v_cmp_ngt_f32_e32 vcc, s57, v37
	v_cndmask_b32_e64 v36, 0, v36, s[22:23]
	v_sub_f32_e32 v32, v32, v47
	v_ldexp_f32 v40, v40, v41
	v_cndmask_b32_e32 v40, 0, v40, vcc
	v_cmp_nlt_f32_e32 vcc, s58, v37
	v_cndmask_b32_e32 v40, v247, v40, vcc
	v_add_f32_e32 v41, v40, v36
	v_mov_b32_e32 v37, s53
	v_cndmask_b32_e64 v40, v37, v40, s[24:25]
	v_cndmask_b32_e64 v37, v36, v41, s[24:25]
	v_mul_f32_e32 v41, 0x3fb8aa3b, v38
	v_fma_f32 v42, v38, s55, -v41
	v_rndne_f32_e32 v43, v41
	v_fmac_f32_e32 v42, 0x32a5705f, v38
	v_sub_f32_e32 v41, v41, v43
	v_add_f32_e32 v41, v41, v42
	v_exp_f32_e32 v41, v41
	v_cvt_i32_f32_e32 v42, v43
	v_cmp_ngt_f32_e32 vcc, s57, v38
	v_sub_f32_e32 v33, v33, v47
	s_lshl_b64 s[50:51], s[50:51], 2
	v_ldexp_f32 v41, v41, v42
	v_cndmask_b32_e32 v41, 0, v41, vcc
	v_cmp_nlt_f32_e32 vcc, s58, v38
	v_cndmask_b32_e32 v41, v247, v41, vcc
	v_add_f32_e32 v42, v37, v41
	v_mov_b32_e32 v38, s53
	v_cndmask_b32_e64 v38, v38, v41, s[26:27]
	v_cndmask_b32_e64 v41, v37, v42, s[26:27]
	v_sub_f32_e32 v37, v39, v47
	v_mul_f32_e32 v39, 0x3fb8aa3b, v37
	v_fma_f32 v42, v37, s55, -v39
	v_rndne_f32_e32 v43, v39
	v_fmac_f32_e32 v42, 0x32a5705f, v37
	v_sub_f32_e32 v39, v39, v43
	v_add_f32_e32 v39, v39, v42
	v_exp_f32_e32 v39, v39
	v_cvt_i32_f32_e32 v42, v43
	v_cmp_ngt_f32_e32 vcc, s57, v37
	s_add_u32 s49, s33, s50
	s_addc_u32 s50, s52, s51
	v_ldexp_f32 v39, v39, v42
	v_cndmask_b32_e32 v39, 0, v39, vcc
	v_cmp_nlt_f32_e32 vcc, s58, v37
	v_cndmask_b32_e32 v39, v247, v39, vcc
	v_add_f32_e32 v42, v41, v39
	v_mov_b32_e32 v37, s53
	v_cndmask_b32_e64 v37, v37, v39, s[28:29]
	v_cndmask_b32_e64 v39, v41, v42, s[28:29]
	v_mul_f32_e32 v41, 0x3fb8aa3b, v32
	v_fma_f32 v42, v32, s55, -v41
	v_rndne_f32_e32 v43, v41
	v_fmac_f32_e32 v42, 0x32a5705f, v32
	v_sub_f32_e32 v41, v41, v43
	v_add_f32_e32 v41, v41, v42
	v_exp_f32_e32 v41, v41
	v_cvt_i32_f32_e32 v42, v43
	v_cmp_ngt_f32_e32 vcc, s57, v32
	buffer_store_dword v132, off, s[0:3], 0
	buffer_store_dword v132, off, s[0:3], 0 offset:4
	buffer_store_dword v132, off, s[0:3], 0 offset:8
	;; [unrolled: 1-line block ×3, first 2 shown]
	s_add_i32 s56, s56, 1
	v_ldexp_f32 v41, v41, v42
	v_cndmask_b32_e32 v41, 0, v41, vcc
	v_cmp_nlt_f32_e32 vcc, s58, v32
	v_cndmask_b32_e32 v41, v247, v41, vcc
	v_add_f32_e32 v42, v41, v39
	v_mov_b32_e32 v32, s53
	v_cndmask_b32_e64 v41, v32, v41, s[30:31]
	v_cndmask_b32_e64 v32, v39, v42, s[30:31]
	v_mul_f32_e32 v39, 0x3fb8aa3b, v33
	v_fma_f32 v42, v33, s55, -v39
	v_rndne_f32_e32 v43, v39
	v_fmac_f32_e32 v42, 0x32a5705f, v33
	v_sub_f32_e32 v39, v39, v43
	v_add_f32_e32 v39, v39, v42
	v_exp_f32_e32 v39, v39
	v_cvt_i32_f32_e32 v42, v43
	v_cmp_ngt_f32_e32 vcc, s57, v33
	s_add_i32 s48, s48, 64
	v_ldexp_f32 v39, v39, v42
	v_cndmask_b32_e32 v39, 0, v39, vcc
	v_cmp_nlt_f32_e32 vcc, s58, v33
	v_cndmask_b32_e32 v39, v247, v39, vcc
	v_add_f32_e32 v42, v39, v32
	v_mov_b32_e32 v33, s53
	v_cndmask_b32_e64 v39, v33, v39, s[34:35]
	v_cndmask_b32_e64 v33, v32, v42, s[34:35]
	v_sub_f32_e32 v32, v34, v47
	v_mul_f32_e32 v34, 0x3fb8aa3b, v32
	v_fma_f32 v42, v32, s55, -v34
	v_rndne_f32_e32 v43, v34
	v_fmac_f32_e32 v42, 0x32a5705f, v32
	v_sub_f32_e32 v34, v34, v43
	v_add_f32_e32 v34, v34, v42
	v_exp_f32_e32 v34, v34
	v_cvt_i32_f32_e32 v42, v43
	v_cmp_ngt_f32_e32 vcc, s57, v32
	v_ldexp_f32 v34, v34, v42
	v_cndmask_b32_e32 v34, 0, v34, vcc
	v_cmp_nlt_f32_e32 vcc, s58, v32
	v_cndmask_b32_e32 v34, v247, v34, vcc
	v_add_f32_e32 v42, v34, v33
	v_mov_b32_e32 v32, s53
	v_cndmask_b32_e64 v43, v32, v34, s[36:37]
	v_cndmask_b32_e64 v32, v33, v42, s[36:37]
	v_sub_f32_e32 v33, v35, v47
	v_mul_f32_e32 v34, 0x3fb8aa3b, v33
	v_fma_f32 v35, v33, s55, -v34
	v_rndne_f32_e32 v42, v34
	v_fmac_f32_e32 v35, 0x32a5705f, v33
	v_sub_f32_e32 v34, v34, v42
	v_add_f32_e32 v34, v34, v35
	v_exp_f32_e32 v34, v34
	v_cvt_i32_f32_e32 v35, v42
	v_cmp_ngt_f32_e32 vcc, s57, v33
	v_ldexp_f32 v34, v34, v35
	v_cndmask_b32_e32 v34, 0, v34, vcc
	v_cmp_nlt_f32_e32 vcc, s58, v33
	v_cndmask_b32_e32 v34, v247, v34, vcc
	v_add_f32_e32 v35, v34, v32
	v_mov_b32_e32 v33, s53
	v_cndmask_b32_e64 v46, v32, v35, s[38:39]
	v_sub_f32_e32 v32, v116, v47
	v_cndmask_b32_e64 v33, v33, v34, s[38:39]
	v_mul_f32_e32 v34, 0x3fb8aa3b, v32
	v_fma_f32 v35, v32, s55, -v34
	v_rndne_f32_e32 v42, v34
	v_fmac_f32_e32 v35, 0x32a5705f, v32
	v_sub_f32_e32 v34, v34, v42
	v_add_f32_e32 v34, v34, v35
	v_exp_f32_e32 v34, v34
	v_cvt_i32_f32_e32 v35, v42
	v_cmp_ngt_f32_e32 vcc, s57, v32
	v_cvt_f16_f32_e32 v33, v33
	v_mov_b32_e32 v42, s47
	v_ldexp_f32 v34, v34, v35
	v_cndmask_b32_e32 v34, 0, v34, vcc
	v_cmp_nlt_f32_e32 vcc, s58, v32
	v_cndmask_b32_e32 v34, v247, v34, vcc
	v_cmp_le_f32_e32 vcc, s60, v32
	v_cndmask_b32_e32 v32, 0, v34, vcc
	v_fmac_f32_e32 v46, v117, v32
	v_cvt_f16_f32_e32 v32, v32
	v_cvt_f16_f32_e32 v34, v40
	;; [unrolled: 1-line block ×3, first 2 shown]
	v_mov_b32_e32 v37, s50
	v_pk_mul_f16 v111, v32, v111 op_sel_hi:[0,1]
	v_pk_mul_f16 v109, v32, v109 op_sel_hi:[0,1]
	v_pk_mul_f16 v121, v32, v121 op_sel_hi:[0,1]
	v_pk_mul_f16 v116, v32, v120 op_sel_hi:[0,1]
	v_pk_mul_f16 v125, v32, v125 op_sel_hi:[0,1]
	v_pk_mul_f16 v124, v32, v124 op_sel_hi:[0,1]
	v_pk_mul_f16 v127, v32, v127 op_sel_hi:[0,1]
	v_pk_mul_f16 v126, v32, v126 op_sel_hi:[0,1]
	v_pk_mul_f16 v131, v32, v131 op_sel_hi:[0,1]
	v_pk_mul_f16 v130, v32, v130 op_sel_hi:[0,1]
	v_pk_mul_f16 v156, v32, v156 op_sel_hi:[0,1]
	v_pk_mul_f16 v155, v32, v155 op_sel_hi:[0,1]
	v_pk_mul_f16 v225, v32, v225 op_sel_hi:[0,1]
	v_pk_mul_f16 v223, v32, v223 op_sel_hi:[0,1]
	v_pk_mul_f16 v110, v32, v110 op_sel_hi:[0,1]
	v_pk_mul_f16 v102, v32, v102 op_sel_hi:[0,1]
	v_pk_mul_f16 v252, v32, v252 op_sel_hi:[0,1]
	v_pk_mul_f16 v250, v32, v250 op_sel_hi:[0,1]
	v_pk_mul_f16 v249, v32, v249 op_sel_hi:[0,1]
	v_pk_mul_f16 v248, v32, v248 op_sel_hi:[0,1]
	v_pk_mul_f16 v108, v32, v108 op_sel_hi:[0,1]
	v_pk_mul_f16 v107, v32, v107 op_sel_hi:[0,1]
	v_pk_mul_f16 v253, v32, v253 op_sel_hi:[0,1]
	v_pk_mul_f16 v251, v32, v251 op_sel_hi:[0,1]
	v_pk_mul_f16 v128, v32, v128 op_sel_hi:[0,1]
	v_pk_mul_f16 v123, v32, v123 op_sel_hi:[0,1]
	v_pk_mul_f16 v106, v32, v106 op_sel_hi:[0,1]
	v_pk_mul_f16 v103, v32, v103 op_sel_hi:[0,1]
	v_pk_mul_f16 v115, v32, v115 op_sel_hi:[0,1]
	v_pk_mul_f16 v114, v32, v114 op_sel_hi:[0,1]
	v_pk_mul_f16 v112, v32, v112 op_sel_hi:[0,1]
	v_pk_mul_f16 v49, v32, v113 op_sel_hi:[0,1]
	v_cvt_f16_f32_e32 v32, v36
	v_cvt_f16_f32_e32 v36, v39
	v_mov_b32_e32 v113, s46
	v_mov_b32_e32 v39, s50
	v_pack_b32_f16 v34, v32, v34
	v_cvt_f16_f32_e32 v32, v38
	v_mov_b32_e32 v117, s50
	v_pack_b32_f16 v35, v32, v35
	v_cvt_f16_f32_e32 v32, v41
	;; [unrolled: 3-line block ×3, first 2 shown]
	v_pack_b32_f16 v33, v36, v33
	v_add_co_u32_e32 v36, vcc, s49, v86
	v_addc_co_u32_e32 v37, vcc, v37, v87, vcc
	v_add_co_u32_e32 v36, vcc, v36, v226
	v_addc_co_u32_e32 v37, vcc, 0, v37, vcc
	v_cndmask_b32_e64 v137, v42, v37, s[6:7]
	v_cndmask_b32_e64 v136, v113, v36, s[6:7]
	flat_load_dwordx4 v[136:139], v[136:137]
	v_add_co_u32_e32 v36, vcc, s49, v88
	v_mov_b32_e32 v37, s50
	v_addc_co_u32_e32 v37, vcc, v37, v89, vcc
	v_add_co_u32_e32 v36, vcc, v36, v226
	v_addc_co_u32_e32 v37, vcc, 0, v37, vcc
	v_cndmask_b32_e64 v119, v42, v37, s[40:41]
	v_cndmask_b32_e64 v118, v113, v36, s[40:41]
	v_add_co_u32_e32 v36, vcc, s49, v90
	v_mov_b32_e32 v37, s50
	v_addc_co_u32_e32 v37, vcc, v37, v91, vcc
	v_add_co_u32_e32 v36, vcc, v36, v226
	v_addc_co_u32_e32 v37, vcc, 0, v37, vcc
	v_cndmask_b32_e64 v141, v42, v37, s[10:11]
	v_cndmask_b32_e64 v140, v113, v36, s[10:11]
	;; [unrolled: 7-line block ×4, first 2 shown]
	v_add_co_u32_e32 v38, vcc, s49, v96
	v_addc_co_u32_e32 v39, vcc, v39, v97, vcc
	v_add_co_u32_e32 v38, vcc, v38, v226
	v_addc_co_u32_e32 v39, vcc, 0, v39, vcc
	v_cndmask_b32_e64 v39, v42, v39, s[16:17]
	v_cndmask_b32_e64 v38, v113, v38, s[16:17]
	v_add_co_u32_e32 v40, vcc, s49, v98
	v_addc_co_u32_e32 v41, vcc, v41, v99, vcc
	v_add_co_u32_e32 v40, vcc, v40, v226
	v_addc_co_u32_e32 v41, vcc, 0, v41, vcc
	v_cndmask_b32_e64 v41, v42, v41, s[18:19]
	v_cndmask_b32_e64 v40, v113, v40, s[18:19]
	;; [unrolled: 6-line block ×3, first 2 shown]
	v_cmp_lt_i32_e32 vcc, s56, v129
	s_and_b64 vcc, exec, vcc
	s_waitcnt vmcnt(0) lgkmcnt(0)
	ds_write_b128 v145, v[136:139]
	flat_load_dwordx4 v[136:139], v[118:119]
	s_waitcnt vmcnt(0) lgkmcnt(0)
	ds_write_b128 v146, v[136:139]
	flat_load_dwordx4 v[136:139], v[140:141]
	;; [unrolled: 3-line block ×6, first 2 shown]
	v_cvt_f32_f16_e32 v40, v109
	v_cvt_f32_f16_sdwa v41, v109 dst_sel:DWORD dst_unused:UNUSED_PAD src0_sel:WORD_1
	s_waitcnt vmcnt(0) lgkmcnt(0)
	ds_write_b128 v151, v[36:39]
	flat_load_dwordx4 v[36:39], v[42:43]
	s_waitcnt vmcnt(0) lgkmcnt(0)
	ds_write_b128 v152, v[36:39]
	v_add_u32_e32 v36, v157, v174
	s_waitcnt lgkmcnt(0)
	s_barrier
	ds_read_u16 v37, v36 offset:528
	ds_read_u16 v42, v177 offset:1056
	v_add_u32_e32 v36, v157, v175
	ds_read_u16 v43, v36
	ds_read_u16 v44, v36 offset:32
	v_cvt_f32_f16_e32 v38, v111
	v_cvt_f32_f16_sdwa v39, v111 dst_sel:DWORD dst_unused:UNUSED_PAD src0_sel:WORD_1
	s_waitcnt lgkmcnt(1)
	v_perm_b32 v43, v43, v42, s61
	ds_read_u16 v42, v176
	ds_read_u16 v45, v176 offset:32
	v_accvgpr_write_b32 a0, v38
	v_accvgpr_write_b32 a1, v39
	;; [unrolled: 1-line block ×3, first 2 shown]
	s_waitcnt lgkmcnt(1)
	v_perm_b32 v42, v37, v42, s61
	v_accvgpr_write_b32 a3, v41
	s_nop 1
	v_mfma_f32_16x16x16f16 a[0:3], v[42:43], v[34:35], a[0:3]
	ds_read_u16 v42, v176 offset:16896
	s_nop 7
	s_nop 1
	v_accvgpr_read_b32 v38, a1
	v_cvt_f16_f32_e32 v39, v38
	v_accvgpr_read_b32 v38, a2
	v_cvt_f16_f32_e32 v40, v38
	v_accvgpr_read_b32 v38, a3
	v_accvgpr_read_b32 v37, a0
	v_cvt_f16_f32_e32 v41, v38
	v_add_u32_e32 v38, v158, v174
	v_cvt_f16_f32_e32 v37, v37
	ds_read_u16 v109, v38 offset:528
	ds_read_u16 v43, v178 offset:1056
	;; [unrolled: 1-line block ×3, first 2 shown]
	v_cvt_f32_f16_e32 v39, v39
	v_cvt_f32_f16_e32 v40, v40
	;; [unrolled: 1-line block ×4, first 2 shown]
	s_waitcnt lgkmcnt(0)
	v_perm_b32 v43, v111, v43, s61
	v_perm_b32 v42, v109, v42, s61
	v_accvgpr_write_b32 a0, v38
	v_accvgpr_write_b32 a1, v39
	;; [unrolled: 1-line block ×4, first 2 shown]
	v_cvt_f32_f16_sdwa v41, v116 dst_sel:DWORD dst_unused:UNUSED_PAD src0_sel:WORD_1
	s_nop 0
	v_mfma_f32_16x16x16f16 a[0:3], v[42:43], v[32:33], a[0:3]
	s_nop 7
	s_nop 2
	v_accvgpr_read_b32 v37, a0
	v_accvgpr_read_b32 v38, a1
	v_cvt_f16_f32_e32 v37, v37
	v_cvt_f16_f32_e32 v38, v38
	v_accvgpr_read_b32 v39, a2
	v_accvgpr_read_b32 v40, a3
	v_cvt_f16_f32_e32 v39, v39
	v_pack_b32_f16 v111, v37, v38
	v_add_u32_e32 v37, v159, v174
	ds_read_u16 v37, v37 offset:528
	ds_read_u16 v42, v179 offset:1056
	v_cvt_f16_f32_e32 v40, v40
	v_cvt_f32_f16_e32 v38, v121
	v_pack_b32_f16 v109, v39, v40
	v_cvt_f32_f16_sdwa v39, v121 dst_sel:DWORD dst_unused:UNUSED_PAD src0_sel:WORD_1
	v_cvt_f32_f16_e32 v40, v116
	s_waitcnt lgkmcnt(0)
	v_perm_b32 v43, v44, v42, s61
	v_perm_b32 v42, v37, v45, s61
	v_accvgpr_write_b32 a0, v38
	v_accvgpr_write_b32 a1, v39
	v_accvgpr_write_b32 a2, v40
	v_accvgpr_write_b32 a3, v41
	s_nop 1
	v_mfma_f32_16x16x16f16 a[0:3], v[42:43], v[34:35], a[0:3]
	ds_read_u16 v42, v180 offset:16896
	ds_read_u16 v44, v232 offset:528
	ds_read_u16 v43, v181 offset:1056
	s_waitcnt lgkmcnt(1)
	v_perm_b32 v42, v44, v42, s61
	s_nop 5
	v_accvgpr_read_b32 v38, a1
	v_cvt_f16_f32_e32 v39, v38
	v_accvgpr_read_b32 v38, a2
	v_cvt_f16_f32_e32 v40, v38
	v_accvgpr_read_b32 v38, a3
	v_accvgpr_read_b32 v37, a0
	v_cvt_f16_f32_e32 v41, v38
	v_add_u32_e32 v38, v159, v175
	v_cvt_f16_f32_e32 v37, v37
	ds_read_u16 v45, v38 offset:16896
	v_cvt_f32_f16_e32 v39, v39
	v_cvt_f32_f16_e32 v40, v40
	v_cvt_f32_f16_e32 v38, v37
	v_cvt_f32_f16_e32 v41, v41
	s_waitcnt lgkmcnt(0)
	v_perm_b32 v43, v45, v43, s61
	v_accvgpr_write_b32 a0, v38
	v_accvgpr_write_b32 a1, v39
	v_accvgpr_write_b32 a2, v40
	v_accvgpr_write_b32 a3, v41
	v_cvt_f32_f16_sdwa v41, v124 dst_sel:DWORD dst_unused:UNUSED_PAD src0_sel:WORD_1
	s_nop 0
	v_mfma_f32_16x16x16f16 a[0:3], v[42:43], v[32:33], a[0:3]
	s_nop 7
	s_nop 2
	v_accvgpr_read_b32 v37, a0
	v_accvgpr_read_b32 v38, a1
	v_cvt_f16_f32_e32 v37, v37
	v_cvt_f16_f32_e32 v38, v38
	v_accvgpr_read_b32 v39, a2
	v_accvgpr_read_b32 v40, a3
	v_cvt_f16_f32_e32 v39, v39
	v_pack_b32_f16 v121, v37, v38
	v_add_u32_e32 v38, v160, v174
	ds_read_u16 v37, v176 offset:64
	ds_read_u16 v42, v38 offset:528
	ds_read_u16 v43, v182 offset:1056
	ds_read_u16 v44, v36 offset:64
	v_cvt_f16_f32_e32 v40, v40
	v_cvt_f32_f16_e32 v38, v125
	s_waitcnt lgkmcnt(2)
	v_perm_b32 v42, v42, v37, s61
	v_pack_b32_f16 v120, v39, v40
	v_cvt_f32_f16_sdwa v39, v125 dst_sel:DWORD dst_unused:UNUSED_PAD src0_sel:WORD_1
	v_cvt_f32_f16_e32 v40, v124
	s_waitcnt lgkmcnt(0)
	v_perm_b32 v43, v44, v43, s61
	v_accvgpr_write_b32 a0, v38
	v_accvgpr_write_b32 a1, v39
	v_accvgpr_write_b32 a2, v40
	v_accvgpr_write_b32 a3, v41
	s_nop 1
	v_mfma_f32_16x16x16f16 a[0:3], v[42:43], v[34:35], a[0:3]
	ds_read_u16 v42, v183 offset:16896
	ds_read_u16 v44, v233 offset:528
	ds_read_u16 v43, v184 offset:1056
	s_waitcnt lgkmcnt(1)
	v_perm_b32 v42, v44, v42, s61
	s_nop 5
	v_accvgpr_read_b32 v38, a1
	v_cvt_f16_f32_e32 v39, v38
	v_accvgpr_read_b32 v38, a2
	v_cvt_f16_f32_e32 v40, v38
	v_accvgpr_read_b32 v38, a3
	v_accvgpr_read_b32 v37, a0
	v_cvt_f16_f32_e32 v41, v38
	v_add_u32_e32 v38, v160, v175
	v_cvt_f16_f32_e32 v37, v37
	ds_read_u16 v45, v38 offset:16896
	v_cvt_f32_f16_e32 v39, v39
	v_cvt_f32_f16_e32 v40, v40
	v_cvt_f32_f16_e32 v38, v37
	v_cvt_f32_f16_e32 v41, v41
	s_waitcnt lgkmcnt(0)
	v_perm_b32 v43, v45, v43, s61
	v_accvgpr_write_b32 a0, v38
	v_accvgpr_write_b32 a1, v39
	v_accvgpr_write_b32 a2, v40
	v_accvgpr_write_b32 a3, v41
	v_cvt_f32_f16_sdwa v41, v126 dst_sel:DWORD dst_unused:UNUSED_PAD src0_sel:WORD_1
	s_nop 0
	v_mfma_f32_16x16x16f16 a[0:3], v[42:43], v[32:33], a[0:3]
	s_nop 7
	s_nop 2
	v_accvgpr_read_b32 v37, a0
	v_accvgpr_read_b32 v38, a1
	v_cvt_f16_f32_e32 v37, v37
	v_cvt_f16_f32_e32 v38, v38
	v_accvgpr_read_b32 v39, a2
	v_accvgpr_read_b32 v40, a3
	v_cvt_f16_f32_e32 v39, v39
	v_pack_b32_f16 v125, v37, v38
	v_add_u32_e32 v38, v161, v174
	ds_read_u16 v37, v176 offset:96
	ds_read_u16 v42, v38 offset:528
	ds_read_u16 v43, v185 offset:1056
	ds_read_u16 v44, v36 offset:96
	v_cvt_f16_f32_e32 v40, v40
	v_cvt_f32_f16_e32 v38, v127
	s_waitcnt lgkmcnt(2)
	v_perm_b32 v42, v42, v37, s61
	v_pack_b32_f16 v124, v39, v40
	v_cvt_f32_f16_sdwa v39, v127 dst_sel:DWORD dst_unused:UNUSED_PAD src0_sel:WORD_1
	v_cvt_f32_f16_e32 v40, v126
	s_waitcnt lgkmcnt(0)
	;; [unrolled: 59-line block ×6, first 2 shown]
	v_perm_b32 v43, v44, v43, s61
	v_accvgpr_write_b32 a0, v38
	v_accvgpr_write_b32 a1, v39
	;; [unrolled: 1-line block ×4, first 2 shown]
	v_add_u32_e32 v44, v165, v175
	s_nop 0
	v_mfma_f32_16x16x16f16 a[0:3], v[42:43], v[34:35], a[0:3]
	s_nop 7
	s_nop 2
	v_accvgpr_read_b32 v37, a0
	v_accvgpr_read_b32 v40, a3
	v_cvt_f16_f32_e32 v37, v37
	v_accvgpr_read_b32 v38, a1
	v_accvgpr_read_b32 v39, a2
	v_cvt_f16_f32_e32 v41, v40
	ds_read_u16 v40, v198 offset:16896
	ds_read_u16 v42, v238 offset:528
	;; [unrolled: 1-line block ×4, first 2 shown]
	v_cvt_f16_f32_e32 v38, v38
	v_cvt_f16_f32_e32 v39, v39
	v_cvt_f32_f16_e32 v136, v37
	v_cvt_f32_f16_e32 v139, v41
	;; [unrolled: 1-line block ×4, first 2 shown]
	s_waitcnt lgkmcnt(0)
	v_perm_b32 v39, v44, v43, s61
	v_perm_b32 v38, v42, v40, s61
	v_accvgpr_write_b32 a0, v136
	v_accvgpr_write_b32 a1, v137
	v_accvgpr_write_b32 a2, v138
	v_accvgpr_write_b32 a3, v139
	v_cvt_f32_f16_sdwa v41, v250 dst_sel:DWORD dst_unused:UNUSED_PAD src0_sel:WORD_1
	s_nop 0
	v_mfma_f32_16x16x16f16 a[0:3], v[38:39], v[32:33], a[0:3]
	s_nop 7
	s_nop 2
	v_accvgpr_read_b32 v37, a0
	v_accvgpr_read_b32 v38, a1
	v_cvt_f16_f32_e32 v37, v37
	v_cvt_f16_f32_e32 v38, v38
	v_accvgpr_read_b32 v39, a2
	v_accvgpr_read_b32 v40, a3
	v_cvt_f16_f32_e32 v39, v39
	v_pack_b32_f16 v110, v37, v38
	v_add_u32_e32 v38, v166, v174
	ds_read_u16 v37, v176 offset:256
	ds_read_u16 v42, v38 offset:528
	ds_read_u16 v43, v200 offset:1056
	ds_read_u16 v44, v36 offset:256
	v_cvt_f16_f32_e32 v40, v40
	v_cvt_f32_f16_e32 v38, v252
	s_waitcnt lgkmcnt(2)
	v_perm_b32 v42, v42, v37, s61
	v_pack_b32_f16 v102, v39, v40
	v_cvt_f32_f16_sdwa v39, v252 dst_sel:DWORD dst_unused:UNUSED_PAD src0_sel:WORD_1
	v_cvt_f32_f16_e32 v40, v250
	s_waitcnt lgkmcnt(0)
	v_perm_b32 v43, v44, v43, s61
	v_accvgpr_write_b32 a0, v38
	v_accvgpr_write_b32 a1, v39
	v_accvgpr_write_b32 a2, v40
	v_accvgpr_write_b32 a3, v41
	s_nop 1
	v_mfma_f32_16x16x16f16 a[0:3], v[42:43], v[34:35], a[0:3]
	ds_read_u16 v42, v201 offset:16896
	ds_read_u16 v44, v239 offset:528
	ds_read_u16 v43, v202 offset:1056
	s_waitcnt lgkmcnt(1)
	v_perm_b32 v42, v44, v42, s61
	s_nop 5
	v_accvgpr_read_b32 v38, a1
	v_cvt_f16_f32_e32 v39, v38
	v_accvgpr_read_b32 v38, a2
	v_cvt_f16_f32_e32 v40, v38
	v_accvgpr_read_b32 v38, a3
	v_accvgpr_read_b32 v37, a0
	v_cvt_f16_f32_e32 v41, v38
	v_add_u32_e32 v38, v166, v175
	v_cvt_f16_f32_e32 v37, v37
	ds_read_u16 v45, v38 offset:16896
	v_cvt_f32_f16_e32 v39, v39
	v_cvt_f32_f16_e32 v40, v40
	v_cvt_f32_f16_e32 v38, v37
	v_cvt_f32_f16_e32 v41, v41
	s_waitcnt lgkmcnt(0)
	v_perm_b32 v43, v45, v43, s61
	v_accvgpr_write_b32 a0, v38
	v_accvgpr_write_b32 a1, v39
	v_accvgpr_write_b32 a2, v40
	v_accvgpr_write_b32 a3, v41
	v_cvt_f32_f16_sdwa v41, v248 dst_sel:DWORD dst_unused:UNUSED_PAD src0_sel:WORD_1
	s_nop 0
	v_mfma_f32_16x16x16f16 a[0:3], v[42:43], v[32:33], a[0:3]
	s_nop 7
	s_nop 2
	v_accvgpr_read_b32 v37, a0
	v_accvgpr_read_b32 v38, a1
	v_cvt_f16_f32_e32 v37, v37
	v_cvt_f16_f32_e32 v38, v38
	v_accvgpr_read_b32 v39, a2
	v_accvgpr_read_b32 v40, a3
	v_cvt_f16_f32_e32 v39, v39
	v_pack_b32_f16 v252, v37, v38
	v_add_u32_e32 v38, v167, v174
	ds_read_u16 v37, v176 offset:288
	ds_read_u16 v42, v38 offset:528
	ds_read_u16 v43, v203 offset:1056
	ds_read_u16 v44, v36 offset:288
	v_cvt_f16_f32_e32 v40, v40
	v_cvt_f32_f16_e32 v38, v249
	s_waitcnt lgkmcnt(2)
	v_perm_b32 v42, v42, v37, s61
	v_pack_b32_f16 v250, v39, v40
	v_cvt_f32_f16_sdwa v39, v249 dst_sel:DWORD dst_unused:UNUSED_PAD src0_sel:WORD_1
	v_cvt_f32_f16_e32 v40, v248
	s_waitcnt lgkmcnt(0)
	v_perm_b32 v43, v44, v43, s61
	v_accvgpr_write_b32 a0, v38
	v_accvgpr_write_b32 a1, v39
	v_accvgpr_write_b32 a2, v40
	v_accvgpr_write_b32 a3, v41
	s_nop 1
	v_mfma_f32_16x16x16f16 a[0:3], v[42:43], v[34:35], a[0:3]
	ds_read_u16 v42, v204 offset:16896
	ds_read_u16 v44, v240 offset:528
	ds_read_u16 v43, v205 offset:1056
	s_waitcnt lgkmcnt(1)
	v_perm_b32 v42, v44, v42, s61
	s_nop 5
	v_accvgpr_read_b32 v38, a1
	v_cvt_f16_f32_e32 v39, v38
	v_accvgpr_read_b32 v38, a2
	v_cvt_f16_f32_e32 v40, v38
	v_accvgpr_read_b32 v38, a3
	v_accvgpr_read_b32 v37, a0
	v_cvt_f16_f32_e32 v41, v38
	v_add_u32_e32 v38, v167, v175
	v_cvt_f16_f32_e32 v37, v37
	ds_read_u16 v45, v38 offset:16896
	v_cvt_f32_f16_e32 v39, v39
	v_cvt_f32_f16_e32 v40, v40
	v_cvt_f32_f16_e32 v38, v37
	v_cvt_f32_f16_e32 v41, v41
	s_waitcnt lgkmcnt(0)
	;; [unrolled: 59-line block ×7, first 2 shown]
	v_perm_b32 v43, v45, v43, s61
	v_accvgpr_write_b32 a0, v38
	v_accvgpr_write_b32 a1, v39
	;; [unrolled: 1-line block ×4, first 2 shown]
	v_cvt_f32_f16_sdwa v41, v112 dst_sel:DWORD dst_unused:UNUSED_PAD src0_sel:WORD_1
	s_nop 0
	v_mfma_f32_16x16x16f16 a[0:3], v[42:43], v[32:33], a[0:3]
	v_cvt_f32_f16_e32 v42, v49
	v_cvt_f32_f16_sdwa v43, v49 dst_sel:DWORD dst_unused:UNUSED_PAD src0_sel:WORD_1
	s_nop 7
	s_nop 0
	v_accvgpr_read_b32 v37, a0
	v_accvgpr_read_b32 v38, a1
	v_cvt_f16_f32_e32 v37, v37
	v_cvt_f16_f32_e32 v38, v38
	v_accvgpr_read_b32 v39, a2
	v_accvgpr_read_b32 v40, a3
	v_cvt_f16_f32_e32 v39, v39
	v_cvt_f16_f32_e32 v40, v40
	v_pack_b32_f16 v115, v37, v38
	v_add_u32_e32 v38, v173, v174
	ds_read_u16 v37, v176 offset:480
	v_pack_b32_f16 v114, v39, v40
	ds_read_u16 v38, v38 offset:528
	ds_read_u16 v39, v221 offset:1056
	;; [unrolled: 1-line block ×3, first 2 shown]
	v_cvt_f32_f16_e32 v40, v112
	s_waitcnt lgkmcnt(2)
	v_perm_b32 v38, v38, v37, s61
	s_waitcnt lgkmcnt(0)
	v_perm_b32 v39, v36, v39, s61
	v_accvgpr_write_b32 a0, v40
	v_accvgpr_write_b32 a1, v41
	;; [unrolled: 1-line block ×4, first 2 shown]
	v_add_u32_e32 v41, v173, v175
	s_nop 0
	v_mfma_f32_16x16x16f16 a[0:3], v[38:39], v[34:35], a[0:3]
	ds_read_u16 v38, v222 offset:16896
	ds_read_u16 v40, v246 offset:528
	;; [unrolled: 1-line block ×4, first 2 shown]
	s_waitcnt lgkmcnt(0)
	s_barrier
	v_perm_b32 v38, v40, v38, s61
	v_perm_b32 v39, v41, v39, s61
	s_nop 2
	v_accvgpr_read_b32 v34, a0
	v_cvt_f16_f32_e32 v34, v34
	v_accvgpr_read_b32 v35, a1
	v_accvgpr_read_b32 v36, a2
	;; [unrolled: 1-line block ×3, first 2 shown]
	v_cvt_f16_f32_e32 v35, v35
	v_cvt_f16_f32_e32 v36, v36
	;; [unrolled: 1-line block ×3, first 2 shown]
	v_cvt_f32_f16_e32 v34, v34
	v_cvt_f32_f16_e32 v35, v35
	;; [unrolled: 1-line block ×4, first 2 shown]
	v_accvgpr_write_b32 a0, v34
	v_accvgpr_write_b32 a1, v35
	;; [unrolled: 1-line block ×4, first 2 shown]
	s_nop 1
	v_mfma_f32_16x16x16f16 a[0:3], v[38:39], v[32:33], a[0:3]
	s_nop 7
	s_nop 2
	v_accvgpr_read_b32 v32, a0
	v_accvgpr_read_b32 v33, a1
	;; [unrolled: 1-line block ×4, first 2 shown]
	v_cvt_f16_f32_e32 v32, v32
	v_cvt_f16_f32_e32 v33, v33
	;; [unrolled: 1-line block ×4, first 2 shown]
	v_pack_b32_f16 v112, v32, v33
	v_pack_b32_f16 v113, v34, v35
	s_cbranch_vccz .LBB30_540
; %bb.537:                              ;   in Loop: Header=BB30_501 Depth=1
	v_mov_b32_e32 v117, v46
	v_mov_b32_e32 v116, v47
	s_andn2_b64 vcc, exec, s[44:45]
	s_ashr_i32 s49, s48, 31
	s_cbranch_vccz .LBB30_496
	s_branch .LBB30_501
.LBB30_538:                             ;   in Loop: Header=BB30_501 Depth=1
                                        ; implicit-def: $vgpr36_vgpr37_vgpr38_vgpr39
                                        ; implicit-def: $vgpr32_vgpr33_vgpr34_vgpr35
	s_branch .LBB30_535
.LBB30_539:
	v_mov_b32_e32 v46, 0
	v_mov_b32_e32 v47, 0xfeffffff
	;; [unrolled: 1-line block ×33, first 2 shown]
	s_branch .LBB30_541
.LBB30_540:
	v_accvgpr_read_b32 v173, a8
	v_accvgpr_read_b32 v94, a9
	;; [unrolled: 1-line block ×22, first 2 shown]
.LBB30_541:
	s_lshl_b32 s20, s56, 6
	v_readlane_b32 s4, v254, 4
	s_sub_i32 s26, s4, s20
	s_cmp_lg_u64 s[42:43], 0
	s_cselect_b64 s[24:25], -1, 0
	s_ashr_i32 s21, s20, 31
	s_cmp_eq_u64 s[42:43], 0
	v_readlane_b32 s5, v254, 5
	s_cbranch_scc1 .LBB30_559
; %bb.542:
	s_lshl_b64 s[4:5], s[20:21], 1
	s_add_u32 s4, s42, s4
	s_addc_u32 s5, s43, s5
	v_mov_b32_e32 v33, s5
	v_add_co_u32_e64 v32, s[4:5], s4, v35
	v_cmp_gt_i32_e32 vcc, s26, v64
	v_mov_b32_e32 v34, 0
	v_addc_co_u32_e64 v33, s[4:5], 0, v33, s[4:5]
	v_mov_b32_e32 v36, 0
	s_and_saveexec_b64 s[6:7], vcc
	s_cbranch_execz .LBB30_544
; %bb.543:
	v_readlane_b32 s4, v254, 10
	v_mul_hi_u32 v35, s4, v37
	v_readlane_b32 s5, v254, 11
	v_add_u32_e32 v35, v37, v35
	v_lshrrev_b32_e32 v35, s5, v35
	v_mul_lo_u32 v35, v35, s76
	v_sub_u32_e32 v35, v37, v35
	v_mad_i64_i32 v[36:37], s[4:5], v35, s78, 0
	v_lshlrev_b64 v[36:37], 1, v[36:37]
	v_add_co_u32_e64 v36, s[4:5], v32, v36
	v_addc_co_u32_e64 v37, s[4:5], v33, v37, s[4:5]
	flat_load_ushort v36, v[36:37]
.LBB30_544:
	s_or_b64 exec, exec, s[6:7]
	s_movk_i32 s4, 0x90
	v_mad_u32_u24 v35, v173, s4, 0
	v_lshl_add_u32 v37, v64, 1, v35
	s_waitcnt vmcnt(0) lgkmcnt(0)
	ds_write_b16 v37, v36 offset:33792
	s_and_saveexec_b64 s[6:7], vcc
	s_cbranch_execz .LBB30_546
; %bb.545:
	v_readlane_b32 s4, v254, 10
	v_mul_hi_u32 v34, s4, v38
	v_readlane_b32 s5, v254, 11
	v_add_u32_e32 v34, v38, v34
	v_lshrrev_b32_e32 v34, s5, v34
	v_mul_lo_u32 v34, v34, s76
	v_sub_u32_e32 v34, v38, v34
	v_mad_i64_i32 v[36:37], s[4:5], v34, s78, 0
	v_lshlrev_b64 v[36:37], 1, v[36:37]
	v_add_co_u32_e64 v36, s[4:5], v32, v36
	v_addc_co_u32_e64 v37, s[4:5], v33, v37, s[4:5]
	flat_load_ushort v34, v[36:37]
.LBB30_546:
	s_or_b64 exec, exec, s[6:7]
	v_add_u32_e32 v35, 0x240, v35
	v_lshl_add_u32 v36, v64, 1, v35
	s_waitcnt vmcnt(0) lgkmcnt(0)
	ds_write_b16 v36, v34 offset:33792
	v_mov_b32_e32 v34, 0
	v_mov_b32_e32 v36, 0
	s_and_saveexec_b64 s[6:7], vcc
	s_cbranch_execz .LBB30_548
; %bb.547:
	v_readlane_b32 s4, v254, 10
	v_mul_hi_u32 v36, s4, v39
	v_readlane_b32 s5, v254, 11
	v_add_u32_e32 v36, v39, v36
	v_lshrrev_b32_e32 v36, s5, v36
	v_mul_lo_u32 v36, v36, s76
	v_sub_u32_e32 v36, v39, v36
	v_mad_i64_i32 v[36:37], s[4:5], v36, s78, 0
	v_lshlrev_b64 v[36:37], 1, v[36:37]
	v_add_co_u32_e64 v36, s[4:5], v32, v36
	v_addc_co_u32_e64 v37, s[4:5], v33, v37, s[4:5]
	flat_load_ushort v36, v[36:37]
.LBB30_548:
	s_or_b64 exec, exec, s[6:7]
	v_add_u32_e32 v35, 0x240, v35
	v_lshl_add_u32 v37, v64, 1, v35
	s_waitcnt vmcnt(0) lgkmcnt(0)
	ds_write_b16 v37, v36 offset:33792
	s_and_saveexec_b64 s[6:7], vcc
	s_cbranch_execz .LBB30_550
; %bb.549:
	v_readlane_b32 s4, v254, 10
	v_mul_hi_u32 v34, s4, v40
	v_readlane_b32 s5, v254, 11
	v_add_u32_e32 v34, v40, v34
	v_lshrrev_b32_e32 v34, s5, v34
	v_mul_lo_u32 v34, v34, s76
	v_sub_u32_e32 v34, v40, v34
	v_mad_i64_i32 v[36:37], s[4:5], v34, s78, 0
	v_lshlrev_b64 v[36:37], 1, v[36:37]
	v_add_co_u32_e64 v36, s[4:5], v32, v36
	v_addc_co_u32_e64 v37, s[4:5], v33, v37, s[4:5]
	flat_load_ushort v34, v[36:37]
.LBB30_550:
	s_or_b64 exec, exec, s[6:7]
	v_add_u32_e32 v35, 0x240, v35
	v_lshl_add_u32 v36, v64, 1, v35
	s_waitcnt vmcnt(0) lgkmcnt(0)
	ds_write_b16 v36, v34 offset:33792
	v_mov_b32_e32 v34, 0
	v_mov_b32_e32 v36, 0
	s_and_saveexec_b64 s[6:7], vcc
	s_cbranch_execz .LBB30_552
; %bb.551:
	v_readlane_b32 s4, v254, 10
	v_mul_hi_u32 v36, s4, v41
	v_readlane_b32 s5, v254, 11
	v_add_u32_e32 v36, v41, v36
	v_lshrrev_b32_e32 v36, s5, v36
	v_mul_lo_u32 v36, v36, s76
	v_sub_u32_e32 v36, v41, v36
	v_mad_i64_i32 v[36:37], s[4:5], v36, s78, 0
	v_lshlrev_b64 v[36:37], 1, v[36:37]
	v_add_co_u32_e64 v36, s[4:5], v32, v36
	v_addc_co_u32_e64 v37, s[4:5], v33, v37, s[4:5]
	flat_load_ushort v36, v[36:37]
.LBB30_552:
	s_or_b64 exec, exec, s[6:7]
	v_add_u32_e32 v35, 0x240, v35
	;; [unrolled: 44-line block ×3, first 2 shown]
	v_lshl_add_u32 v35, v64, 1, v35
	s_waitcnt vmcnt(0) lgkmcnt(0)
	ds_write_b16 v35, v36 offset:33792
	s_and_saveexec_b64 s[4:5], vcc
	s_cbranch_execz .LBB30_558
; %bb.557:
	v_readlane_b32 s6, v254, 10
	v_mul_hi_u32 v34, s6, v49
	v_readlane_b32 s7, v254, 11
	v_add_u32_e32 v34, v49, v34
	v_lshrrev_b32_e32 v34, s7, v34
	v_mul_lo_u32 v34, v34, s76
	v_sub_u32_e32 v34, v49, v34
	v_mad_i64_i32 v[36:37], s[6:7], v34, s78, 0
	v_lshlrev_b64 v[36:37], 1, v[36:37]
	v_add_co_u32_e32 v32, vcc, v32, v36
	v_addc_co_u32_e32 v33, vcc, v33, v37, vcc
	flat_load_ushort v34, v[32:33]
.LBB30_558:
	s_or_b64 exec, exec, s[4:5]
	s_waitcnt vmcnt(0) lgkmcnt(0)
	ds_write_b16 v35, v34 offset:34368
.LBB30_559:
	s_mul_hi_i32 s5, s20, s86
	s_mul_i32 s4, s20, s86
	v_lshl_add_u32 v34, v173, 1, v56
	s_lshl_b64 s[4:5], s[4:5], 2
	v_mul_lo_u32 v40, s86, v34
	s_add_u32 s8, s8, s4
	v_ashrrev_i32_e32 v41, 31, v40
	s_addc_u32 s9, s9, s5
	v_mov_b32_e32 v32, 0
	v_lshlrev_b64 v[36:37], 2, v[40:41]
	buffer_store_dword v32, off, s[0:3], 0
	buffer_store_dword v32, off, s[0:3], 0 offset:4
	buffer_store_dword v32, off, s[0:3], 0 offset:8
	;; [unrolled: 1-line block ×3, first 2 shown]
	v_and_b32_e32 v32, 0x7c, v97
	v_mov_b32_e32 v33, s9
	v_add_co_u32_e32 v35, vcc, s8, v36
	v_lshlrev_b32_e32 v32, 2, v32
	v_addc_co_u32_e32 v33, vcc, v33, v37, vcc
	s_mov_b64 s[4:5], src_private_base
	v_add_co_u32_e32 v35, vcc, v35, v32
	v_addc_co_u32_e32 v33, vcc, 0, v33, vcc
	v_mov_b32_e32 v44, s5
	v_cmp_gt_i32_e64 s[18:19], s26, v34
	v_mov_b32_e32 v45, 0
	v_cndmask_b32_e64 v37, v44, v33, s[18:19]
	v_cndmask_b32_e64 v36, v45, v35, s[18:19]
	flat_load_dwordx4 v[36:39], v[36:37]
	s_lshl_b32 s21, s86, 3
	v_add_u32_e32 v40, s21, v40
	v_ashrrev_i32_e32 v41, 31, v40
	v_lshlrev_b64 v[42:43], 2, v[40:41]
	v_mov_b32_e32 v49, s9
	v_add_co_u32_e32 v41, vcc, s8, v42
	v_addc_co_u32_e32 v42, vcc, v49, v43, vcc
	v_mul_u32_u24_e32 v33, 0x210, v34
	v_add_u32_e32 v35, 8, v34
	v_add_co_u32_e32 v41, vcc, v41, v32
	v_add3_u32 v33, 0, v33, v32
	v_addc_co_u32_e32 v42, vcc, 0, v42, vcc
	v_cmp_gt_i32_e64 s[12:13], s26, v35
	v_cndmask_b32_e64 v43, v44, v42, s[12:13]
	v_cndmask_b32_e64 v42, v45, v41, s[12:13]
	v_add_u32_e32 v40, s21, v40
	v_ashrrev_i32_e32 v41, 31, v40
	v_add_u32_e32 v35, 16, v34
	v_cmp_gt_i32_e64 s[14:15], s26, v35
	v_add_u32_e32 v35, 24, v34
	v_cmp_gt_i32_e64 s[16:17], s26, v35
	;; [unrolled: 2-line block ×6, first 2 shown]
	v_add_u32_e32 v35, 0, v53
	s_waitcnt vmcnt(0) lgkmcnt(0)
	ds_write_b128 v33, v[36:39]
	flat_load_dwordx4 v[36:39], v[42:43]
	v_lshlrev_b64 v[42:43], 2, v[40:41]
	v_add_co_u32_e32 v41, vcc, s8, v42
	v_addc_co_u32_e32 v42, vcc, v49, v43, vcc
	v_add_co_u32_e32 v41, vcc, v41, v32
	v_addc_co_u32_e32 v42, vcc, 0, v42, vcc
	v_cndmask_b32_e64 v43, v44, v42, s[14:15]
	v_cndmask_b32_e64 v42, v45, v41, s[14:15]
	v_add_u32_e32 v40, s21, v40
	v_ashrrev_i32_e32 v41, 31, v40
	s_waitcnt vmcnt(0) lgkmcnt(0)
	ds_write_b128 v33, v[36:39] offset:4224
	flat_load_dwordx4 v[36:39], v[42:43]
	v_lshlrev_b64 v[42:43], 2, v[40:41]
	v_add_co_u32_e32 v41, vcc, s8, v42
	v_addc_co_u32_e32 v42, vcc, v49, v43, vcc
	v_add_co_u32_e32 v41, vcc, v41, v32
	v_addc_co_u32_e32 v42, vcc, 0, v42, vcc
	v_cndmask_b32_e64 v43, v44, v42, s[16:17]
	v_cndmask_b32_e64 v42, v45, v41, s[16:17]
	v_add_u32_e32 v40, s21, v40
	v_ashrrev_i32_e32 v41, 31, v40
	s_waitcnt vmcnt(0) lgkmcnt(0)
	ds_write_b128 v33, v[36:39] offset:8448
	;; [unrolled: 12-line block ×4, first 2 shown]
	flat_load_dwordx4 v[36:39], v[42:43]
	v_lshlrev_b64 v[42:43], 2, v[40:41]
	v_add_co_u32_e32 v41, vcc, s8, v42
	v_addc_co_u32_e32 v42, vcc, v49, v43, vcc
	v_add_co_u32_e32 v41, vcc, v41, v32
	v_addc_co_u32_e32 v42, vcc, 0, v42, vcc
	v_cndmask_b32_e64 v43, v44, v42, s[4:5]
	v_cndmask_b32_e64 v42, v45, v41, s[4:5]
	v_add_u32_e32 v40, s21, v40
	v_ashrrev_i32_e32 v41, 31, v40
	v_lshlrev_b64 v[40:41], 2, v[40:41]
	v_add_co_u32_e32 v40, vcc, s8, v40
	s_mov_b32 s8, 0x3f200000
	s_waitcnt vmcnt(0) lgkmcnt(0)
	ds_write_b128 v33, v[36:39] offset:21120
	flat_load_dwordx4 v[36:39], v[42:43]
	v_mov_b32_e32 v42, s9
	v_addc_co_u32_e32 v41, vcc, v42, v41, vcc
	v_add_co_u32_e32 v40, vcc, v40, v32
	v_addc_co_u32_e32 v41, vcc, 0, v41, vcc
	v_cndmask_b32_e64 v41, v44, v41, s[22:23]
	v_cndmask_b32_e64 v40, v45, v40, s[22:23]
	s_waitcnt vmcnt(0) lgkmcnt(0)
	ds_write_b128 v33, v[36:39] offset:25344
	flat_load_dwordx4 v[38:41], v[40:41]
	v_and_b32_e32 v37, 16, v94
	v_mul_u32_u24_e32 v36, 0x210, v37
	v_add3_u32 v35, v35, v55, v36
	v_add_u32_e32 v36, 0x4000, v35
	s_waitcnt vmcnt(0) lgkmcnt(0)
	ds_write_b128 v33, v[38:41] offset:29568
	s_waitcnt lgkmcnt(0)
	s_barrier
	ds_read2_b64 v[38:41], v35 offset1:4
	ds_read2_b64 v[42:45], v36 offset0:64 offset1:68
	s_waitcnt lgkmcnt(1)
	v_mfma_f32_16x16x16f16 a[0:3], v[38:39], v[28:29], 0
	s_waitcnt lgkmcnt(0)
	v_mfma_f32_16x16x16f16 a[4:7], v[42:43], v[28:29], 0
	v_mfma_f32_16x16x16f16 a[0:3], v[40:41], v[30:31], a[0:3]
	ds_read2_b64 v[38:41], v36 offset0:72 offset1:76
	v_mfma_f32_16x16x16f16 a[4:7], v[44:45], v[30:31], a[4:7]
	ds_read2_b64 v[28:31], v35 offset0:8 offset1:12
	s_waitcnt lgkmcnt(0)
	v_mfma_f32_16x16x16f16 a[0:3], v[28:29], v[24:25], a[0:3]
	v_mfma_f32_16x16x16f16 a[4:7], v[38:39], v[24:25], a[4:7]
	v_mfma_f32_16x16x16f16 a[0:3], v[30:31], v[26:27], a[0:3]
	ds_read2_b64 v[28:31], v36 offset0:80 offset1:84
	v_mfma_f32_16x16x16f16 a[4:7], v[40:41], v[26:27], a[4:7]
	ds_read2_b64 v[24:27], v35 offset0:16 offset1:20
	s_waitcnt lgkmcnt(0)
	v_mfma_f32_16x16x16f16 a[0:3], v[24:25], v[20:21], a[0:3]
	;; [unrolled: 7-line block ×6, first 2 shown]
	v_mfma_f32_16x16x16f16 a[4:7], v[12:13], v[4:5], a[4:7]
                                        ; implicit-def: $vgpr12
	v_mfma_f32_16x16x16f16 a[0:3], v[10:11], v[6:7], a[0:3]
	ds_read2_b64 v[8:11], v36 offset0:120 offset1:124
	v_mfma_f32_16x16x16f16 a[4:7], v[14:15], v[6:7], a[4:7]
	ds_read2_b64 v[4:7], v35 offset0:56 offset1:60
	s_waitcnt lgkmcnt(0)
	s_barrier
	v_mfma_f32_16x16x16f16 a[0:3], v[4:5], v[0:1], a[0:3]
	v_mfma_f32_16x16x16f16 a[8:11], v[8:9], v[0:1], a[4:7]
	;; [unrolled: 1-line block ×4, first 2 shown]
	s_nop 7
	s_nop 1
	v_accvgpr_read_b32 v11, a4
	v_cmp_nlt_f32_e64 s[8:9], |v11|, s8
	s_and_saveexec_b64 s[28:29], s[8:9]
	s_xor_b64 s[8:9], exec, s[28:29]
	s_cbranch_execz .LBB30_561
; %bb.560:
	v_add_f32_e64 v0, |v11|, |v11|
	v_mul_f32_e32 v1, 0x3fb8aa3b, v0
	s_mov_b32 s21, 0x3fb8aa3b
	v_rndne_f32_e32 v2, v1
	v_sub_f32_e32 v3, v1, v2
	v_fma_f32 v1, v0, s21, -v1
	v_fmac_f32_e32 v1, 0x32a5705f, v0
	v_add_f32_e32 v1, v3, v1
	v_exp_f32_e32 v1, v1
	v_cvt_i32_f32_e32 v2, v2
	s_mov_b32 s21, 0xc2ce8ed0
	v_cmp_ngt_f32_e32 vcc, s21, v0
	s_mov_b32 s21, 0x42b17218
	v_ldexp_f32 v1, v1, v2
	v_cndmask_b32_e32 v1, 0, v1, vcc
	v_mov_b32_e32 v2, 0x7f800000
	v_cmp_nlt_f32_e32 vcc, s21, v0
	v_cndmask_b32_e32 v0, v2, v1, vcc
	v_add_f32_e32 v0, 1.0, v0
	v_rcp_f32_e32 v0, v0
	v_fma_f32 v12, v0, -2.0, 1.0
.LBB30_561:
	s_or_saveexec_b64 s[8:9], s[8:9]
	v_accvgpr_read_b32 v0, a4
	v_accvgpr_read_b32 v1, a5
	;; [unrolled: 1-line block ×4, first 2 shown]
	s_xor_b64 exec, exec, s[8:9]
; %bb.562:
	v_mul_f32_e32 v0, v11, v11
	v_mov_b32_e32 v4, 0x3ca908c9
	v_fmac_f32_e32 v4, 0xbbbac73d, v0
	v_mov_b32_e32 v5, 0xbd5c1c4e
	v_fmac_f32_e32 v5, v0, v4
	;; [unrolled: 2-line block ×4, first 2 shown]
	v_mul_f32_e64 v4, |v11|, v5
	v_fma_f32 v12, v0, v4, |v11|
; %bb.563:
	s_or_b64 exec, exec, s[8:9]
	s_mov_b32 s8, 0x3f200000
	v_cmp_nlt_f32_e64 s[8:9], |v1|, s8
                                        ; implicit-def: $vgpr0
	s_and_saveexec_b64 s[28:29], s[8:9]
	s_xor_b64 s[8:9], exec, s[28:29]
	s_cbranch_execz .LBB30_565
; %bb.564:
	v_add_f32_e64 v0, |v1|, |v1|
	v_mul_f32_e32 v4, 0x3fb8aa3b, v0
	s_mov_b32 s21, 0x3fb8aa3b
	v_rndne_f32_e32 v5, v4
	v_sub_f32_e32 v6, v4, v5
	v_fma_f32 v4, v0, s21, -v4
	v_fmac_f32_e32 v4, 0x32a5705f, v0
	v_add_f32_e32 v4, v6, v4
	v_exp_f32_e32 v4, v4
	v_cvt_i32_f32_e32 v5, v5
	s_mov_b32 s21, 0xc2ce8ed0
	v_cmp_ngt_f32_e32 vcc, s21, v0
	s_mov_b32 s21, 0x42b17218
	v_ldexp_f32 v4, v4, v5
	v_cndmask_b32_e32 v4, 0, v4, vcc
	v_mov_b32_e32 v5, 0x7f800000
	v_cmp_nlt_f32_e32 vcc, s21, v0
	v_cndmask_b32_e32 v0, v5, v4, vcc
	v_add_f32_e32 v0, 1.0, v0
	v_rcp_f32_e32 v0, v0
	v_fma_f32 v0, v0, -2.0, 1.0
.LBB30_565:
	s_andn2_saveexec_b64 s[8:9], s[8:9]
; %bb.566:
	v_mul_f32_e32 v0, v1, v1
	v_mov_b32_e32 v4, 0x3ca908c9
	v_fmac_f32_e32 v4, 0xbbbac73d, v0
	v_mov_b32_e32 v5, 0xbd5c1c4e
	v_fmac_f32_e32 v5, v0, v4
	;; [unrolled: 2-line block ×4, first 2 shown]
	v_mul_f32_e64 v4, |v1|, v5
	v_fma_f32 v0, v0, v4, |v1|
; %bb.567:
	s_or_b64 exec, exec, s[8:9]
	s_mov_b32 s8, 0x3f200000
	v_cmp_nlt_f32_e64 s[8:9], |v2|, s8
                                        ; implicit-def: $vgpr14
	s_and_saveexec_b64 s[28:29], s[8:9]
	s_xor_b64 s[8:9], exec, s[28:29]
	s_cbranch_execz .LBB30_569
; %bb.568:
	v_add_f32_e64 v4, |v2|, |v2|
	v_mul_f32_e32 v5, 0x3fb8aa3b, v4
	s_mov_b32 s21, 0x3fb8aa3b
	v_rndne_f32_e32 v6, v5
	v_sub_f32_e32 v7, v5, v6
	v_fma_f32 v5, v4, s21, -v5
	v_fmac_f32_e32 v5, 0x32a5705f, v4
	v_add_f32_e32 v5, v7, v5
	v_exp_f32_e32 v5, v5
	v_cvt_i32_f32_e32 v6, v6
	s_mov_b32 s21, 0xc2ce8ed0
	v_cmp_ngt_f32_e32 vcc, s21, v4
	s_mov_b32 s21, 0x42b17218
	v_ldexp_f32 v5, v5, v6
	v_cndmask_b32_e32 v5, 0, v5, vcc
	v_mov_b32_e32 v6, 0x7f800000
	v_cmp_nlt_f32_e32 vcc, s21, v4
	v_cndmask_b32_e32 v4, v6, v5, vcc
	v_add_f32_e32 v4, 1.0, v4
	v_rcp_f32_e32 v4, v4
	v_fma_f32 v14, v4, -2.0, 1.0
.LBB30_569:
	s_andn2_saveexec_b64 s[8:9], s[8:9]
; %bb.570:
	v_mul_f32_e32 v4, v2, v2
	v_mov_b32_e32 v5, 0x3ca908c9
	v_fmac_f32_e32 v5, 0xbbbac73d, v4
	v_mov_b32_e32 v6, 0xbd5c1c4e
	v_fmac_f32_e32 v6, v4, v5
	;; [unrolled: 2-line block ×4, first 2 shown]
	v_mul_f32_e64 v5, |v2|, v6
	v_fma_f32 v14, v4, v5, |v2|
; %bb.571:
	s_or_b64 exec, exec, s[8:9]
	s_mov_b32 s8, 0x3f200000
	v_cmp_nlt_f32_e64 s[8:9], |v3|, s8
                                        ; implicit-def: $vgpr15
	s_and_saveexec_b64 s[28:29], s[8:9]
	s_xor_b64 s[8:9], exec, s[28:29]
	s_cbranch_execz .LBB30_573
; %bb.572:
	v_add_f32_e64 v4, |v3|, |v3|
	v_mul_f32_e32 v5, 0x3fb8aa3b, v4
	s_mov_b32 s21, 0x3fb8aa3b
	v_rndne_f32_e32 v6, v5
	v_sub_f32_e32 v7, v5, v6
	v_fma_f32 v5, v4, s21, -v5
	v_fmac_f32_e32 v5, 0x32a5705f, v4
	v_add_f32_e32 v5, v7, v5
	v_exp_f32_e32 v5, v5
	v_cvt_i32_f32_e32 v6, v6
	s_mov_b32 s21, 0xc2ce8ed0
	v_cmp_ngt_f32_e32 vcc, s21, v4
	s_mov_b32 s21, 0x42b17218
	v_ldexp_f32 v5, v5, v6
	v_cndmask_b32_e32 v5, 0, v5, vcc
	v_mov_b32_e32 v6, 0x7f800000
	v_cmp_nlt_f32_e32 vcc, s21, v4
	v_cndmask_b32_e32 v4, v6, v5, vcc
	v_add_f32_e32 v4, 1.0, v4
	v_rcp_f32_e32 v4, v4
	v_fma_f32 v15, v4, -2.0, 1.0
.LBB30_573:
	s_or_saveexec_b64 s[8:9], s[8:9]
	v_accvgpr_read_b32 v7, a3
	v_accvgpr_read_b32 v6, a2
	;; [unrolled: 1-line block ×4, first 2 shown]
	s_xor_b64 exec, exec, s[8:9]
; %bb.574:
	v_mul_f32_e32 v8, v3, v3
	v_mov_b32_e32 v9, 0x3ca908c9
	v_fmac_f32_e32 v9, 0xbbbac73d, v8
	v_mov_b32_e32 v10, 0xbd5c1c4e
	v_fmac_f32_e32 v10, v8, v9
	;; [unrolled: 2-line block ×4, first 2 shown]
	v_mul_f32_e64 v9, |v3|, v10
	v_fma_f32 v15, v8, v9, |v3|
; %bb.575:
	s_or_b64 exec, exec, s[8:9]
	s_mov_b32 s8, 0x3f200000
	v_cmp_nlt_f32_e64 s[8:9], |v4|, s8
                                        ; implicit-def: $vgpr8
	s_and_saveexec_b64 s[28:29], s[8:9]
	s_xor_b64 s[8:9], exec, s[28:29]
	s_cbranch_execz .LBB30_577
; %bb.576:
	v_add_f32_e64 v8, |v4|, |v4|
	v_mul_f32_e32 v9, 0x3fb8aa3b, v8
	s_mov_b32 s21, 0x3fb8aa3b
	v_rndne_f32_e32 v10, v9
	v_sub_f32_e32 v13, v9, v10
	v_fma_f32 v9, v8, s21, -v9
	v_fmac_f32_e32 v9, 0x32a5705f, v8
	v_add_f32_e32 v9, v13, v9
	v_exp_f32_e32 v9, v9
	v_cvt_i32_f32_e32 v10, v10
	s_mov_b32 s21, 0xc2ce8ed0
	v_cmp_ngt_f32_e32 vcc, s21, v8
	s_mov_b32 s21, 0x42b17218
	v_ldexp_f32 v9, v9, v10
	v_cndmask_b32_e32 v9, 0, v9, vcc
	v_mov_b32_e32 v10, 0x7f800000
	v_cmp_nlt_f32_e32 vcc, s21, v8
	v_cndmask_b32_e32 v8, v10, v9, vcc
	v_add_f32_e32 v8, 1.0, v8
	v_rcp_f32_e32 v8, v8
	v_fma_f32 v8, v8, -2.0, 1.0
.LBB30_577:
	s_andn2_saveexec_b64 s[8:9], s[8:9]
; %bb.578:
	v_mul_f32_e32 v8, v4, v4
	v_mov_b32_e32 v9, 0x3ca908c9
	v_fmac_f32_e32 v9, 0xbbbac73d, v8
	v_mov_b32_e32 v10, 0xbd5c1c4e
	v_fmac_f32_e32 v10, v8, v9
	;; [unrolled: 2-line block ×4, first 2 shown]
	v_mul_f32_e64 v9, |v4|, v10
	v_fma_f32 v8, v8, v9, |v4|
; %bb.579:
	s_or_b64 exec, exec, s[8:9]
	s_mov_b32 s8, 0x3f200000
	v_cmp_nlt_f32_e64 s[8:9], |v5|, s8
                                        ; implicit-def: $vgpr9
	s_and_saveexec_b64 s[28:29], s[8:9]
	s_xor_b64 s[8:9], exec, s[28:29]
	s_cbranch_execz .LBB30_581
; %bb.580:
	v_add_f32_e64 v9, |v5|, |v5|
	v_mul_f32_e32 v10, 0x3fb8aa3b, v9
	s_mov_b32 s21, 0x3fb8aa3b
	v_rndne_f32_e32 v13, v10
	v_sub_f32_e32 v16, v10, v13
	v_fma_f32 v10, v9, s21, -v10
	v_fmac_f32_e32 v10, 0x32a5705f, v9
	v_add_f32_e32 v10, v16, v10
	v_exp_f32_e32 v10, v10
	v_cvt_i32_f32_e32 v13, v13
	s_mov_b32 s21, 0xc2ce8ed0
	v_cmp_ngt_f32_e32 vcc, s21, v9
	s_mov_b32 s21, 0x42b17218
	v_ldexp_f32 v10, v10, v13
	v_cndmask_b32_e32 v10, 0, v10, vcc
	v_mov_b32_e32 v13, 0x7f800000
	v_cmp_nlt_f32_e32 vcc, s21, v9
	v_cndmask_b32_e32 v9, v13, v10, vcc
	v_add_f32_e32 v9, 1.0, v9
	v_rcp_f32_e32 v9, v9
	v_fma_f32 v9, v9, -2.0, 1.0
.LBB30_581:
	s_andn2_saveexec_b64 s[8:9], s[8:9]
; %bb.582:
	v_mul_f32_e32 v9, v5, v5
	v_mov_b32_e32 v10, 0x3ca908c9
	v_fmac_f32_e32 v10, 0xbbbac73d, v9
	v_mov_b32_e32 v13, 0xbd5c1c4e
	v_fmac_f32_e32 v13, v9, v10
	;; [unrolled: 2-line block ×4, first 2 shown]
	v_mul_f32_e64 v10, |v5|, v13
	v_fma_f32 v9, v9, v10, |v5|
; %bb.583:
	s_or_b64 exec, exec, s[8:9]
	s_mov_b32 s8, 0x3f200000
	v_cmp_nlt_f32_e64 s[8:9], |v6|, s8
                                        ; implicit-def: $vgpr10
	s_and_saveexec_b64 s[28:29], s[8:9]
	s_xor_b64 s[8:9], exec, s[28:29]
	s_cbranch_execz .LBB30_585
; %bb.584:
	v_add_f32_e64 v10, |v6|, |v6|
	v_mul_f32_e32 v13, 0x3fb8aa3b, v10
	s_mov_b32 s21, 0x3fb8aa3b
	v_rndne_f32_e32 v16, v13
	v_sub_f32_e32 v17, v13, v16
	v_fma_f32 v13, v10, s21, -v13
	v_fmac_f32_e32 v13, 0x32a5705f, v10
	v_add_f32_e32 v13, v17, v13
	v_exp_f32_e32 v13, v13
	v_cvt_i32_f32_e32 v16, v16
	s_mov_b32 s21, 0xc2ce8ed0
	v_cmp_ngt_f32_e32 vcc, s21, v10
	s_mov_b32 s21, 0x42b17218
	v_ldexp_f32 v13, v13, v16
	v_cndmask_b32_e32 v13, 0, v13, vcc
	v_mov_b32_e32 v16, 0x7f800000
	v_cmp_nlt_f32_e32 vcc, s21, v10
	v_cndmask_b32_e32 v10, v16, v13, vcc
	v_add_f32_e32 v10, 1.0, v10
	v_rcp_f32_e32 v10, v10
	v_fma_f32 v10, v10, -2.0, 1.0
.LBB30_585:
	s_andn2_saveexec_b64 s[8:9], s[8:9]
; %bb.586:
	v_mul_f32_e32 v10, v6, v6
	v_mov_b32_e32 v13, 0x3ca908c9
	v_fmac_f32_e32 v13, 0xbbbac73d, v10
	v_mov_b32_e32 v16, 0xbd5c1c4e
	v_fmac_f32_e32 v16, v10, v13
	;; [unrolled: 2-line block ×4, first 2 shown]
	v_mul_f32_e64 v13, |v6|, v16
	v_fma_f32 v10, v10, v13, |v6|
; %bb.587:
	s_or_b64 exec, exec, s[8:9]
	s_mov_b32 s8, 0x3f200000
	v_cmp_nlt_f32_e64 s[8:9], |v7|, s8
                                        ; implicit-def: $vgpr16
	s_and_saveexec_b64 s[28:29], s[8:9]
	s_xor_b64 s[8:9], exec, s[28:29]
	s_cbranch_execz .LBB30_589
; %bb.588:
	v_add_f32_e64 v13, |v7|, |v7|
	v_mul_f32_e32 v16, 0x3fb8aa3b, v13
	s_mov_b32 s21, 0x3fb8aa3b
	v_rndne_f32_e32 v17, v16
	v_sub_f32_e32 v18, v16, v17
	v_fma_f32 v16, v13, s21, -v16
	v_fmac_f32_e32 v16, 0x32a5705f, v13
	v_add_f32_e32 v16, v18, v16
	v_exp_f32_e32 v16, v16
	v_cvt_i32_f32_e32 v17, v17
	s_mov_b32 s21, 0xc2ce8ed0
	v_cmp_ngt_f32_e32 vcc, s21, v13
	s_mov_b32 s21, 0x42b17218
	v_ldexp_f32 v16, v16, v17
	v_cndmask_b32_e32 v16, 0, v16, vcc
	v_mov_b32_e32 v17, 0x7f800000
	v_cmp_nlt_f32_e32 vcc, s21, v13
	v_cndmask_b32_e32 v13, v17, v16, vcc
	v_add_f32_e32 v13, 1.0, v13
	v_rcp_f32_e32 v13, v13
	v_fma_f32 v16, v13, -2.0, 1.0
.LBB30_589:
	s_andn2_saveexec_b64 s[8:9], s[8:9]
; %bb.590:
	v_mul_f32_e32 v13, v7, v7
	v_mov_b32_e32 v16, 0x3ca908c9
	v_fmac_f32_e32 v16, 0xbbbac73d, v13
	v_mov_b32_e32 v17, 0xbd5c1c4e
	v_fmac_f32_e32 v17, v13, v16
	;; [unrolled: 2-line block ×4, first 2 shown]
	v_mul_f32_e64 v16, |v7|, v17
	v_fma_f32 v16, v13, v16, |v7|
; %bb.591:
	s_or_b64 exec, exec, s[8:9]
	s_brev_b32 s8, -2
	v_bfi_b32 v4, s8, v8, v4
	v_bfi_b32 v0, s8, v0, v1
	v_mul_f32_e32 v8, s97, v4
	v_bfi_b32 v4, s8, v9, v5
	v_mul_f32_e32 v13, s97, v0
	;; [unrolled: 2-line block ×7, first 2 shown]
	v_mul_f32_e32 v11, s97, v0
	s_and_b64 vcc, exec, s[24:25]
	s_cbranch_vccz .LBB30_593
; %bb.592:
	v_lshrrev_b32_e32 v19, 2, v64
	v_and_b32_e32 v18, 0xfc, v19
	v_add_u16_e32 v0, v37, v18
	v_add_u32_e32 v16, v37, v18
	s_movk_i32 s8, 0x90
	v_lshrrev_b16_e32 v0, 1, v0
	v_mad_u32_u24 v2, v54, s8, 0
	v_lshlrev_b32_e32 v0, 2, v0
	s_mov_b32 s8, 0x8400
	v_add_u32_e32 v35, 32, v16
	v_add_u32_e32 v31, 34, v16
	v_add3_u32 v0, v2, v0, s8
	v_lshl_add_u32 v3, v35, 1, v2
	v_lshl_add_u32 v2, v31, 1, v2
	ds_read2_b32 v[0:1], v0 offset1:1
	ds_read_b32 v3, v3 offset:33792
	ds_read_b32 v2, v2 offset:33792
	s_mov_b64 s[8:9], 0
	s_waitcnt lgkmcnt(2)
	v_cvt_f32_f16_e32 v4, v0
	v_cvt_f32_f16_sdwa v5, v0 dst_sel:DWORD dst_unused:UNUSED_PAD src0_sel:WORD_1
	v_cvt_f32_f16_e32 v0, v1
	v_cvt_f32_f16_sdwa v1, v1 dst_sel:DWORD dst_unused:UNUSED_PAD src0_sel:WORD_1
	s_waitcnt lgkmcnt(1)
	v_cvt_f32_f16_e32 v20, v3
	s_waitcnt lgkmcnt(0)
	v_cvt_f32_f16_e32 v6, v2
	v_cvt_f32_f16_sdwa v7, v2 dst_sel:DWORD dst_unused:UNUSED_PAD src0_sel:WORD_1
	v_cvt_f32_f16_sdwa v21, v3 dst_sel:DWORD dst_unused:UNUSED_PAD src0_sel:WORD_1
	v_pk_fma_f32 v[2:3], v[48:49], v[0:1], v[14:15] op_sel_hi:[0,1,1]
	v_pk_fma_f32 v[0:1], v[48:49], v[4:5], v[12:13] op_sel_hi:[0,1,1]
	;; [unrolled: 1-line block ×4, first 2 shown]
	s_branch .LBB30_594
.LBB30_593:
	s_mov_b64 s[8:9], -1
                                        ; implicit-def: $vgpr0_vgpr1_vgpr2_vgpr3
                                        ; implicit-def: $vgpr4_vgpr5_vgpr6_vgpr7
                                        ; implicit-def: $vgpr19
                                        ; implicit-def: $vgpr18
                                        ; implicit-def: $vgpr16
                                        ; implicit-def: $vgpr35
                                        ; implicit-def: $vgpr31
.LBB30_594:
	v_add_u32_e32 v21, 0x1080, v33
	v_add_u32_e32 v20, 0x2100, v33
	;; [unrolled: 1-line block ×6, first 2 shown]
	s_andn2_b64 vcc, exec, s[8:9]
	v_add_u32_e32 v25, 0x7380, v33
	s_cbranch_vccnz .LBB30_596
; %bb.595:
	v_and_b32_e32 v18, 0xfc, v50
	v_add_u32_e32 v16, v37, v18
	v_pk_mov_b32 v[4:5], v[8:9], v[8:9] op_sel:[0,1]
	v_pk_mov_b32 v[0:1], v[12:13], v[12:13] op_sel:[0,1]
	v_add_u32_e32 v35, 32, v16
	v_add_u32_e32 v31, 34, v16
	v_mov_b32_e32 v19, v50
	v_pk_mov_b32 v[6:7], v[10:11], v[10:11] op_sel:[0,1]
	v_pk_mov_b32 v[2:3], v[14:15], v[14:15] op_sel:[0,1]
.LBB30_596:
	s_mul_hi_i32 s9, s20, s82
	s_mul_i32 s8, s20, s82
	s_lshl_b64 s[8:9], s[8:9], 2
	v_mul_lo_u32 v12, s82, v34
	s_add_u32 s24, s33, s8
	v_ashrrev_i32_e32 v13, 31, v12
	s_addc_u32 s29, s52, s9
	v_lshlrev_b64 v[8:9], 2, v[12:13]
	v_mov_b32_e32 v10, s29
	v_add_co_u32_e32 v8, vcc, s24, v8
	v_addc_co_u32_e32 v9, vcc, v10, v9, vcc
	s_mov_b64 s[8:9], src_private_base
	v_add_co_u32_e32 v8, vcc, v8, v32
	v_addc_co_u32_e32 v9, vcc, 0, v9, vcc
	v_mov_b32_e32 v41, s9
	v_mov_b32_e32 v43, 0
	;; [unrolled: 1-line block ×3, first 2 shown]
	v_cndmask_b32_e64 v9, v41, v9, s[18:19]
	v_cndmask_b32_e64 v8, v43, v8, s[18:19]
	buffer_store_dword v10, off, s[0:3], 0
	buffer_store_dword v10, off, s[0:3], 0 offset:4
	buffer_store_dword v10, off, s[0:3], 0 offset:8
	;; [unrolled: 1-line block ×3, first 2 shown]
	flat_load_dwordx4 v[8:11], v[8:9]
	s_lshl_b32 s31, s82, 3
	v_add_u32_e32 v12, s31, v12
	v_ashrrev_i32_e32 v13, 31, v12
	v_lshlrev_b64 v[14:15], 2, v[12:13]
	v_mov_b32_e32 v22, s29
	v_add_co_u32_e32 v13, vcc, s24, v14
	v_addc_co_u32_e32 v14, vcc, v22, v15, vcc
	v_add_co_u32_e32 v13, vcc, v13, v32
	v_addc_co_u32_e32 v14, vcc, 0, v14, vcc
	v_cndmask_b32_e64 v15, v41, v14, s[12:13]
	v_cndmask_b32_e64 v14, v43, v13, s[12:13]
	v_add_u32_e32 v12, s31, v12
	v_ashrrev_i32_e32 v13, 31, v12
	v_add_u32_e32 v38, s31, v12
	v_ashrrev_i32_e32 v39, 31, v38
	v_add_u32_e32 v65, 2, v16
	v_add_u32_e32 v73, 3, v16
	;; [unrolled: 1-line block ×4, first 2 shown]
	v_cmp_gt_u32_e64 s[20:21], s26, v16
	s_movk_i32 s9, 0x420
	v_add_f32_e32 v26, 0x40051340, v1
	v_add_f32_e32 v67, 0x40051340, v2
	v_add_f32_e32 v71, 0x40051340, v3
	v_mov_b32_e32 v75, s29
	v_mov_b32_e32 v76, s29
	v_add_f32_e32 v74, 0x40051340, v4
	s_mov_b32 s12, 0
	v_add_f32_e32 v66, 0x40051340, v5
	v_add_f32_e32 v62, 0x40051340, v6
	s_add_i32 s13, 0, 0xc0
	v_mov_b32_e32 v77, s29
	v_add_f32_e32 v61, 0x40051340, v7
	s_mov_b32 s30, 0x3fb8aa3b
	s_mov_b32 s28, 0xc2ce8ed0
	;; [unrolled: 1-line block ×3, first 2 shown]
	v_mov_b32_e32 v56, 0x7f800000
	s_mov_b32 s25, 0xc1a00000
	s_mov_b32 s8, 0x5040100
	s_waitcnt vmcnt(0) lgkmcnt(0)
	ds_write_b128 v33, v[8:11]
	flat_load_dwordx4 v[8:11], v[14:15]
	v_lshlrev_b64 v[14:15], 2, v[12:13]
	v_add_co_u32_e32 v13, vcc, s24, v14
	v_addc_co_u32_e32 v14, vcc, v22, v15, vcc
	v_add_co_u32_e32 v13, vcc, v13, v32
	v_addc_co_u32_e32 v14, vcc, 0, v14, vcc
	v_cndmask_b32_e64 v15, v41, v14, s[14:15]
	v_cndmask_b32_e64 v14, v43, v13, s[14:15]
	v_lshlrev_b64 v[12:13], 2, v[38:39]
	v_add_co_u32_e32 v12, vcc, s24, v12
	v_add_u32_e32 v39, 1, v16
	v_cmp_gt_u32_e64 s[18:19], s26, v39
	s_add_i32 s14, 0, 0xe0
	v_cndmask_b32_e64 v2, v2, v2, s[18:19]
	v_cndmask_b32_e64 v78, v3, v3, s[18:19]
	s_waitcnt vmcnt(0) lgkmcnt(0)
	ds_write_b128 v21, v[8:11]
	flat_load_dwordx4 v[8:11], v[14:15]
	v_mov_b32_e32 v14, s29
	v_addc_co_u32_e32 v13, vcc, v14, v13, vcc
	v_add_co_u32_e32 v12, vcc, v12, v32
	v_addc_co_u32_e32 v13, vcc, 0, v13, vcc
	v_cndmask_b32_e64 v13, v41, v13, s[16:17]
	v_cndmask_b32_e64 v12, v43, v12, s[16:17]
	v_mul_u32_u24_e32 v21, 0x108, v18
	v_mul_u32_u24_e32 v14, 0x210, v18
	v_or_b32_e32 v18, 3, v19
	v_or_b32_e32 v21, v21, v174
	v_mul_u32_u24_e32 v19, 0x420, v105
	v_mul_i32_i24_e32 v22, 0x210, v18
	v_mad_u32_u24 v18, v105, s9, 0
	v_add3_u32 v40, 0, 32, v19
	v_add3_u32 v42, 0, 64, v19
	;; [unrolled: 1-line block ×3, first 2 shown]
	v_cmp_gt_u32_e64 s[16:17], s26, v65
	v_add3_u32 v57, v40, v14, v104
	v_add3_u32 v58, v40, v22, v104
	;; [unrolled: 1-line block ×4, first 2 shown]
	v_mov_b32_e32 v15, s12
	s_waitcnt vmcnt(0) lgkmcnt(0)
	ds_write_b128 v20, v[8:11]
	flat_load_dwordx4 v[48:51], v[12:13]
	v_mbcnt_hi_u32_b32 v20, -1, v52
	v_and_b32_e32 v24, 64, v20
	v_xor_b32_e32 v28, 32, v20
	v_add_u32_e32 v16, 64, v24
	v_xor_b32_e32 v37, 16, v20
	v_cmp_lt_i32_e32 vcc, v28, v16
	v_add_f32_e32 v8, 0x40051340, v0
	v_max_f32_e32 v9, v47, v47
	v_cndmask_b32_e32 v52, v20, v28, vcc
	v_cmp_lt_i32_e32 vcc, v37, v16
	v_max_f32_e32 v23, v9, v8
	v_cndmask_b32_e32 v53, v20, v37, vcc
	v_add_u32_e32 v20, s31, v38
	v_cndmask_b32_e64 v44, v47, v23, s[20:21]
	v_lshlrev_b32_e32 v23, 1, v21
	v_ashrrev_i32_e32 v21, 31, v20
	v_add3_u32 v24, v18, v22, v104
	v_add_u32_e32 v28, v18, v23
	v_lshlrev_b64 v[18:19], 2, v[20:21]
	v_mov_b32_e32 v16, s29
	v_add_co_u32_e32 v18, vcc, s24, v18
	v_addc_co_u32_e32 v16, vcc, v16, v19, vcc
	v_add_co_u32_e32 v18, vcc, v18, v32
	v_addc_co_u32_e32 v16, vcc, 0, v16, vcc
	v_cndmask_b32_e64 v19, v41, v16, s[10:11]
	v_cndmask_b32_e64 v18, v43, v18, s[10:11]
	v_max_f32_e32 v45, v44, v44
	v_max_f32_e32 v38, v45, v26
	v_cndmask_b32_e64 v68, v44, v38, s[18:19]
	v_max_f32_e32 v69, v68, v68
	v_max_f32_e32 v67, v69, v67
	v_cndmask_b32_e64 v65, v68, v67, s[16:17]
	v_add_u32_e32 v68, s31, v20
	v_max_f32_e32 v20, v65, v65
	v_ashrrev_i32_e32 v69, 31, v68
	v_add_u32_e32 v70, s31, v68
	v_max_f32_e32 v20, v20, v71
	v_lshlrev_b64 v[68:69], 2, v[68:69]
	v_ashrrev_i32_e32 v71, 31, v70
	v_add_u32_e32 v72, s31, v70
	s_add_i32 s10, 0, 0x60
	s_add_i32 s11, 0, 0x80
	v_add_u32_e32 v59, v40, v23
	v_add_u32_e32 v37, v42, v23
	v_mov_b32_e32 v40, s10
	v_mov_b32_e32 v42, s11
	v_cmp_gt_u32_e64 s[10:11], s26, v35
	v_mov_b32_e32 v8, s12
	v_mov_b32_e32 v9, s12
	;; [unrolled: 1-line block ×6, first 2 shown]
	s_add_i32 s12, 0, 0xa0
	v_mov_b32_e32 v45, s12
	v_lshlrev_b32_e32 v26, 2, v52
	v_lshlrev_b32_e32 v21, 2, v53
	v_cndmask_b32_e64 v5, v5, v5, s[10:11]
	v_mad_u32_u24 v3, v105, s9, v40
	v_add_u32_e32 v55, v3, v23
	v_add3_u32 v53, v3, v14, v104
	v_add3_u32 v54, v3, v22, v104
	v_mad_u32_u24 v38, v105, s9, v42
	v_mad_u32_u24 v39, v105, s9, v45
	v_add_u32_e32 v52, v38, v23
	v_add3_u32 v45, v39, v14, v104
	s_waitcnt vmcnt(0) lgkmcnt(0)
	ds_write_b128 v17, v[48:51]
	flat_load_dwordx4 v[16:19], v[18:19]
	v_mov_b32_e32 v49, s14
	v_cmp_gt_u32_e64 s[14:15], s26, v73
	v_cndmask_b32_e64 v20, v65, v20, s[14:15]
	v_add_co_u32_e32 v65, vcc, s24, v68
	v_addc_co_u32_e32 v67, vcc, v75, v69, vcc
	v_add_co_u32_e32 v65, vcc, v65, v32
	v_lshlrev_b64 v[68:69], 2, v[70:71]
	v_addc_co_u32_e32 v67, vcc, 0, v67, vcc
	v_add_co_u32_e32 v71, vcc, s24, v68
	v_max_f32_e32 v70, v20, v20
	v_addc_co_u32_e32 v75, vcc, v76, v69, vcc
	v_cndmask_b32_e64 v69, v41, v67, s[6:7]
	v_cndmask_b32_e64 v68, v43, v65, s[6:7]
	v_max_f32_e32 v74, v70, v74
	v_add_co_u32_e32 v65, vcc, v71, v32
	v_ashrrev_i32_e32 v73, 31, v72
	v_mov_b32_e32 v48, s13
	v_lshlrev_b64 v[72:73], 2, v[72:73]
	v_addc_co_u32_e32 v67, vcc, 0, v75, vcc
	v_cmp_gt_u32_e64 s[12:13], s26, v63
	v_cmp_gt_u32_e64 s[6:7], s26, v60
	v_mad_u32_u24 v40, v105, s9, v48
	v_mad_u32_u24 v44, v105, s9, v49
	v_add3_u32 v49, v38, v14, v104
	v_add3_u32 v50, v38, v22, v104
	v_add_u32_e32 v51, v39, v23
	v_add3_u32 v48, v39, v22, v104
	v_add_u32_e32 v42, v40, v23
	v_add3_u32 v3, v40, v14, v104
	v_add3_u32 v38, v40, v22, v104
	v_add_u32_e32 v39, v44, v23
	v_add3_u32 v40, v44, v14, v104
	v_add3_u32 v44, v44, v22, v104
	s_waitcnt vmcnt(0) lgkmcnt(0)
	ds_write_b128 v36, v[16:19]
	flat_load_dwordx4 v[68:71], v[68:69]
	v_cndmask_b32_e64 v18, v20, v74, s[10:11]
	v_cndmask_b32_e64 v20, v6, v6, s[10:11]
	v_max_f32_e32 v6, v18, v18
	v_max_f32_e32 v6, v6, v66
	v_add_co_u32_e32 v16, vcc, s24, v72
	v_cndmask_b32_e64 v6, v18, v6, s[12:13]
	v_addc_co_u32_e32 v17, vcc, v77, v73, vcc
	v_cndmask_b32_e64 v19, v7, v7, s[10:11]
	v_max_f32_e32 v7, v6, v6
	v_max_f32_e32 v7, v7, v62
	v_cmp_gt_u32_e32 vcc, s26, v31
	v_cndmask_b32_e32 v6, v6, v7, vcc
	v_max_f32_e32 v7, v6, v6
	v_max_f32_e32 v7, v7, v61
	v_cndmask_b32_e64 v18, v6, v7, s[6:7]
	ds_bpermute_b32 v31, v26, v18
	v_max_f32_e32 v18, v18, v18
	v_cndmask_b32_e64 v7, v41, v67, s[4:5]
	v_cndmask_b32_e64 v6, v43, v65, s[4:5]
	v_add_co_u32_e64 v16, s[4:5], v16, v32
	s_waitcnt lgkmcnt(0)
	v_max_f32_e32 v31, v31, v31
	v_max_f32_e32 v18, v18, v31
	ds_bpermute_b32 v31, v21, v18
	v_cndmask_b32_e64 v60, v43, v16, s[22:23]
	v_addc_co_u32_e64 v17, s[4:5], 0, v17, s[4:5]
	v_cndmask_b32_e64 v61, v41, v17, s[22:23]
	s_waitcnt lgkmcnt(0)
	v_max_f32_e32 v16, v31, v31
	v_max_f32_e32 v16, v18, v16
	v_sub_f32_e32 v0, v0, v16
	v_sub_f32_e32 v1, v1, v16
	;; [unrolled: 1-line block ×4, first 2 shown]
	v_mul_f32_e32 v4, 0x3fb8aa3b, v0
	v_mul_f32_e32 v5, 0x3fb8aa3b, v1
	v_rndne_f32_e32 v66, v4
	v_rndne_f32_e32 v72, v5
	v_fma_f32 v65, v0, s30, -v4
	v_fma_f32 v67, v1, s30, -v5
	v_sub_f32_e32 v87, v4, v66
	v_sub_f32_e32 v88, v5, v72
	;; [unrolled: 1-line block ×6, first 2 shown]
	v_mul_f32_e32 v19, 0x3fb8aa3b, v2
	v_mul_f32_e32 v31, 0x3fb8aa3b, v18
	;; [unrolled: 1-line block ×6, first 2 shown]
	v_sub_f32_e32 v17, v78, v16
	v_fma_f32 v73, v2, s30, -v19
	v_rndne_f32_e32 v74, v19
	v_fma_f32 v77, v18, s30, -v31
	v_rndne_f32_e32 v78, v31
	;; [unrolled: 2-line block ×6, first 2 shown]
	v_fmac_f32_e32 v65, 0x32a5705f, v0
	v_mul_f32_e32 v20, 0x3fb8aa3b, v17
	v_fmac_f32_e32 v67, 0x32a5705f, v1
	v_fmac_f32_e32 v73, 0x32a5705f, v2
	v_sub_f32_e32 v19, v19, v74
	v_fmac_f32_e32 v77, 0x32a5705f, v18
	v_sub_f32_e32 v31, v31, v78
	;; [unrolled: 2-line block ×4, first 2 shown]
	v_fmac_f32_e32 v83, 0x32a5705f, v41
	s_waitcnt vmcnt(0)
	ds_write_b128 v30, v[68:71]
	flat_load_dwordx4 v[4:7], v[6:7]
	v_sub_f32_e32 v62, v62, v84
	v_fmac_f32_e32 v85, 0x32a5705f, v43
	v_sub_f32_e32 v63, v63, v86
	v_add_f32_e32 v65, v87, v65
	v_fma_f32 v75, v17, s30, -v20
	v_rndne_f32_e32 v76, v20
	v_cvt_i32_f32_e32 v66, v66
	v_add_f32_e32 v67, v88, v67
	v_add_f32_e32 v19, v19, v73
	;; [unrolled: 1-line block ×7, first 2 shown]
	v_exp_f32_e32 v65, v65
	v_cvt_i32_f32_e32 v72, v72
	v_cvt_i32_f32_e32 v30, v74
	v_fmac_f32_e32 v75, 0x32a5705f, v17
	v_sub_f32_e32 v20, v20, v76
	v_cvt_i32_f32_e32 v68, v76
	v_cvt_i32_f32_e32 v69, v78
	v_cvt_i32_f32_e32 v70, v80
	v_cvt_i32_f32_e32 v71, v82
	v_cvt_i32_f32_e32 v74, v84
	v_cvt_i32_f32_e32 v76, v86
	v_exp_f32_e32 v67, v67
	v_exp_f32_e32 v19, v19
	;; [unrolled: 1-line block ×7, first 2 shown]
	v_add_f32_e32 v20, v20, v75
	v_exp_f32_e32 v20, v20
	v_ldexp_f32 v65, v65, v66
	v_cmp_ngt_f32_e64 s[4:5], s28, v0
	v_ldexp_f32 v66, v67, v72
	v_ldexp_f32 v19, v19, v30
	;; [unrolled: 1-line block ×7, first 2 shown]
	v_cndmask_b32_e64 v63, 0, v65, s[4:5]
	v_cmp_ngt_f32_e64 s[4:5], s28, v1
	v_cndmask_b32_e64 v65, 0, v66, s[4:5]
	v_cmp_ngt_f32_e64 s[4:5], s28, v2
	v_ldexp_f32 v20, v20, v68
	v_cndmask_b32_e64 v19, 0, v19, s[4:5]
	v_cmp_ngt_f32_e64 s[4:5], s28, v17
	v_cndmask_b32_e64 v20, 0, v20, s[4:5]
	v_cmp_ngt_f32_e64 s[4:5], s28, v18
	;; [unrolled: 2-line block ×6, first 2 shown]
	v_cndmask_b32_e64 v69, 0, v62, s[4:5]
	v_cmp_nlt_f32_e64 s[4:5], s27, v0
	v_cndmask_b32_e64 v0, v56, v63, s[4:5]
	v_cmp_nlt_f32_e64 s[4:5], s27, v1
	;; [unrolled: 2-line block ×9, first 2 shown]
	v_cndmask_b32_e64 v1, v56, v69, s[4:5]
	s_waitcnt vmcnt(0) lgkmcnt(0)
	ds_write_b128 v27, v[4:7]
	flat_load_dwordx4 v[60:63], v[60:61]
	v_cmp_le_f32_e64 s[4:5], s25, v43
	v_cndmask_b32_e64 v1, 0, v1, s[4:5]
	v_cndmask_b32_e64 v4, v8, v32, s[16:17]
	v_cndmask_b32_e32 v8, v10, v18, vcc
	v_cvt_f16_f32_e32 v10, v1
	v_cndmask_b32_e64 v0, 0, v0, s[20:21]
	v_cndmask_b32_e64 v2, v15, v31, s[18:19]
	v_cndmask_b32_e64 v5, v9, v30, s[14:15]
	v_pk_mul_f16 v35, v10, v111 op_sel_hi:[0,1]
	v_pk_mul_f16 v41, v10, v121 op_sel_hi:[0,1]
	;; [unrolled: 1-line block ×4, first 2 shown]
	v_cndmask_b32_e64 v6, v12, v20, s[10:11]
	v_cndmask_b32_e64 v7, v11, v19, s[12:13]
	;; [unrolled: 1-line block ×3, first 2 shown]
	v_pk_mul_f16 v36, v10, v109 op_sel_hi:[0,1]
	v_pk_mul_f16 v43, v10, v120 op_sel_hi:[0,1]
	;; [unrolled: 1-line block ×5, first 2 shown]
	v_cvt_f32_f16_e32 v66, v35
	v_cvt_f32_f16_e32 v70, v41
	;; [unrolled: 1-line block ×4, first 2 shown]
	v_cvt_f16_f32_e32 v11, v0
	v_cvt_f16_f32_e32 v2, v2
	;; [unrolled: 1-line block ×8, first 2 shown]
	v_pk_mul_f16 v85, v10, v130 op_sel_hi:[0,1]
	v_cvt_f32_f16_sdwa v67, v35 dst_sel:DWORD dst_unused:UNUSED_PAD src0_sel:WORD_1
	v_cvt_f32_f16_e32 v68, v36
	v_cvt_f32_f16_sdwa v69, v36 dst_sel:DWORD dst_unused:UNUSED_PAD src0_sel:WORD_1
	v_cvt_f32_f16_sdwa v71, v41 dst_sel:DWORD dst_unused:UNUSED_PAD src0_sel:WORD_1
	v_cvt_f32_f16_e32 v72, v43
	v_cvt_f32_f16_sdwa v73, v43 dst_sel:DWORD dst_unused:UNUSED_PAD src0_sel:WORD_1
	;; [unrolled: 3-line block ×4, first 2 shown]
	v_cvt_f32_f16_e32 v82, v83
	v_cvt_f32_f16_sdwa v83, v83 dst_sel:DWORD dst_unused:UNUSED_PAD src0_sel:WORD_1
	v_cvt_f32_f16_e32 v84, v85
	v_cvt_f32_f16_sdwa v85, v85 dst_sel:DWORD dst_unused:UNUSED_PAD src0_sel:WORD_1
	v_accvgpr_write_b32 a24, v66
	v_accvgpr_write_b32 a20, v70
	;; [unrolled: 1-line block ×4, first 2 shown]
	v_pack_b32_f16 v8, v11, v2
	v_pack_b32_f16 v9, v12, v13
	;; [unrolled: 1-line block ×4, first 2 shown]
	v_accvgpr_write_b32 a25, v67
	v_accvgpr_write_b32 a26, v68
	;; [unrolled: 1-line block ×16, first 2 shown]
	v_pk_mul_f16 v87, v10, v156 op_sel_hi:[0,1]
	v_pk_mul_f16 v91, v10, v225 op_sel_hi:[0,1]
	;; [unrolled: 1-line block ×4, first 2 shown]
	v_cvt_f32_f16_e32 v86, v87
	v_cvt_f32_f16_e32 v90, v91
	s_waitcnt vmcnt(0) lgkmcnt(0)
	ds_write_b128 v25, v[60:63]
	s_waitcnt lgkmcnt(0)
	s_barrier
	ds_read_u16 v13, v29 offset:560
	ds_read_u16 v15, v29 offset:592
	;; [unrolled: 1-line block ×12, first 2 shown]
	ds_read_u16 v56, v24
	ds_read_u16 v63, v29 offset:17952
	ds_read_u16 v59, v59 offset:16896
	ds_read_u16 v65, v57 offset:17424
	ds_read_u16 v66, v57 offset:17952
	ds_read_u16 v58, v58 offset:16896
	ds_read_u16 v57, v29 offset:1056
	ds_read_u16 v67, v29 offset:1088
	ds_read_u16 v68, v29 offset:1120
	ds_read_u16 v69, v29 offset:1152
	ds_read_u16 v70, v29 offset:1184
	ds_read_u16 v71, v29 offset:1216
	ds_read_u16 v72, v29 offset:1248
	ds_read_u16 v73, v28
	ds_read_u16 v74, v28 offset:32
	ds_read_u16 v75, v28 offset:64
	;; [unrolled: 1-line block ×8, first 2 shown]
	s_waitcnt lgkmcnt(14)
	v_perm_b32 v57, v56, v57, s8
	s_waitcnt lgkmcnt(8)
	v_perm_b32 v56, v35, v73, s8
	ds_read_u16 v73, v37 offset:16896
	ds_read_u16 v80, v33 offset:17424
	;; [unrolled: 1-line block ×8, first 2 shown]
	v_perm_b32 v35, v36, v67, s8
	s_waitcnt lgkmcnt(14)
	v_perm_b32 v34, v13, v74, s8
	v_perm_b32 v37, v41, v68, s8
	;; [unrolled: 1-line block ×3, first 2 shown]
	v_mfma_f32_16x16x16f16 a[20:23], v[34:35], v[8:9], a[20:23]
	v_perm_b32 v35, v61, v69, s8
	s_waitcnt lgkmcnt(13)
	v_perm_b32 v34, v25, v76, s8
	v_cvt_f32_f16_sdwa v87, v87 dst_sel:DWORD dst_unused:UNUSED_PAD src0_sel:WORD_1
	v_cvt_f32_f16_e32 v88, v89
	v_cvt_f32_f16_sdwa v89, v89 dst_sel:DWORD dst_unused:UNUSED_PAD src0_sel:WORD_1
	v_cvt_f32_f16_sdwa v91, v91 dst_sel:DWORD dst_unused:UNUSED_PAD src0_sel:WORD_1
	v_cvt_f32_f16_e32 v92, v93
	v_mfma_f32_16x16x16f16 a[12:15], v[34:35], v[8:9], a[12:15]
	v_perm_b32 v35, v62, v70, s8
	s_waitcnt lgkmcnt(12)
	v_perm_b32 v34, v27, v77, s8
	v_cvt_f32_f16_sdwa v93, v93 dst_sel:DWORD dst_unused:UNUSED_PAD src0_sel:WORD_1
	v_accvgpr_write_b32 a4, v86
	v_accvgpr_write_b32 a0, v90
	;; [unrolled: 1-line block ×8, first 2 shown]
	v_mfma_f32_16x16x16f16 a[24:27], v[56:57], v[8:9], a[24:27]
	ds_read_u16 v13, v52 offset:16896
	ds_read_u16 v52, v49 offset:17424
	;; [unrolled: 1-line block ×16, first 2 shown]
	s_waitcnt lgkmcnt(14)
	v_perm_b32 v48, v82, v55, s8
	s_waitcnt lgkmcnt(4)
	v_perm_b32 v55, v38, v3, s8
	v_perm_b32 v49, v54, v53, s8
	;; [unrolled: 1-line block ×4, first 2 shown]
	v_mfma_f32_16x16x16f16 a[16:19], v[36:37], v[8:9], a[16:19]
	ds_read_u16 v25, v24 offset:160
	ds_read_u16 v36, v24 offset:192
	;; [unrolled: 1-line block ×11, first 2 shown]
	v_accvgpr_read_b32 v3, a24
	v_perm_b32 v54, v68, v15, s8
	v_accvgpr_read_b32 v13, a25
	v_accvgpr_read_b32 v15, a26
	v_cvt_f16_f32_e32 v3, v3
	v_cvt_f16_f32_e32 v13, v13
	v_mfma_f32_16x16x16f16 a[8:11], v[34:35], v[8:9], a[8:11]
	s_waitcnt lgkmcnt(10)
	v_perm_b32 v35, v25, v71, s8
	v_perm_b32 v34, v47, v78, s8
	v_accvgpr_read_b32 v25, a27
	v_cvt_f16_f32_e32 v15, v15
	v_cvt_f16_f32_e32 v25, v25
	s_waitcnt lgkmcnt(2)
	v_perm_b32 v40, v37, v43, s8
	v_perm_b32 v53, v83, v74, s8
	v_mfma_f32_16x16x16f16 a[4:7], v[34:35], v[8:9], a[4:7]
	v_perm_b32 v35, v36, v72, s8
	v_perm_b32 v34, v60, v79, s8
	v_accvgpr_read_b32 v27, a20
	v_accvgpr_read_b32 v36, a16
	;; [unrolled: 1-line block ×3, first 2 shown]
	s_waitcnt lgkmcnt(0)
	v_perm_b32 v41, v39, v63, s8
	v_perm_b32 v45, v81, v33, s8
	v_mfma_f32_16x16x16f16 a[0:3], v[34:35], v[8:9], a[0:3]
	v_accvgpr_read_b32 v34, a22
	v_accvgpr_read_b32 v35, a23
	v_cvt_f16_f32_e32 v74, v34
	v_cvt_f32_f16_e32 v34, v3
	v_accvgpr_read_b32 v33, a21
	v_accvgpr_read_b32 v38, a18
	;; [unrolled: 1-line block ×3, first 2 shown]
	v_cvt_f16_f32_e32 v27, v27
	v_cvt_f16_f32_e32 v77, v35
	;; [unrolled: 1-line block ×4, first 2 shown]
	v_cvt_f32_f16_e32 v35, v13
	v_cvt_f32_f16_e32 v36, v15
	;; [unrolled: 1-line block ×3, first 2 shown]
	v_perm_b32 v44, v80, v73, s8
	v_cvt_f16_f32_e32 v33, v33
	v_cvt_f16_f32_e32 v80, v38
	;; [unrolled: 1-line block ×3, first 2 shown]
	v_accvgpr_read_b32 v70, a0
	v_accvgpr_read_b32 v71, a1
	;; [unrolled: 1-line block ×4, first 2 shown]
	v_accvgpr_write_b32 a0, v34
	v_perm_b32 v42, v65, v59, s8
	v_accvgpr_read_b32 v47, a12
	v_accvgpr_read_b32 v59, a8
	v_cvt_f32_f16_e32 v38, v27
	v_accvgpr_write_b32 a1, v35
	v_accvgpr_write_b32 a2, v36
	;; [unrolled: 1-line block ×3, first 2 shown]
	v_cvt_f32_f16_e32 v34, v78
	v_perm_b32 v43, v58, v66, s8
	v_perm_b32 v52, v67, v57, s8
	v_accvgpr_read_b32 v56, a13
	v_accvgpr_read_b32 v57, a14
	;; [unrolled: 1-line block ×6, first 2 shown]
	v_cvt_f16_f32_e32 v47, v47
	v_cvt_f16_f32_e32 v3, v59
	v_mfma_f32_16x16x16f16 a[0:3], v[40:41], v[6:7], a[0:3]
	v_cvt_f32_f16_e32 v39, v33
	v_cvt_f32_f16_e32 v40, v74
	;; [unrolled: 1-line block ×6, first 2 shown]
	v_cvt_f16_f32_e32 v56, v56
	v_cvt_f16_f32_e32 v57, v57
	;; [unrolled: 1-line block ×6, first 2 shown]
	v_accvgpr_read_b32 v65, a4
	v_accvgpr_read_b32 v66, a5
	;; [unrolled: 1-line block ×4, first 2 shown]
	v_accvgpr_write_b32 a4, v38
	v_accvgpr_write_b32 a8, v34
	v_accvgpr_write_b32 a5, v39
	v_accvgpr_write_b32 a6, v40
	v_accvgpr_write_b32 a7, v41
	v_cvt_f32_f16_e32 v38, v47
	v_accvgpr_write_b32 a9, v35
	v_accvgpr_write_b32 a10, v36
	;; [unrolled: 1-line block ×3, first 2 shown]
	v_cvt_f32_f16_e32 v34, v3
	v_cvt_f16_f32_e32 v27, v65
	v_cvt_f32_f16_e32 v39, v56
	v_cvt_f32_f16_e32 v40, v57
	;; [unrolled: 1-line block ×6, first 2 shown]
	v_cvt_f16_f32_e32 v3, v70
	v_mfma_f32_16x16x16f16 a[4:7], v[42:43], v[6:7], a[4:7]
	v_cvt_f16_f32_e32 v33, v66
	v_cvt_f16_f32_e32 v42, v67
	;; [unrolled: 1-line block ×6, first 2 shown]
	v_accvgpr_write_b32 a12, v38
	v_accvgpr_write_b32 a16, v34
	v_accvgpr_write_b32 a13, v39
	v_accvgpr_write_b32 a14, v40
	v_accvgpr_write_b32 a15, v41
	v_cvt_f32_f16_e32 v38, v27
	v_accvgpr_write_b32 a17, v35
	v_accvgpr_write_b32 a18, v36
	v_accvgpr_write_b32 a19, v37
	v_cvt_f32_f16_e32 v34, v3
	v_cvt_f32_f16_e32 v39, v33
	;; [unrolled: 1-line block ×7, first 2 shown]
	v_pk_mul_f16 v4, v10, v110 op_sel_hi:[0,1]
	v_pk_mul_f16 v5, v10, v102 op_sel_hi:[0,1]
	v_accvgpr_write_b32 a20, v38
	v_accvgpr_write_b32 a24, v34
	v_cvt_f32_f16_e32 v2, v4
	ds_read_u16 v91, v24 offset:480
	v_accvgpr_write_b32 a21, v39
	v_accvgpr_write_b32 a22, v40
	;; [unrolled: 1-line block ×3, first 2 shown]
	v_cvt_f32_f16_sdwa v3, v4 dst_sel:DWORD dst_unused:UNUSED_PAD src0_sel:WORD_1
	v_cvt_f32_f16_e32 v4, v5
	v_cvt_f32_f16_sdwa v5, v5 dst_sel:DWORD dst_unused:UNUSED_PAD src0_sel:WORD_1
	v_accvgpr_write_b32 a25, v35
	v_accvgpr_write_b32 a26, v36
	;; [unrolled: 1-line block ×3, first 2 shown]
	ds_read_u16 v13, v29 offset:1280
	ds_read_u16 v15, v29 offset:1312
	;; [unrolled: 1-line block ×8, first 2 shown]
	v_mfma_f32_16x16x16f16 a[8:11], v[44:45], v[6:7], a[8:11]
	s_waitcnt lgkmcnt(7)
	v_perm_b32 v35, v61, v13, s8
	ds_read_u16 v13, v29 offset:752
	ds_read_u16 v39, v29 offset:784
	;; [unrolled: 1-line block ×8, first 2 shown]
	s_waitcnt lgkmcnt(7)
	v_perm_b32 v34, v13, v11, s8
	v_accvgpr_write_b32 a31, v5
	v_accvgpr_write_b32 a30, v4
	v_accvgpr_write_b32 a29, v3
	v_accvgpr_write_b32 a28, v2
	v_pk_mul_f16 v13, v10, v250 op_sel_hi:[0,1]
	v_pk_mul_f16 v11, v10, v252 op_sel_hi:[0,1]
	v_mfma_f32_16x16x16f16 a[28:31], v[34:35], v[8:9], a[28:31]
	v_perm_b32 v35, v86, v85, s8
	v_perm_b32 v34, v84, v75, s8
	;; [unrolled: 1-line block ×3, first 2 shown]
	s_add_i32 s4, 0, 0x100
	v_mfma_f32_16x16x16f16 a[12:15], v[48:49], v[6:7], a[12:15]
	s_nop 5
	v_accvgpr_read_b32 v5, a31
	v_accvgpr_read_b32 v2, a28
	v_accvgpr_read_b32 v3, a29
	v_accvgpr_read_b32 v4, a30
	v_cvt_f16_f32_e32 v5, v5
	v_cvt_f16_f32_e32 v2, v2
	v_cvt_f16_f32_e32 v3, v3
	v_cvt_f16_f32_e32 v4, v4
	v_cvt_f32_f16_e32 v5, v5
	v_cvt_f32_f16_e32 v2, v2
	;; [unrolled: 1-line block ×4, first 2 shown]
	v_accvgpr_write_b32 a31, v5
	v_accvgpr_write_b32 a28, v2
	;; [unrolled: 1-line block ×4, first 2 shown]
	v_cvt_f32_f16_sdwa v5, v13 dst_sel:DWORD dst_unused:UNUSED_PAD src0_sel:WORD_1
	v_cvt_f32_f16_e32 v2, v11
	v_mfma_f32_16x16x16f16 a[28:31], v[34:35], v[6:7], a[28:31]
	v_cvt_f32_f16_sdwa v3, v11 dst_sel:DWORD dst_unused:UNUSED_PAD src0_sel:WORD_1
	v_cvt_f32_f16_e32 v4, v13
	ds_read_u16 v11, v28 offset:256
	ds_read_u16 v13, v28 offset:288
	;; [unrolled: 1-line block ×8, first 2 shown]
	s_waitcnt lgkmcnt(7)
	v_perm_b32 v28, v39, v11, s8
	v_accvgpr_write_b32 a35, v5
	v_accvgpr_write_b32 a34, v4
	;; [unrolled: 1-line block ×4, first 2 shown]
	v_mov_b32_e32 v11, s4
	s_add_i32 s4, 0, 0x120
	v_mfma_f32_16x16x16f16 a[32:35], v[28:29], v[8:9], a[32:35]
	v_mov_b32_e32 v39, s4
	v_mad_u32_u24 v11, v105, s9, v11
	v_mad_u32_u24 v39, v105, s9, v39
	v_add_u32_e32 v28, v11, v23
	v_add3_u32 v29, v11, v14, v104
	v_add3_u32 v11, v11, v22, v104
	s_add_i32 s4, 0, 0x140
	v_mfma_f32_16x16x16f16 a[16:19], v[50:51], v[6:7], a[16:19]
	v_add_u32_e32 v50, v39, v23
	v_add3_u32 v51, v39, v14, v104
	v_add3_u32 v39, v39, v22, v104
	v_accvgpr_read_b32 v5, a35
	v_accvgpr_read_b32 v2, a32
	;; [unrolled: 1-line block ×4, first 2 shown]
	v_cvt_f16_f32_e32 v5, v5
	v_cvt_f16_f32_e32 v2, v2
	;; [unrolled: 1-line block ×4, first 2 shown]
	v_mfma_f32_16x16x16f16 a[20:23], v[52:53], v[6:7], a[20:23]
	v_cvt_f32_f16_e32 v5, v5
	ds_read_u16 v28, v28 offset:16896
	ds_read_u16 v52, v29 offset:17424
	;; [unrolled: 1-line block ×8, first 2 shown]
	v_cvt_f32_f16_e32 v2, v2
	v_cvt_f32_f16_e32 v3, v3
	;; [unrolled: 1-line block ×3, first 2 shown]
	s_waitcnt lgkmcnt(4)
	v_perm_b32 v29, v11, v29, s8
	v_perm_b32 v28, v52, v28, s8
	v_pk_mul_f16 v52, v10, v248 op_sel_hi:[0,1]
	v_accvgpr_write_b32 a35, v5
	v_pk_mul_f16 v11, v10, v249 op_sel_hi:[0,1]
	v_accvgpr_write_b32 a34, v4
	v_accvgpr_write_b32 a33, v3
	;; [unrolled: 1-line block ×3, first 2 shown]
	v_cvt_f32_f16_sdwa v5, v52 dst_sel:DWORD dst_unused:UNUSED_PAD src0_sel:WORD_1
	v_cvt_f32_f16_e32 v2, v11
	v_mfma_f32_16x16x16f16 a[32:35], v[28:29], v[6:7], a[32:35]
	v_cvt_f32_f16_sdwa v3, v11 dst_sel:DWORD dst_unused:UNUSED_PAD src0_sel:WORD_1
	v_cvt_f32_f16_e32 v4, v52
	v_perm_b32 v29, v76, v25, s8
	v_perm_b32 v28, v40, v13, s8
	v_accvgpr_write_b32 a39, v5
	v_accvgpr_write_b32 a38, v4
	;; [unrolled: 1-line block ×4, first 2 shown]
	v_pk_mul_f16 v13, v10, v107 op_sel_hi:[0,1]
	v_pk_mul_f16 v11, v10, v108 op_sel_hi:[0,1]
	v_mfma_f32_16x16x16f16 a[36:39], v[28:29], v[8:9], a[36:39]
	s_waitcnt lgkmcnt(0)
	v_perm_b32 v29, v39, v51, s8
	v_perm_b32 v28, v53, v50, s8
	v_mfma_f32_16x16x16f16 a[24:27], v[54:55], v[6:7], a[24:27]
	s_nop 6
	v_accvgpr_read_b32 v5, a39
	v_accvgpr_read_b32 v2, a36
	;; [unrolled: 1-line block ×4, first 2 shown]
	v_cvt_f16_f32_e32 v5, v5
	v_cvt_f16_f32_e32 v2, v2
	;; [unrolled: 1-line block ×4, first 2 shown]
	v_cvt_f32_f16_e32 v5, v5
	v_cvt_f32_f16_e32 v2, v2
	;; [unrolled: 1-line block ×4, first 2 shown]
	v_accvgpr_write_b32 a39, v5
	v_accvgpr_write_b32 a36, v2
	;; [unrolled: 1-line block ×4, first 2 shown]
	v_cvt_f32_f16_sdwa v5, v13 dst_sel:DWORD dst_unused:UNUSED_PAD src0_sel:WORD_1
	v_cvt_f32_f16_e32 v2, v11
	v_mfma_f32_16x16x16f16 a[36:39], v[28:29], v[6:7], a[36:39]
	v_cvt_f32_f16_sdwa v3, v11 dst_sel:DWORD dst_unused:UNUSED_PAD src0_sel:WORD_1
	v_cvt_f32_f16_e32 v4, v13
	v_perm_b32 v29, v87, v27, s8
	v_perm_b32 v28, v41, v15, s8
	v_accvgpr_write_b32 a43, v5
	v_accvgpr_write_b32 a42, v4
	v_accvgpr_write_b32 a41, v3
	v_accvgpr_write_b32 a40, v2
	v_mov_b32_e32 v11, s4
	s_add_i32 s4, 0, 0x160
	v_mfma_f32_16x16x16f16 a[40:43], v[28:29], v[8:9], a[40:43]
	v_mov_b32_e32 v25, s4
	v_mad_u32_u24 v11, v105, s9, v11
	v_mad_u32_u24 v25, v105, s9, v25
	v_add_u32_e32 v13, v11, v23
	v_add3_u32 v15, v11, v14, v104
	v_add3_u32 v11, v11, v22, v104
	v_add_u32_e32 v27, v25, v23
	v_add3_u32 v28, v25, v14, v104
	v_add3_u32 v25, v25, v22, v104
	ds_read_u16 v13, v13 offset:16896
	ds_read_u16 v39, v15 offset:17424
	;; [unrolled: 1-line block ×8, first 2 shown]
	v_accvgpr_read_b32 v5, a43
	v_accvgpr_read_b32 v2, a40
	;; [unrolled: 1-line block ×4, first 2 shown]
	v_cvt_f16_f32_e32 v5, v5
	v_cvt_f16_f32_e32 v2, v2
	;; [unrolled: 1-line block ×4, first 2 shown]
	v_cvt_f32_f16_e32 v5, v5
	v_cvt_f32_f16_e32 v2, v2
	;; [unrolled: 1-line block ×4, first 2 shown]
	s_waitcnt lgkmcnt(4)
	v_perm_b32 v29, v11, v15, s8
	v_perm_b32 v28, v39, v13, s8
	v_pk_mul_f16 v13, v10, v251 op_sel_hi:[0,1]
	v_accvgpr_write_b32 a43, v5
	v_pk_mul_f16 v11, v10, v253 op_sel_hi:[0,1]
	v_accvgpr_write_b32 a42, v4
	v_accvgpr_write_b32 a41, v3
	;; [unrolled: 1-line block ×3, first 2 shown]
	v_cvt_f32_f16_sdwa v5, v13 dst_sel:DWORD dst_unused:UNUSED_PAD src0_sel:WORD_1
	v_cvt_f32_f16_e32 v2, v11
	v_mfma_f32_16x16x16f16 a[40:43], v[28:29], v[6:7], a[40:43]
	v_cvt_f32_f16_sdwa v3, v11 dst_sel:DWORD dst_unused:UNUSED_PAD src0_sel:WORD_1
	v_cvt_f32_f16_e32 v4, v13
	v_perm_b32 v29, v88, v33, s8
	v_perm_b32 v28, v42, v34, s8
	v_accvgpr_write_b32 a47, v5
	v_accvgpr_write_b32 a46, v4
	;; [unrolled: 1-line block ×4, first 2 shown]
	ds_read_u16 v13, v24 offset:416
	ds_read_u16 v15, v24 offset:448
	v_mfma_f32_16x16x16f16 a[44:47], v[28:29], v[8:9], a[44:47]
	s_waitcnt lgkmcnt(2)
	v_perm_b32 v25, v25, v41, s8
	v_perm_b32 v24, v40, v27, s8
	v_pk_mul_f16 v27, v10, v123 op_sel_hi:[0,1]
	v_pk_mul_f16 v11, v10, v128 op_sel_hi:[0,1]
	s_add_i32 s4, 0, 0x180
	s_nop 4
	v_accvgpr_read_b32 v5, a47
	v_accvgpr_read_b32 v2, a44
	;; [unrolled: 1-line block ×4, first 2 shown]
	v_cvt_f16_f32_e32 v5, v5
	v_cvt_f16_f32_e32 v2, v2
	;; [unrolled: 1-line block ×4, first 2 shown]
	v_cvt_f32_f16_e32 v5, v5
	v_cvt_f32_f16_e32 v2, v2
	;; [unrolled: 1-line block ×4, first 2 shown]
	v_accvgpr_write_b32 a47, v5
	v_accvgpr_write_b32 a44, v2
	;; [unrolled: 1-line block ×4, first 2 shown]
	v_cvt_f32_f16_sdwa v5, v27 dst_sel:DWORD dst_unused:UNUSED_PAD src0_sel:WORD_1
	v_cvt_f32_f16_e32 v2, v11
	v_mfma_f32_16x16x16f16 a[44:47], v[24:25], v[6:7], a[44:47]
	v_cvt_f32_f16_sdwa v3, v11 dst_sel:DWORD dst_unused:UNUSED_PAD src0_sel:WORD_1
	v_cvt_f32_f16_e32 v4, v27
	v_perm_b32 v25, v89, v36, s8
	v_perm_b32 v24, v43, v35, s8
	v_accvgpr_write_b32 a51, v5
	v_accvgpr_write_b32 a50, v4
	;; [unrolled: 1-line block ×4, first 2 shown]
	v_add_f32_e32 v11, v31, v0
	v_cndmask_b32_e64 v0, v0, v11, s[18:19]
	v_mfma_f32_16x16x16f16 a[48:51], v[24:25], v[8:9], a[48:51]
	v_mov_b32_e32 v24, s4
	s_add_i32 s4, 0, 0x1a0
	v_mov_b32_e32 v28, s4
	v_mad_u32_u24 v24, v105, s9, v24
	v_mad_u32_u24 v28, v105, s9, v28
	v_add_u32_e32 v25, v24, v23
	v_add3_u32 v27, v24, v14, v104
	v_add3_u32 v24, v24, v22, v104
	v_add_u32_e32 v29, v28, v23
	v_add3_u32 v31, v28, v14, v104
	v_add3_u32 v28, v28, v22, v104
	v_accvgpr_read_b32 v5, a51
	v_accvgpr_read_b32 v2, a48
	v_accvgpr_read_b32 v3, a49
	v_accvgpr_read_b32 v4, a50
	v_cvt_f16_f32_e32 v5, v5
	v_cvt_f16_f32_e32 v2, v2
	;; [unrolled: 1-line block ×4, first 2 shown]
	v_add_f32_e32 v11, v0, v32
	v_cvt_f32_f16_e32 v5, v5
	ds_read_u16 v32, v25 offset:16896
	ds_read_u16 v33, v27 offset:17424
	;; [unrolled: 1-line block ×8, first 2 shown]
	v_cvt_f32_f16_e32 v2, v2
	v_cvt_f32_f16_e32 v3, v3
	;; [unrolled: 1-line block ×3, first 2 shown]
	s_waitcnt lgkmcnt(4)
	v_perm_b32 v25, v24, v25, s8
	v_perm_b32 v24, v33, v32, s8
	v_pk_mul_f16 v32, v10, v103 op_sel_hi:[0,1]
	v_accvgpr_write_b32 a51, v5
	v_cndmask_b32_e64 v0, v0, v11, s[16:17]
	v_pk_mul_f16 v11, v10, v106 op_sel_hi:[0,1]
	v_accvgpr_write_b32 a50, v4
	v_accvgpr_write_b32 a49, v3
	v_accvgpr_write_b32 a48, v2
	v_cvt_f32_f16_sdwa v5, v32 dst_sel:DWORD dst_unused:UNUSED_PAD src0_sel:WORD_1
	v_cvt_f32_f16_e32 v2, v11
	v_mfma_f32_16x16x16f16 a[48:51], v[24:25], v[6:7], a[48:51]
	v_cvt_f32_f16_sdwa v3, v11 dst_sel:DWORD dst_unused:UNUSED_PAD src0_sel:WORD_1
	v_cvt_f32_f16_e32 v4, v32
	v_perm_b32 v25, v13, v37, s8
	v_perm_b32 v24, v44, v47, s8
	v_accvgpr_write_b32 a55, v5
	v_accvgpr_write_b32 a54, v4
	;; [unrolled: 1-line block ×4, first 2 shown]
	v_add_f32_e32 v11, v0, v30
	v_cndmask_b32_e64 v11, v0, v11, s[14:15]
	v_mfma_f32_16x16x16f16 a[52:55], v[24:25], v[8:9], a[52:55]
	s_waitcnt lgkmcnt(0)
	v_perm_b32 v25, v28, v31, s8
	v_perm_b32 v24, v29, v27, s8
	v_pk_mul_f16 v13, v10, v115 op_sel_hi:[0,1]
	s_add_i32 s4, 0, 0x1c0
	s_nop 5
	v_accvgpr_read_b32 v2, a53
	v_cvt_f16_f32_e32 v3, v2
	v_accvgpr_read_b32 v2, a54
	v_cvt_f16_f32_e32 v4, v2
	v_accvgpr_read_b32 v2, a55
	v_accvgpr_read_b32 v0, a52
	v_cvt_f16_f32_e32 v5, v2
	v_cvt_f16_f32_e32 v0, v0
	v_cvt_f32_f16_e32 v3, v3
	v_cvt_f32_f16_e32 v4, v4
	;; [unrolled: 1-line block ×4, first 2 shown]
	v_add_f32_e32 v0, v20, v11
	v_pk_mul_f16 v20, v10, v114 op_sel_hi:[0,1]
	v_accvgpr_write_b32 a55, v5
	v_accvgpr_write_b32 a54, v4
	;; [unrolled: 1-line block ×4, first 2 shown]
	v_cvt_f32_f16_sdwa v5, v20 dst_sel:DWORD dst_unused:UNUSED_PAD src0_sel:WORD_1
	v_cvt_f32_f16_e32 v2, v13
	v_mfma_f32_16x16x16f16 a[52:55], v[24:25], v[6:7], a[52:55]
	v_cvt_f32_f16_sdwa v3, v13 dst_sel:DWORD dst_unused:UNUSED_PAD src0_sel:WORD_1
	v_cvt_f32_f16_e32 v4, v20
	v_perm_b32 v25, v15, v38, s8
	v_perm_b32 v24, v45, v48, s8
	v_accvgpr_write_b32 a59, v5
	v_accvgpr_write_b32 a58, v4
	;; [unrolled: 1-line block ×4, first 2 shown]
	v_cndmask_b32_e64 v0, v11, v0, s[10:11]
	v_add_f32_e32 v11, v19, v0
	v_mfma_f32_16x16x16f16 a[56:59], v[24:25], v[8:9], a[56:59]
	v_cndmask_b32_e64 v0, v0, v11, s[12:13]
	v_mov_b32_e32 v11, s4
	s_add_i32 s4, 0, 0x1e0
	v_mov_b32_e32 v19, s4
	v_mad_u32_u24 v11, v105, s9, v11
	v_mad_u32_u24 v19, v105, s9, v19
	v_add_u32_e32 v13, v11, v23
	v_add3_u32 v15, v11, v14, v104
	v_add3_u32 v11, v11, v22, v104
	v_add_u32_e32 v20, v19, v23
	v_add3_u32 v14, v19, v14, v104
	v_accvgpr_read_b32 v5, a59
	v_accvgpr_read_b32 v2, a56
	;; [unrolled: 1-line block ×4, first 2 shown]
	v_cvt_f16_f32_e32 v5, v5
	v_cvt_f16_f32_e32 v2, v2
	;; [unrolled: 1-line block ×4, first 2 shown]
	v_cvt_f32_f16_e32 v5, v5
	v_cvt_f32_f16_e32 v2, v2
	;; [unrolled: 1-line block ×4, first 2 shown]
	v_add3_u32 v19, v19, v22, v104
	ds_read_u16 v13, v13 offset:16896
	ds_read_u16 v22, v15 offset:17424
	;; [unrolled: 1-line block ×8, first 2 shown]
	s_waitcnt lgkmcnt(4)
	v_perm_b32 v15, v11, v15, s8
	v_pk_mul_f16 v11, v10, v112 op_sel_hi:[0,1]
	v_pk_mul_f16 v10, v10, v113 op_sel_hi:[0,1]
	v_accvgpr_write_b32 a59, v5
	v_accvgpr_write_b32 a58, v4
	v_accvgpr_write_b32 a57, v3
	v_accvgpr_write_b32 a56, v2
	v_cvt_f32_f16_sdwa v5, v10 dst_sel:DWORD dst_unused:UNUSED_PAD src0_sel:WORD_1
	v_cvt_f32_f16_e32 v2, v11
	v_cvt_f32_f16_sdwa v3, v11 dst_sel:DWORD dst_unused:UNUSED_PAD src0_sel:WORD_1
	v_cvt_f32_f16_e32 v4, v10
	v_perm_b32 v11, v91, v90, s8
	v_perm_b32 v10, v12, v49, s8
	v_accvgpr_write_b32 a63, v5
	v_accvgpr_write_b32 a62, v4
	v_accvgpr_write_b32 a61, v3
	v_accvgpr_write_b32 a60, v2
	v_perm_b32 v14, v22, v13, s8
	v_add_f32_e32 v13, v18, v0
	v_mfma_f32_16x16x16f16 a[60:63], v[10:11], v[8:9], a[60:63]
	v_cndmask_b32_e32 v0, v0, v13, vcc
	v_add_f32_e32 v12, v17, v0
	v_cndmask_b32_e64 v0, v0, v12, s[6:7]
	s_waitcnt lgkmcnt(0)
	v_perm_b32 v9, v19, v24, s8
	v_perm_b32 v8, v23, v20, s8
	v_fmac_f32_e32 v0, v46, v1
	ds_bpermute_b32 v1, v26, v0
	v_mfma_f32_16x16x16f16 a[56:59], v[14:15], v[6:7], a[56:59]
	s_movk_i32 s8, 0x210
	v_cmp_gt_u32_e64 s[4:5], 16, v64
	s_waitcnt lgkmcnt(0)
	v_accvgpr_read_b32 v5, a63
	v_accvgpr_read_b32 v2, a60
	;; [unrolled: 1-line block ×4, first 2 shown]
	v_cvt_f16_f32_e32 v5, v5
	v_cvt_f16_f32_e32 v2, v2
	;; [unrolled: 1-line block ×4, first 2 shown]
	v_cvt_f32_f16_e32 v5, v5
	v_cvt_f32_f16_e32 v2, v2
	;; [unrolled: 1-line block ×4, first 2 shown]
	v_accvgpr_write_b32 a63, v5
	v_accvgpr_write_b32 a60, v2
	;; [unrolled: 1-line block ×4, first 2 shown]
	v_add_f32_e32 v0, v0, v1
	ds_bpermute_b32 v1, v21, v0
	v_mfma_f32_16x16x16f16 a[60:63], v[8:9], v[6:7], a[60:63]
	s_barrier
	s_waitcnt lgkmcnt(0)
	s_and_saveexec_b64 s[6:7], s[4:5]
	s_cbranch_execz .LBB30_598
; %bb.597:
	v_add_f32_e32 v0, v0, v1
	v_or_b32_e32 v1, v94, v64
	v_mad_u32_u24 v1, v1, s8, 0
	ds_write2_b32 v1, v16, v0 offset0:128 offset1:129
.LBB30_598:
	s_or_b64 exec, exec, s[6:7]
	v_cmp_eq_u32_e32 vcc, 0, v96
	v_cmp_eq_u32_e64 s[6:7], 1, v96
	s_waitcnt lgkmcnt(0)
	s_barrier
	s_and_saveexec_b64 s[8:9], s[6:7]
	v_readlane_b32 s12, v254, 26
	v_readlane_b32 s18, v254, 32
	v_readlane_b32 s19, v254, 33
	v_readlane_b32 s26, v254, 40
	v_readlane_b32 s27, v254, 41
	s_xor_b64 s[6:7], exec, s[8:9]
	s_mov_b64 s[18:19], s[26:27]
	v_readlane_b32 s13, v254, 27
	v_readlane_b32 s14, v254, 28
	;; [unrolled: 1-line block ×11, first 2 shown]
	s_cbranch_execz .LBB30_600
; %bb.599:
	s_barrier
	s_waitcnt lgkmcnt(0)
                                        ; implicit-def: $vgpr95
                                        ; implicit-def: $vgpr21
.LBB30_600:
	s_andn2_saveexec_b64 s[8:9], s[6:7]
	s_cbranch_execz .LBB30_606
; %bb.601:
	v_and_or_b32 v1, v64, 31, v94
	s_movk_i32 s6, 0x210
	v_mad_u32_u24 v0, v1, s6, 0
	ds_read_b64 v[4:5], v0 offset:512
	s_mov_b32 s6, 0x3fb8aa3b
	s_mov_b32 s10, 0x42b17218
	s_waitcnt lgkmcnt(0)
	s_barrier
	ds_bpermute_b32 v0, v21, v4
	v_max_f32_e32 v2, v4, v4
	s_waitcnt lgkmcnt(0)
	v_max_f32_e32 v0, v0, v0
	v_max_f32_e32 v0, v2, v0
	v_sub_f32_e32 v2, v4, v0
	v_mul_f32_e32 v3, 0x3fb8aa3b, v2
	v_fma_f32 v4, v2, s6, -v3
	v_rndne_f32_e32 v6, v3
	v_fmac_f32_e32 v4, 0x32a5705f, v2
	v_sub_f32_e32 v3, v3, v6
	v_add_f32_e32 v3, v3, v4
	v_cvt_i32_f32_e32 v6, v6
	v_exp_f32_e32 v3, v3
	s_mov_b32 s6, 0xc2ce8ed0
	v_cmp_ngt_f32_e64 s[6:7], s6, v2
	v_mov_b32_e32 v4, 0x7f800000
	v_ldexp_f32 v3, v3, v6
	v_cndmask_b32_e64 v3, 0, v3, s[6:7]
	v_cmp_nlt_f32_e64 s[6:7], s10, v2
	v_cndmask_b32_e64 v2, v4, v3, s[6:7]
	v_mul_f32_e32 v3, v5, v2
	ds_bpermute_b32 v3, v21, v3
	v_cmp_gt_u32_e64 s[6:7], 32, v64
	s_waitcnt lgkmcnt(0)
	v_fmac_f32_e32 v3, v5, v2
	s_and_saveexec_b64 s[10:11], s[6:7]
	s_cbranch_execz .LBB30_603
; %bb.602:
	v_mul_u32_u24_e32 v1, 0x210, v1
	v_add_u32_e32 v1, 0, v1
	ds_write_b64 v1, v[2:3] offset:512
.LBB30_603:
	s_or_b64 exec, exec, s[10:11]
	s_and_saveexec_b64 s[6:7], s[4:5]
	s_cbranch_execz .LBB30_605
; %bb.604:
	s_add_i32 s4, s67, s66
	s_lshl_b32 s4, s4, 5
	s_mov_b32 s5, 0
	s_lshl_b64 s[4:5], s[4:5], 3
	s_add_u32 s4, s18, s4
	v_or_b32_e32 v1, v95, v64
	s_addc_u32 s5, s19, s5
	v_lshlrev_b32_e32 v2, 3, v1
	v_mov_b32_e32 v1, v3
	global_store_dwordx2 v2, v[0:1], s[4:5]
.LBB30_605:
	s_or_b64 exec, exec, s[6:7]
.LBB30_606:
	s_or_b64 exec, exec, s[8:9]
	v_accvgpr_read_b32 v0, a60
	v_accvgpr_read_b32 v1, a61
	;; [unrolled: 1-line block ×3, first 2 shown]
	v_cvt_f16_f32_e32 v0, v0
	v_cvt_f16_f32_e32 v1, v1
	v_accvgpr_read_b32 v62, a2
	v_accvgpr_read_b32 v61, a1
	v_accvgpr_read_b32 v60, a0
	v_accvgpr_read_b32 v59, a7
	v_accvgpr_read_b32 v55, a11
	v_accvgpr_read_b32 v51, a15
	v_accvgpr_read_b32 v47, a19
	v_accvgpr_read_b32 v43, a23
	v_accvgpr_read_b32 v39, a27
	v_accvgpr_read_b32 v35, a31
	v_accvgpr_read_b32 v28, a32
	v_accvgpr_read_b32 v24, a36
	v_accvgpr_read_b32 v20, a40
	v_accvgpr_read_b32 v16, a44
	v_accvgpr_read_b32 v12, a48
	v_accvgpr_read_b32 v8, a52
	v_accvgpr_read_b32 v4, a56
	v_accvgpr_read_b32 v58, a6
	v_accvgpr_read_b32 v57, a5
	v_accvgpr_read_b32 v56, a4
	v_accvgpr_read_b32 v54, a10
	v_accvgpr_read_b32 v53, a9
	v_accvgpr_read_b32 v52, a8
	v_accvgpr_read_b32 v50, a14
	v_accvgpr_read_b32 v49, a13
	v_accvgpr_read_b32 v48, a12
	v_accvgpr_read_b32 v46, a18
	v_accvgpr_read_b32 v45, a17
	v_accvgpr_read_b32 v44, a16
	v_accvgpr_read_b32 v42, a22
	v_accvgpr_read_b32 v41, a21
	v_accvgpr_read_b32 v40, a20
	v_accvgpr_read_b32 v38, a26
	v_accvgpr_read_b32 v37, a25
	v_accvgpr_read_b32 v36, a24
	v_accvgpr_read_b32 v34, a30
	v_accvgpr_read_b32 v33, a29
	v_accvgpr_read_b32 v32, a28
	v_accvgpr_read_b32 v29, a33
	v_accvgpr_read_b32 v30, a34
	v_accvgpr_read_b32 v31, a35
	v_accvgpr_read_b32 v25, a37
	v_accvgpr_read_b32 v26, a38
	v_accvgpr_read_b32 v27, a39
	v_accvgpr_read_b32 v21, a41
	v_accvgpr_read_b32 v22, a42
	v_accvgpr_read_b32 v23, a43
	v_accvgpr_read_b32 v17, a45
	v_accvgpr_read_b32 v18, a46
	v_accvgpr_read_b32 v19, a47
	v_accvgpr_read_b32 v13, a49
	v_accvgpr_read_b32 v14, a50
	v_accvgpr_read_b32 v15, a51
	v_accvgpr_read_b32 v9, a53
	v_accvgpr_read_b32 v10, a54
	v_accvgpr_read_b32 v11, a55
	v_accvgpr_read_b32 v5, a57
	v_accvgpr_read_b32 v6, a58
	v_accvgpr_read_b32 v7, a59
	v_accvgpr_read_b32 v2, a62
	v_accvgpr_read_b32 v3, a63
	v_cvt_f16_f32_e32 v60, v60
	v_cvt_f16_f32_e32 v61, v61
	;; [unrolled: 1-line block ×62, first 2 shown]
	v_pack_b32_f16 v0, v0, v1
	v_or_b32_e32 v1, v94, v174
	s_movk_i32 s4, 0x84
	v_mad_u32_u24 v1, v1, s4, v98
	v_pack_b32_f16 v62, v62, v63
	v_pack_b32_f16 v60, v60, v61
	s_mov_b32 s7, 0
	v_lshl_add_u32 v1, v1, 2, 0
	v_pack_b32_f16 v58, v58, v59
	v_pack_b32_f16 v56, v56, v57
	;; [unrolled: 1-line block ×29, first 2 shown]
	ds_write2_b32 v1, v60, v62 offset1:1
	ds_write2_b32 v1, v56, v58 offset0:8 offset1:9
	ds_write2_b32 v1, v52, v54 offset0:16 offset1:17
	;; [unrolled: 1-line block ×15, first 2 shown]
	s_waitcnt lgkmcnt(0)
	s_barrier
	s_and_saveexec_b64 s[4:5], vcc
	s_cbranch_execz .LBB30_608
; %bb.607:
	s_lshl_b32 s6, s67, 6
	s_lshl_b64 s[8:9], s[6:7], 3
	s_add_u32 s8, s18, s8
	s_addc_u32 s9, s19, s9
	s_lshl_b32 s6, s66, 12
	s_lshl_b64 s[6:7], s[6:7], 3
	s_add_u32 s6, s8, s6
	v_bfe_u32 v1, v173, 1, 4
	s_movk_i32 s8, 0x3e0
	v_and_or_b32 v0, v173, s8, v1
	s_movk_i32 s8, 0x210
	v_mad_u32_u24 v6, v0, s8, 0
	v_add_u32_e32 v0, v6, v97
	ds_read2st64_b32 v[2:3], v0 offset1:1
	ds_read2st64_b32 v[4:5], v0 offset0:33 offset1:34
	ds_read2st64_b32 v[6:7], v6 offset0:2 offset1:35
	v_lshrrev_b32_e32 v0, 1, v173
	s_addc_u32 s7, s9, s7
	s_waitcnt lgkmcnt(2)
	v_cvt_f32_f16_e32 v8, v2
	v_cvt_f32_f16_sdwa v9, v2 dst_sel:DWORD dst_unused:UNUSED_PAD src0_sel:WORD_1
	s_waitcnt lgkmcnt(1)
	v_cvt_f32_f16_e32 v10, v4
	v_cvt_f32_f16_sdwa v11, v4 dst_sel:DWORD dst_unused:UNUSED_PAD src0_sel:WORD_1
	s_waitcnt lgkmcnt(0)
	v_mov_b32_e32 v2, v7
	v_pk_fma_f32 v[8:9], v[6:7], v[8:9], 0 op_sel_hi:[0,1,0]
	v_cvt_f32_f16_e32 v4, v5
	v_pk_fma_f32 v[8:9], v[2:3], v[10:11], v[8:9] op_sel_hi:[0,1,1]
	v_cvt_f32_f16_e32 v10, v3
	v_cvt_f32_f16_sdwa v11, v3 dst_sel:DWORD dst_unused:UNUSED_PAD src0_sel:WORD_1
	v_cvt_f32_f16_sdwa v5, v5 dst_sel:DWORD dst_unused:UNUSED_PAD src0_sel:WORD_1
	s_movk_i32 s9, 0x7e0
	v_lshlrev_b32_e32 v12, 6, v173
	v_pk_fma_f32 v[6:7], v[6:7], v[10:11], 0 op_sel_hi:[0,1,0]
	v_pk_fma_f32 v[2:3], v[2:3], v[4:5], v[6:7] op_sel_hi:[0,1,1]
	v_add_u32_e32 v6, 2, v0
	v_lshlrev_b32_e32 v4, 1, v6
	v_and_b32_e32 v5, 15, v6
	v_and_or_b32 v4, v4, s9, v5
	v_add_lshl_u32 v12, v64, v12, 3
	v_mad_u32_u24 v7, v4, s8, 0
	global_store_dwordx2 v12, v[8:9], s[6:7]
	v_add_u32_e32 v8, v7, v97
	ds_read2st64_b32 v[4:5], v8 offset1:1
	global_store_dwordx2 v12, v[2:3], s[6:7] offset:512
	ds_read2st64_b32 v[2:3], v8 offset0:33 offset1:34
	v_lshlrev_b32_e32 v12, 7, v6
	ds_read2st64_b32 v[6:7], v7 offset0:2 offset1:35
	s_waitcnt lgkmcnt(2)
	v_cvt_f32_f16_e32 v8, v4
	v_cvt_f32_f16_sdwa v9, v4 dst_sel:DWORD dst_unused:UNUSED_PAD src0_sel:WORD_1
	s_waitcnt lgkmcnt(1)
	v_cvt_f32_f16_e32 v10, v2
	v_cvt_f32_f16_sdwa v11, v2 dst_sel:DWORD dst_unused:UNUSED_PAD src0_sel:WORD_1
	s_waitcnt lgkmcnt(0)
	v_mov_b32_e32 v2, v7
	v_pk_fma_f32 v[8:9], v[6:7], v[8:9], 0 op_sel_hi:[0,1,0]
	v_add_lshl_u32 v4, v64, v12, 3
	v_pk_fma_f32 v[8:9], v[2:3], v[10:11], v[8:9] op_sel_hi:[0,1,1]
	global_store_dwordx2 v4, v[8:9], s[6:7]
	v_cvt_f32_f16_e32 v4, v5
	v_cvt_f32_f16_sdwa v5, v5 dst_sel:DWORD dst_unused:UNUSED_PAD src0_sel:WORD_1
	v_cvt_f32_f16_e32 v10, v3
	v_cvt_f32_f16_sdwa v11, v3 dst_sel:DWORD dst_unused:UNUSED_PAD src0_sel:WORD_1
	v_add_co_u32_e32 v8, vcc, v64, v12
	v_mov_b32_e32 v7, s7
	v_addc_co_u32_e64 v9, s[10:11], 0, 0, vcc
	v_pk_fma_f32 v[4:5], v[6:7], v[4:5], 0 op_sel_hi:[0,1,0]
	v_add_u32_e32 v6, 4, v0
	v_lshlrev_b64 v[8:9], 3, v[8:9]
	v_pk_fma_f32 v[2:3], v[2:3], v[10:11], v[4:5] op_sel_hi:[0,1,1]
	v_lshlrev_b32_e32 v4, 1, v6
	v_and_b32_e32 v5, 15, v6
	v_add_co_u32_e32 v8, vcc, s6, v8
	v_and_or_b32 v4, v4, s9, v5
	v_addc_co_u32_e32 v9, vcc, v7, v9, vcc
	v_mad_u32_u24 v7, v4, s8, 0
	v_add_u32_e32 v10, v7, v97
	ds_read2st64_b32 v[4:5], v10 offset1:1
	global_store_dwordx2 v[8:9], v[2:3], off offset:512
	ds_read2st64_b32 v[2:3], v10 offset0:33 offset1:34
	v_lshlrev_b32_e32 v12, 7, v6
	ds_read2st64_b32 v[6:7], v7 offset0:2 offset1:35
	s_waitcnt lgkmcnt(2)
	v_cvt_f32_f16_e32 v8, v4
	v_cvt_f32_f16_sdwa v9, v4 dst_sel:DWORD dst_unused:UNUSED_PAD src0_sel:WORD_1
	s_waitcnt lgkmcnt(1)
	v_cvt_f32_f16_e32 v10, v2
	v_cvt_f32_f16_sdwa v11, v2 dst_sel:DWORD dst_unused:UNUSED_PAD src0_sel:WORD_1
	s_waitcnt lgkmcnt(0)
	v_mov_b32_e32 v2, v7
	v_pk_fma_f32 v[8:9], v[6:7], v[8:9], 0 op_sel_hi:[0,1,0]
	v_add_lshl_u32 v4, v64, v12, 3
	v_pk_fma_f32 v[8:9], v[2:3], v[10:11], v[8:9] op_sel_hi:[0,1,1]
	global_store_dwordx2 v4, v[8:9], s[6:7]
	v_cvt_f32_f16_e32 v4, v5
	v_cvt_f32_f16_sdwa v5, v5 dst_sel:DWORD dst_unused:UNUSED_PAD src0_sel:WORD_1
	v_cvt_f32_f16_e32 v10, v3
	v_cvt_f32_f16_sdwa v11, v3 dst_sel:DWORD dst_unused:UNUSED_PAD src0_sel:WORD_1
	v_add_co_u32_e32 v8, vcc, v64, v12
	v_mov_b32_e32 v7, s7
	v_addc_co_u32_e64 v9, s[10:11], 0, 0, vcc
	v_pk_fma_f32 v[4:5], v[6:7], v[4:5], 0 op_sel_hi:[0,1,0]
	v_add_u32_e32 v6, 6, v0
	v_lshlrev_b64 v[8:9], 3, v[8:9]
	v_pk_fma_f32 v[2:3], v[2:3], v[10:11], v[4:5] op_sel_hi:[0,1,1]
	v_lshlrev_b32_e32 v4, 1, v6
	v_and_b32_e32 v5, 15, v6
	v_add_co_u32_e32 v8, vcc, s6, v8
	v_and_or_b32 v4, v4, s9, v5
	v_addc_co_u32_e32 v9, vcc, v7, v9, vcc
	v_mad_u32_u24 v7, v4, s8, 0
	v_add_u32_e32 v10, v7, v97
	ds_read2st64_b32 v[4:5], v10 offset1:1
	global_store_dwordx2 v[8:9], v[2:3], off offset:512
	;; [unrolled: 35-line block ×6, first 2 shown]
	ds_read2st64_b32 v[2:3], v10 offset0:33 offset1:34
	v_lshlrev_b32_e32 v12, 7, v6
	ds_read2st64_b32 v[6:7], v7 offset0:2 offset1:35
	s_waitcnt lgkmcnt(2)
	v_cvt_f32_f16_e32 v8, v4
	v_cvt_f32_f16_sdwa v9, v4 dst_sel:DWORD dst_unused:UNUSED_PAD src0_sel:WORD_1
	s_waitcnt lgkmcnt(1)
	v_cvt_f32_f16_e32 v10, v2
	v_cvt_f32_f16_sdwa v11, v2 dst_sel:DWORD dst_unused:UNUSED_PAD src0_sel:WORD_1
	s_waitcnt lgkmcnt(0)
	v_mov_b32_e32 v2, v7
	v_pk_fma_f32 v[8:9], v[6:7], v[8:9], 0 op_sel_hi:[0,1,0]
	v_add_lshl_u32 v4, v64, v12, 3
	v_pk_fma_f32 v[8:9], v[2:3], v[10:11], v[8:9] op_sel_hi:[0,1,1]
	global_store_dwordx2 v4, v[8:9], s[6:7]
	v_cvt_f32_f16_e32 v4, v5
	v_cvt_f32_f16_sdwa v5, v5 dst_sel:DWORD dst_unused:UNUSED_PAD src0_sel:WORD_1
	v_cvt_f32_f16_e32 v10, v3
	v_cvt_f32_f16_sdwa v11, v3 dst_sel:DWORD dst_unused:UNUSED_PAD src0_sel:WORD_1
	v_mov_b32_e32 v7, s7
	v_add_co_u32_e32 v8, vcc, v64, v12
	v_pk_fma_f32 v[4:5], v[6:7], v[4:5], 0 op_sel_hi:[0,1,0]
	v_add_u32_e32 v6, 16, v0
	v_addc_co_u32_e64 v9, s[10:11], 0, 0, vcc
	v_pk_fma_f32 v[2:3], v[2:3], v[10:11], v[4:5] op_sel_hi:[0,1,1]
	v_lshlrev_b32_e32 v4, 1, v6
	v_lshlrev_b64 v[8:9], 3, v[8:9]
	v_and_or_b32 v1, v4, s9, v1
	v_add_co_u32_e32 v8, vcc, s6, v8
	v_mad_u32_u24 v1, v1, s8, 0
	v_addc_co_u32_e32 v9, vcc, v7, v9, vcc
	v_add_u32_e32 v7, v1, v97
	ds_read2st64_b32 v[4:5], v7 offset1:1
	global_store_dwordx2 v[8:9], v[2:3], off offset:512
	ds_read2st64_b32 v[2:3], v7 offset0:33 offset1:34
	v_lshlrev_b32_e32 v12, 7, v6
	ds_read2st64_b32 v[6:7], v1 offset0:2 offset1:35
	s_waitcnt lgkmcnt(2)
	v_cvt_f32_f16_e32 v8, v4
	v_cvt_f32_f16_sdwa v9, v4 dst_sel:DWORD dst_unused:UNUSED_PAD src0_sel:WORD_1
	s_waitcnt lgkmcnt(1)
	v_cvt_f32_f16_e32 v10, v2
	v_cvt_f32_f16_sdwa v11, v2 dst_sel:DWORD dst_unused:UNUSED_PAD src0_sel:WORD_1
	s_waitcnt lgkmcnt(0)
	v_mov_b32_e32 v2, v7
	v_pk_fma_f32 v[8:9], v[6:7], v[8:9], 0 op_sel_hi:[0,1,0]
	v_add_lshl_u32 v1, v64, v12, 3
	v_pk_fma_f32 v[8:9], v[2:3], v[10:11], v[8:9] op_sel_hi:[0,1,1]
	global_store_dwordx2 v1, v[8:9], s[6:7]
	v_add_co_u32_e32 v8, vcc, v64, v12
	v_cvt_f32_f16_e32 v4, v5
	v_cvt_f32_f16_sdwa v5, v5 dst_sel:DWORD dst_unused:UNUSED_PAD src0_sel:WORD_1
	v_addc_co_u32_e64 v9, s[10:11], 0, 0, vcc
	v_cvt_f32_f16_e32 v10, v3
	v_cvt_f32_f16_sdwa v11, v3 dst_sel:DWORD dst_unused:UNUSED_PAD src0_sel:WORD_1
	v_lshlrev_b64 v[8:9], 3, v[8:9]
	v_mov_b32_e32 v1, s7
	v_add_co_u32_e32 v8, vcc, s6, v8
	v_addc_co_u32_e32 v9, vcc, v1, v9, vcc
	v_pk_fma_f32 v[4:5], v[6:7], v[4:5], 0 op_sel_hi:[0,1,0]
	v_add_u32_e32 v1, 18, v0
	v_pk_fma_f32 v[2:3], v[2:3], v[10:11], v[4:5] op_sel_hi:[0,1,1]
	v_lshlrev_b32_e32 v4, 1, v1
	v_and_b32_e32 v5, 15, v1
	v_and_or_b32 v4, v4, s9, v5
	v_mad_u32_u24 v6, v4, s8, 0
	v_add_u32_e32 v7, v6, v97
	ds_read2st64_b32 v[4:5], v7 offset1:1
	global_store_dwordx2 v[8:9], v[2:3], off offset:512
	ds_read2st64_b32 v[2:3], v7 offset0:33 offset1:34
	ds_read2st64_b32 v[6:7], v6 offset0:2 offset1:35
	v_lshlrev_b32_e32 v1, 7, v1
	s_waitcnt lgkmcnt(2)
	v_cvt_f32_f16_e32 v8, v4
	v_cvt_f32_f16_sdwa v9, v4 dst_sel:DWORD dst_unused:UNUSED_PAD src0_sel:WORD_1
	s_waitcnt lgkmcnt(1)
	v_cvt_f32_f16_e32 v10, v2
	v_cvt_f32_f16_sdwa v11, v2 dst_sel:DWORD dst_unused:UNUSED_PAD src0_sel:WORD_1
	s_waitcnt lgkmcnt(0)
	v_mov_b32_e32 v2, v7
	v_pk_fma_f32 v[8:9], v[6:7], v[8:9], 0 op_sel_hi:[0,1,0]
	v_add_lshl_u32 v4, v64, v1, 3
	v_pk_fma_f32 v[8:9], v[2:3], v[10:11], v[8:9] op_sel_hi:[0,1,1]
	global_store_dwordx2 v4, v[8:9], s[6:7]
	v_add_co_u32_e32 v8, vcc, v64, v1
	v_cvt_f32_f16_e32 v4, v5
	v_cvt_f32_f16_sdwa v5, v5 dst_sel:DWORD dst_unused:UNUSED_PAD src0_sel:WORD_1
	v_addc_co_u32_e64 v9, s[10:11], 0, 0, vcc
	v_cvt_f32_f16_e32 v10, v3
	v_cvt_f32_f16_sdwa v11, v3 dst_sel:DWORD dst_unused:UNUSED_PAD src0_sel:WORD_1
	v_lshlrev_b64 v[8:9], 3, v[8:9]
	v_mov_b32_e32 v1, s7
	v_add_co_u32_e32 v8, vcc, s6, v8
	v_addc_co_u32_e32 v9, vcc, v1, v9, vcc
	v_pk_fma_f32 v[4:5], v[6:7], v[4:5], 0 op_sel_hi:[0,1,0]
	v_add_u32_e32 v1, 20, v0
	v_pk_fma_f32 v[2:3], v[2:3], v[10:11], v[4:5] op_sel_hi:[0,1,1]
	v_lshlrev_b32_e32 v4, 1, v1
	v_and_b32_e32 v5, 15, v1
	v_and_or_b32 v4, v4, s9, v5
	v_mad_u32_u24 v6, v4, s8, 0
	v_add_u32_e32 v7, v6, v97
	ds_read2st64_b32 v[4:5], v7 offset1:1
	global_store_dwordx2 v[8:9], v[2:3], off offset:512
	ds_read2st64_b32 v[2:3], v7 offset0:33 offset1:34
	ds_read2st64_b32 v[6:7], v6 offset0:2 offset1:35
	v_lshlrev_b32_e32 v1, 7, v1
	;; [unrolled: 35-line block ×6, first 2 shown]
	s_waitcnt lgkmcnt(2)
	v_cvt_f32_f16_e32 v8, v4
	v_cvt_f32_f16_sdwa v9, v4 dst_sel:DWORD dst_unused:UNUSED_PAD src0_sel:WORD_1
	s_waitcnt lgkmcnt(1)
	v_cvt_f32_f16_e32 v10, v2
	v_cvt_f32_f16_sdwa v11, v2 dst_sel:DWORD dst_unused:UNUSED_PAD src0_sel:WORD_1
	s_waitcnt lgkmcnt(0)
	v_mov_b32_e32 v2, v7
	v_pk_fma_f32 v[8:9], v[6:7], v[8:9], 0 op_sel_hi:[0,1,0]
	v_add_lshl_u32 v4, v64, v1, 3
	v_pk_fma_f32 v[8:9], v[2:3], v[10:11], v[8:9] op_sel_hi:[0,1,1]
	global_store_dwordx2 v4, v[8:9], s[6:7]
	v_cvt_f32_f16_e32 v4, v5
	v_cvt_f32_f16_sdwa v5, v5 dst_sel:DWORD dst_unused:UNUSED_PAD src0_sel:WORD_1
	v_cvt_f32_f16_e32 v10, v3
	v_cvt_f32_f16_sdwa v11, v3 dst_sel:DWORD dst_unused:UNUSED_PAD src0_sel:WORD_1
	v_add_co_u32_e32 v8, vcc, v64, v1
	v_addc_co_u32_e64 v9, s[10:11], 0, 0, vcc
	v_lshlrev_b64 v[8:9], 3, v[8:9]
	v_pk_fma_f32 v[4:5], v[6:7], v[4:5], 0 op_sel_hi:[0,1,0]
	v_mov_b32_e32 v1, s7
	v_add_co_u32_e32 v8, vcc, s6, v8
	v_pk_fma_f32 v[2:3], v[2:3], v[10:11], v[4:5] op_sel_hi:[0,1,1]
	v_add_u32_e32 v4, 30, v0
	v_addc_co_u32_e32 v9, vcc, v1, v9, vcc
	v_lshlrev_b32_e32 v0, 1, v4
	v_and_b32_e32 v1, 15, v4
	v_and_or_b32 v0, v0, s9, v1
	v_mad_u32_u24 v5, v0, s8, 0
	v_add_u32_e32 v6, v5, v97
	ds_read2st64_b32 v[0:1], v6 offset1:1
	global_store_dwordx2 v[8:9], v[2:3], off offset:512
	ds_read2st64_b32 v[2:3], v6 offset0:33 offset1:34
	v_lshlrev_b32_e32 v10, 7, v4
	ds_read2st64_b32 v[4:5], v5 offset0:2 offset1:35
	s_waitcnt lgkmcnt(2)
	v_cvt_f32_f16_e32 v6, v0
	v_cvt_f32_f16_sdwa v7, v0 dst_sel:DWORD dst_unused:UNUSED_PAD src0_sel:WORD_1
	s_waitcnt lgkmcnt(1)
	v_cvt_f32_f16_e32 v8, v2
	v_cvt_f32_f16_sdwa v9, v2 dst_sel:DWORD dst_unused:UNUSED_PAD src0_sel:WORD_1
	s_waitcnt lgkmcnt(0)
	v_mov_b32_e32 v0, v5
	v_pk_fma_f32 v[6:7], v[4:5], v[6:7], 0 op_sel_hi:[0,1,0]
	v_add_lshl_u32 v2, v64, v10, 3
	v_pk_fma_f32 v[6:7], v[0:1], v[8:9], v[6:7] op_sel_hi:[0,1,1]
	global_store_dwordx2 v2, v[6:7], s[6:7]
	v_add_co_u32_e32 v6, vcc, v64, v10
	v_cvt_f32_f16_e32 v8, v1
	v_cvt_f32_f16_sdwa v9, v1 dst_sel:DWORD dst_unused:UNUSED_PAD src0_sel:WORD_1
	v_addc_co_u32_e64 v7, s[8:9], 0, 0, vcc
	v_cvt_f32_f16_e32 v2, v3
	v_cvt_f32_f16_sdwa v3, v3 dst_sel:DWORD dst_unused:UNUSED_PAD src0_sel:WORD_1
	v_lshlrev_b64 v[6:7], 3, v[6:7]
	v_mov_b32_e32 v5, s7
	v_add_co_u32_e32 v6, vcc, s6, v6
	v_addc_co_u32_e32 v7, vcc, v5, v7, vcc
	v_pk_fma_f32 v[4:5], v[4:5], v[8:9], 0 op_sel_hi:[0,1,0]
	v_pk_fma_f32 v[0:1], v[0:1], v[2:3], v[4:5] op_sel_hi:[0,1,1]
	global_store_dwordx2 v[6:7], v[0:1], off offset:512
.LBB30_608:
	s_or_b64 exec, exec, s[4:5]
	s_barrier
	s_endpgm
	.section	.rodata,"a",@progbits
	.p2align	6, 0x0
	.amdhsa_kernel _ZL18flash_attn_ext_f16ILi256ELi256ELi32ELi1ELb1ELb0EEvPKcS1_S1_S1_S1_PKiPfP15HIP_vector_typeIfLj2EEffffjfiS5_IjLj3EEiiiiiiiiiiiliiliiiiil
		.amdhsa_group_segment_fixed_size 0
		.amdhsa_private_segment_fixed_size 32
		.amdhsa_kernarg_size 464
		.amdhsa_user_sgpr_count 8
		.amdhsa_user_sgpr_private_segment_buffer 1
		.amdhsa_user_sgpr_dispatch_ptr 0
		.amdhsa_user_sgpr_queue_ptr 0
		.amdhsa_user_sgpr_kernarg_segment_ptr 1
		.amdhsa_user_sgpr_dispatch_id 0
		.amdhsa_user_sgpr_flat_scratch_init 1
		.amdhsa_user_sgpr_kernarg_preload_length 0
		.amdhsa_user_sgpr_kernarg_preload_offset 0
		.amdhsa_user_sgpr_private_segment_size 0
		.amdhsa_uses_dynamic_stack 0
		.amdhsa_system_sgpr_private_segment_wavefront_offset 1
		.amdhsa_system_sgpr_workgroup_id_x 1
		.amdhsa_system_sgpr_workgroup_id_y 0
		.amdhsa_system_sgpr_workgroup_id_z 0
		.amdhsa_system_sgpr_workgroup_info 0
		.amdhsa_system_vgpr_workitem_id 1
		.amdhsa_next_free_vgpr 439
		.amdhsa_next_free_sgpr 98
		.amdhsa_accum_offset 256
		.amdhsa_reserve_vcc 1
		.amdhsa_reserve_flat_scratch 1
		.amdhsa_float_round_mode_32 0
		.amdhsa_float_round_mode_16_64 0
		.amdhsa_float_denorm_mode_32 3
		.amdhsa_float_denorm_mode_16_64 3
		.amdhsa_dx10_clamp 1
		.amdhsa_ieee_mode 1
		.amdhsa_fp16_overflow 0
		.amdhsa_tg_split 0
		.amdhsa_exception_fp_ieee_invalid_op 0
		.amdhsa_exception_fp_denorm_src 0
		.amdhsa_exception_fp_ieee_div_zero 0
		.amdhsa_exception_fp_ieee_overflow 0
		.amdhsa_exception_fp_ieee_underflow 0
		.amdhsa_exception_fp_ieee_inexact 0
		.amdhsa_exception_int_div_zero 0
	.end_amdhsa_kernel
	.section	.text._ZL18flash_attn_ext_f16ILi256ELi256ELi32ELi1ELb1ELb0EEvPKcS1_S1_S1_S1_PKiPfP15HIP_vector_typeIfLj2EEffffjfiS5_IjLj3EEiiiiiiiiiiiliiliiiiil,"axG",@progbits,_ZL18flash_attn_ext_f16ILi256ELi256ELi32ELi1ELb1ELb0EEvPKcS1_S1_S1_S1_PKiPfP15HIP_vector_typeIfLj2EEffffjfiS5_IjLj3EEiiiiiiiiiiiliiliiiiil,comdat
.Lfunc_end30:
	.size	_ZL18flash_attn_ext_f16ILi256ELi256ELi32ELi1ELb1ELb0EEvPKcS1_S1_S1_S1_PKiPfP15HIP_vector_typeIfLj2EEffffjfiS5_IjLj3EEiiiiiiiiiiiliiliiiiil, .Lfunc_end30-_ZL18flash_attn_ext_f16ILi256ELi256ELi32ELi1ELb1ELb0EEvPKcS1_S1_S1_S1_PKiPfP15HIP_vector_typeIfLj2EEffffjfiS5_IjLj3EEiiiiiiiiiiiliiliiiiil
                                        ; -- End function
	.section	.AMDGPU.csdata,"",@progbits
; Kernel info:
; codeLenInByte = 114252
; NumSgprs: 104
; NumVgprs: 256
; NumAgprs: 183
; TotalNumVgprs: 439
; ScratchSize: 32
; MemoryBound: 0
; FloatMode: 240
; IeeeMode: 1
; LDSByteSize: 0 bytes/workgroup (compile time only)
; SGPRBlocks: 12
; VGPRBlocks: 54
; NumSGPRsForWavesPerEU: 104
; NumVGPRsForWavesPerEU: 439
; AccumOffset: 256
; Occupancy: 1
; WaveLimiterHint : 1
; COMPUTE_PGM_RSRC2:SCRATCH_EN: 1
; COMPUTE_PGM_RSRC2:USER_SGPR: 8
; COMPUTE_PGM_RSRC2:TRAP_HANDLER: 0
; COMPUTE_PGM_RSRC2:TGID_X_EN: 1
; COMPUTE_PGM_RSRC2:TGID_Y_EN: 0
; COMPUTE_PGM_RSRC2:TGID_Z_EN: 0
; COMPUTE_PGM_RSRC2:TIDIG_COMP_CNT: 1
; COMPUTE_PGM_RSRC3_GFX90A:ACCUM_OFFSET: 63
; COMPUTE_PGM_RSRC3_GFX90A:TG_SPLIT: 0
	.section	.text._ZL33flash_attn_stream_k_fixup_uniformILi256ELi32ELi1EEvPfPK15HIP_vector_typeIfLj2EEiiiiiiS1_IjLj3EES5_S5_,"axG",@progbits,_ZL33flash_attn_stream_k_fixup_uniformILi256ELi32ELi1EEvPfPK15HIP_vector_typeIfLj2EEiiiiiiS1_IjLj3EES5_S5_,comdat
	.globl	_ZL33flash_attn_stream_k_fixup_uniformILi256ELi32ELi1EEvPfPK15HIP_vector_typeIfLj2EEiiiiiiS1_IjLj3EES5_S5_ ; -- Begin function _ZL33flash_attn_stream_k_fixup_uniformILi256ELi32ELi1EEvPfPK15HIP_vector_typeIfLj2EEiiiiiiS1_IjLj3EES5_S5_
	.p2align	8
	.type	_ZL33flash_attn_stream_k_fixup_uniformILi256ELi32ELi1EEvPfPK15HIP_vector_typeIfLj2EEiiiiiiS1_IjLj3EES5_S5_,@function
_ZL33flash_attn_stream_k_fixup_uniformILi256ELi32ELi1EEvPfPK15HIP_vector_typeIfLj2EEiiiiiiS1_IjLj3EES5_S5_: ; @_ZL33flash_attn_stream_k_fixup_uniformILi256ELi32ELi1EEvPfPK15HIP_vector_typeIfLj2EEiiiiiiS1_IjLj3EES5_S5_
; %bb.0:
	s_load_dwordx8 s[12:19], s[4:5], 0x1c
	s_load_dwordx2 s[10:11], s[4:5], 0x10
	s_load_dwordx4 s[0:3], s[4:5], 0x3c
	s_waitcnt lgkmcnt(0)
	s_mul_hi_u32 s9, s15, s6
	s_add_i32 s9, s6, s9
	s_lshr_b32 s9, s9, s16
	s_mul_i32 s15, s9, s17
	s_sub_i32 s15, s6, s15
	s_mul_hi_u32 s16, s15, s18
	s_add_i32 s16, s15, s16
	s_lshr_b32 s16, s16, s19
	s_mul_i32 s0, s16, s0
	s_sub_i32 s0, s15, s0
	s_mul_hi_u32 s1, s0, s1
	s_add_i32 s1, s0, s1
	s_lshr_b32 s15, s1, s2
	s_mul_i32 s1, s15, s3
	s_sub_i32 s17, s0, s1
	s_lshl_b32 s0, s17, 5
	s_add_i32 s0, s0, s7
	s_cmp_lt_i32 s0, s10
	s_cselect_b64 s[0:1], -1, 0
	s_add_i32 s2, s15, s8
	s_cmp_lt_i32 s2, s13
	s_cselect_b64 s[2:3], -1, 0
	s_and_b64 s[0:1], s[0:1], s[2:3]
	s_andn2_b64 vcc, exec, s[0:1]
	s_cbranch_vccnz .LBB31_6
; %bb.1:
	s_load_dwordx4 s[0:3], s[4:5], 0x0
	s_mul_i32 s4, s9, s10
	s_add_i32 s4, s4, s7
	s_mul_i32 s4, s4, s11
	s_mul_i32 s16, s16, s13
	s_add_i32 s4, s4, s8
	s_add_i32 s4, s4, s16
	s_mul_i32 s5, s11, s17
	s_add_i32 s4, s4, s15
	s_lshl_b32 s5, s5, 13
	s_lshl_b32 s4, s4, 8
	s_add_i32 s5, s5, s4
	v_or_b32_e32 v2, s5, v0
	v_ashrrev_i32_e32 v3, 31, v2
	v_lshlrev_b64 v[2:3], 2, v[2:3]
	s_waitcnt lgkmcnt(0)
	v_mov_b32_e32 v1, s1
	v_add_co_u32_e32 v2, vcc, s0, v2
	v_addc_co_u32_e32 v3, vcc, v1, v3, vcc
	global_load_dword v8, v[2:3], off
	s_add_i32 s4, s7, s8
	s_mul_i32 s7, s6, s14
	s_add_i32 s5, s7, s14
	s_lshl_b32 s0, s5, 5
	s_add_i32 s0, s4, s0
	s_sub_i32 s0, s0, 32
	s_ashr_i32 s1, s0, 31
	s_lshl_b64 s[0:1], s[0:1], 3
	s_add_u32 s0, s2, s0
	s_addc_u32 s1, s3, s1
	s_load_dword s10, s[0:1], 0x4
	s_add_i32 s8, s5, -2
	s_cmp_lt_i32 s8, s7
	s_cbranch_scc1 .LBB31_4
; %bb.2:
	s_lshl_b32 s8, s12, 7
	s_ashr_i32 s9, s8, 31
	s_lshl_b64 s[8:9], s[8:9], 2
	s_add_u32 s8, s2, s8
	s_addc_u32 s11, s3, s9
	s_add_i32 s6, s6, 1
	s_add_i32 s9, s5, -1
	s_mul_i32 s5, s14, s6
	s_load_dword s0, s[0:1], 0x0
	s_lshl_b32 s1, s4, 8
	s_lshl_b32 s6, s5, 13
	s_add_i32 s1, s1, s6
	v_or_b32_e32 v0, s1, v0
	s_lshl_b32 s1, s5, 5
	s_add_i32 s1, s4, s1
	s_lshl_b32 s4, s12, 5
	s_add_i32 s1, s1, s4
	v_add_u32_e32 v0, 0xffffc000, v0
	s_sub_i32 s4, s1, 64
	s_waitcnt lgkmcnt(0)
	v_mov_b32_e32 v7, s10
	v_mov_b32_e32 v6, s0
	;; [unrolled: 1-line block ×3, first 2 shown]
	s_mov_b32 s6, 0x3fb8aa3b
	s_mov_b32 s10, 0xc2ce8ed0
	;; [unrolled: 1-line block ×3, first 2 shown]
	v_mov_b32_e32 v5, 0x7f800000
	s_mov_b32 s12, 0xc1a00000
.LBB31_3:                               ; =>This Inner Loop Header: Depth=1
	v_ashrrev_i32_e32 v1, 31, v0
	v_lshlrev_b64 v[10:11], 2, v[0:1]
	v_add_co_u32_e32 v10, vcc, s8, v10
	v_addc_co_u32_e32 v11, vcc, v4, v11, vcc
	global_load_dword v1, v[10:11], off
	s_ashr_i32 s5, s4, 31
	s_lshl_b64 s[0:1], s[4:5], 3
	s_add_u32 s0, s2, s0
	s_addc_u32 s1, s3, s1
	s_load_dwordx2 s[14:15], s[0:1], 0x0
	s_waitcnt vmcnt(1)
	v_mov_b32_e32 v9, v8
	v_max_f32_e32 v8, v6, v6
	v_mov_b32_e32 v10, v7
	s_add_i32 s9, s9, -1
	s_waitcnt lgkmcnt(0)
	v_max_f32_e64 v7, s14, s14
	v_max_f32_e32 v7, v8, v7
	v_sub_f32_e32 v11, s14, v7
	v_sub_f32_e32 v8, v6, v7
	v_mul_f32_e32 v12, 0x3fb8aa3b, v11
	v_mov_b32_e32 v6, v7
	v_mul_f32_e32 v7, 0x3fb8aa3b, v8
	v_fma_f32 v15, v11, s6, -v12
	v_rndne_f32_e32 v16, v12
	v_fma_f32 v13, v8, s6, -v7
	v_rndne_f32_e32 v14, v7
	v_fmac_f32_e32 v15, 0x32a5705f, v11
	v_sub_f32_e32 v12, v12, v16
	v_fmac_f32_e32 v13, 0x32a5705f, v8
	v_sub_f32_e32 v7, v7, v14
	v_add_f32_e32 v12, v12, v15
	v_cvt_i32_f32_e32 v16, v16
	v_add_f32_e32 v7, v7, v13
	v_exp_f32_e32 v12, v12
	v_cvt_i32_f32_e32 v14, v14
	v_exp_f32_e32 v7, v7
	v_cmp_ngt_f32_e32 vcc, s10, v11
	v_ldexp_f32 v12, v12, v16
	v_cmp_ngt_f32_e64 s[0:1], s10, v8
	v_ldexp_f32 v7, v7, v14
	v_cndmask_b32_e32 v12, 0, v12, vcc
	v_cmp_nlt_f32_e32 vcc, s11, v11
	v_cndmask_b32_e64 v7, 0, v7, s[0:1]
	v_cmp_nlt_f32_e64 s[0:1], s11, v8
	v_cndmask_b32_e32 v12, v5, v12, vcc
	v_cmp_le_f32_e32 vcc, s12, v11
	v_cndmask_b32_e64 v7, v5, v7, s[0:1]
	v_cmp_le_f32_e64 s[0:1], s12, v8
	v_cndmask_b32_e32 v8, 0, v12, vcc
	s_sub_i32 s4, s4, 32
	v_cndmask_b32_e64 v11, 0, v7, s[0:1]
	v_mul_f32_e32 v7, s15, v8
	v_add_u32_e32 v0, 0xffffe000, v0
	s_cmp_le_i32 s9, s7
	v_fmac_f32_e32 v7, v10, v11
	s_waitcnt vmcnt(0)
	v_mul_f32_e32 v8, v1, v8
	v_fmac_f32_e32 v8, v9, v11
	s_cbranch_scc0 .LBB31_3
	s_branch .LBB31_5
.LBB31_4:
	s_waitcnt lgkmcnt(0)
	v_mov_b32_e32 v7, s10
.LBB31_5:
	s_waitcnt vmcnt(0)
	v_div_scale_f32 v0, s[0:1], v7, v7, v8
	v_rcp_f32_e32 v1, v0
	v_div_scale_f32 v4, vcc, v8, v7, v8
	v_fma_f32 v5, -v0, v1, 1.0
	v_fmac_f32_e32 v1, v5, v1
	v_mul_f32_e32 v5, v4, v1
	v_fma_f32 v6, -v0, v5, v4
	v_fmac_f32_e32 v5, v6, v1
	v_fma_f32 v0, -v0, v5, v4
	v_div_fmas_f32 v0, v0, v1, v5
	v_div_fixup_f32 v0, v0, v7, v8
	global_store_dword v[2:3], v0, off
.LBB31_6:
	s_endpgm
	.section	.rodata,"a",@progbits
	.p2align	6, 0x0
	.amdhsa_kernel _ZL33flash_attn_stream_k_fixup_uniformILi256ELi32ELi1EEvPfPK15HIP_vector_typeIfLj2EEiiiiiiS1_IjLj3EES5_S5_
		.amdhsa_group_segment_fixed_size 0
		.amdhsa_private_segment_fixed_size 0
		.amdhsa_kernarg_size 76
		.amdhsa_user_sgpr_count 6
		.amdhsa_user_sgpr_private_segment_buffer 1
		.amdhsa_user_sgpr_dispatch_ptr 0
		.amdhsa_user_sgpr_queue_ptr 0
		.amdhsa_user_sgpr_kernarg_segment_ptr 1
		.amdhsa_user_sgpr_dispatch_id 0
		.amdhsa_user_sgpr_flat_scratch_init 0
		.amdhsa_user_sgpr_kernarg_preload_length 0
		.amdhsa_user_sgpr_kernarg_preload_offset 0
		.amdhsa_user_sgpr_private_segment_size 0
		.amdhsa_uses_dynamic_stack 0
		.amdhsa_system_sgpr_private_segment_wavefront_offset 0
		.amdhsa_system_sgpr_workgroup_id_x 1
		.amdhsa_system_sgpr_workgroup_id_y 1
		.amdhsa_system_sgpr_workgroup_id_z 1
		.amdhsa_system_sgpr_workgroup_info 0
		.amdhsa_system_vgpr_workitem_id 0
		.amdhsa_next_free_vgpr 17
		.amdhsa_next_free_sgpr 20
		.amdhsa_accum_offset 20
		.amdhsa_reserve_vcc 1
		.amdhsa_reserve_flat_scratch 0
		.amdhsa_float_round_mode_32 0
		.amdhsa_float_round_mode_16_64 0
		.amdhsa_float_denorm_mode_32 3
		.amdhsa_float_denorm_mode_16_64 3
		.amdhsa_dx10_clamp 1
		.amdhsa_ieee_mode 1
		.amdhsa_fp16_overflow 0
		.amdhsa_tg_split 0
		.amdhsa_exception_fp_ieee_invalid_op 0
		.amdhsa_exception_fp_denorm_src 0
		.amdhsa_exception_fp_ieee_div_zero 0
		.amdhsa_exception_fp_ieee_overflow 0
		.amdhsa_exception_fp_ieee_underflow 0
		.amdhsa_exception_fp_ieee_inexact 0
		.amdhsa_exception_int_div_zero 0
	.end_amdhsa_kernel
	.section	.text._ZL33flash_attn_stream_k_fixup_uniformILi256ELi32ELi1EEvPfPK15HIP_vector_typeIfLj2EEiiiiiiS1_IjLj3EES5_S5_,"axG",@progbits,_ZL33flash_attn_stream_k_fixup_uniformILi256ELi32ELi1EEvPfPK15HIP_vector_typeIfLj2EEiiiiiiS1_IjLj3EES5_S5_,comdat
.Lfunc_end31:
	.size	_ZL33flash_attn_stream_k_fixup_uniformILi256ELi32ELi1EEvPfPK15HIP_vector_typeIfLj2EEiiiiiiS1_IjLj3EES5_S5_, .Lfunc_end31-_ZL33flash_attn_stream_k_fixup_uniformILi256ELi32ELi1EEvPfPK15HIP_vector_typeIfLj2EEiiiiiiS1_IjLj3EES5_S5_
                                        ; -- End function
	.section	.AMDGPU.csdata,"",@progbits
; Kernel info:
; codeLenInByte = 836
; NumSgprs: 24
; NumVgprs: 17
; NumAgprs: 0
; TotalNumVgprs: 17
; ScratchSize: 0
; MemoryBound: 0
; FloatMode: 240
; IeeeMode: 1
; LDSByteSize: 0 bytes/workgroup (compile time only)
; SGPRBlocks: 2
; VGPRBlocks: 2
; NumSGPRsForWavesPerEU: 24
; NumVGPRsForWavesPerEU: 17
; AccumOffset: 20
; Occupancy: 8
; WaveLimiterHint : 0
; COMPUTE_PGM_RSRC2:SCRATCH_EN: 0
; COMPUTE_PGM_RSRC2:USER_SGPR: 6
; COMPUTE_PGM_RSRC2:TRAP_HANDLER: 0
; COMPUTE_PGM_RSRC2:TGID_X_EN: 1
; COMPUTE_PGM_RSRC2:TGID_Y_EN: 1
; COMPUTE_PGM_RSRC2:TGID_Z_EN: 1
; COMPUTE_PGM_RSRC2:TIDIG_COMP_CNT: 0
; COMPUTE_PGM_RSRC3_GFX90A:ACCUM_OFFSET: 4
; COMPUTE_PGM_RSRC3_GFX90A:TG_SPLIT: 0
	.section	.text._ZL33flash_attn_stream_k_fixup_generalILi256ELi32ELi1EEvPfPK15HIP_vector_typeIfLj2EEiiiiS1_IjLj3EES5_S5_S5_,"axG",@progbits,_ZL33flash_attn_stream_k_fixup_generalILi256ELi32ELi1EEvPfPK15HIP_vector_typeIfLj2EEiiiiS1_IjLj3EES5_S5_S5_,comdat
	.globl	_ZL33flash_attn_stream_k_fixup_generalILi256ELi32ELi1EEvPfPK15HIP_vector_typeIfLj2EEiiiiS1_IjLj3EES5_S5_S5_ ; -- Begin function _ZL33flash_attn_stream_k_fixup_generalILi256ELi32ELi1EEvPfPK15HIP_vector_typeIfLj2EEiiiiS1_IjLj3EES5_S5_S5_
	.p2align	8
	.type	_ZL33flash_attn_stream_k_fixup_generalILi256ELi32ELi1EEvPfPK15HIP_vector_typeIfLj2EEiiiiS1_IjLj3EES5_S5_S5_,@function
_ZL33flash_attn_stream_k_fixup_generalILi256ELi32ELi1EEvPfPK15HIP_vector_typeIfLj2EEiiiiS1_IjLj3EES5_S5_S5_: ; @_ZL33flash_attn_stream_k_fixup_generalILi256ELi32ELi1EEvPfPK15HIP_vector_typeIfLj2EEiiiiS1_IjLj3EES5_S5_S5_
; %bb.0:
	s_load_dwordx4 s[12:15], s[4:5], 0x10
	s_load_dword s9, s[4:5], 0x50
	s_mov_b32 s2, 0
	s_waitcnt lgkmcnt(0)
	s_mul_hi_i32 s3, s15, s6
	s_cmp_lg_u64 s[2:3], 0
	s_mul_i32 s2, s15, s6
	s_cbranch_scc0 .LBB32_21
; %bb.1:
	v_cvt_f32_u32_e32 v1, s9
	v_cvt_f32_ubyte0_e32 v2, 0
	s_sub_u32 s10, 0, s9
	s_subb_u32 s11, 0, 0
	v_madmk_f32 v1, v2, 0x4f800000, v1
	v_rcp_f32_e32 v1, v1
	v_mul_f32_e32 v1, 0x5f7ffffc, v1
	v_mul_f32_e32 v2, 0x2f800000, v1
	v_trunc_f32_e32 v2, v2
	v_madmk_f32 v1, v2, 0xcf800000, v1
	v_cvt_u32_f32_e32 v2, v2
	v_cvt_u32_f32_e32 v1, v1
	v_readfirstlane_b32 s16, v2
	v_readfirstlane_b32 s17, v1
	s_mul_i32 s18, s10, s16
	s_mul_hi_u32 s20, s10, s17
	s_mul_i32 s19, s11, s17
	s_add_i32 s18, s20, s18
	s_add_i32 s18, s18, s19
	s_mul_i32 s21, s10, s17
	s_mul_hi_u32 s19, s17, s18
	s_mul_i32 s20, s17, s18
	s_mul_hi_u32 s17, s17, s21
	s_add_u32 s17, s17, s20
	s_addc_u32 s19, 0, s19
	s_mul_hi_u32 s22, s16, s21
	s_mul_i32 s21, s16, s21
	s_add_u32 s17, s17, s21
	s_mul_hi_u32 s20, s16, s18
	s_addc_u32 s17, s19, s22
	s_addc_u32 s19, s20, 0
	s_mul_i32 s18, s16, s18
	s_add_u32 s17, s17, s18
	s_addc_u32 s18, 0, s19
	v_add_co_u32_e32 v1, vcc, s17, v1
	s_cmp_lg_u64 vcc, 0
	s_addc_u32 s16, s16, s18
	v_readfirstlane_b32 s18, v1
	s_mul_i32 s17, s10, s16
	s_mul_hi_u32 s19, s10, s18
	s_add_i32 s17, s19, s17
	s_mul_i32 s11, s11, s18
	s_add_i32 s17, s17, s11
	s_mul_i32 s10, s10, s18
	s_mul_hi_u32 s19, s16, s10
	s_mul_i32 s20, s16, s10
	s_mul_i32 s22, s18, s17
	s_mul_hi_u32 s10, s18, s10
	s_mul_hi_u32 s21, s18, s17
	s_add_u32 s10, s10, s22
	s_addc_u32 s18, 0, s21
	s_add_u32 s10, s10, s20
	s_mul_hi_u32 s11, s16, s17
	s_addc_u32 s10, s18, s19
	s_addc_u32 s11, s11, 0
	s_mul_i32 s17, s16, s17
	s_add_u32 s10, s10, s17
	s_addc_u32 s11, 0, s11
	v_add_co_u32_e32 v1, vcc, s10, v1
	s_cmp_lg_u64 vcc, 0
	s_addc_u32 s18, s16, s11
	s_ashr_i32 s10, s3, 31
	s_add_u32 s16, s2, s10
	s_mov_b32 s11, s10
	s_addc_u32 s17, s3, s10
	s_xor_b64 s[16:17], s[16:17], s[10:11]
	v_readfirstlane_b32 s20, v1
	s_mul_i32 s19, s16, s18
	s_mul_hi_u32 s21, s16, s20
	s_mul_hi_u32 s3, s16, s18
	s_add_u32 s19, s21, s19
	s_addc_u32 s3, 0, s3
	s_mul_hi_u32 s22, s17, s20
	s_mul_i32 s20, s17, s20
	s_add_u32 s19, s19, s20
	s_mul_hi_u32 s21, s17, s18
	s_addc_u32 s3, s3, s22
	s_addc_u32 s19, s21, 0
	s_mul_i32 s18, s17, s18
	s_add_u32 s3, s3, s18
	s_addc_u32 s18, 0, s19
	s_add_u32 s19, s3, 1
	s_addc_u32 s20, s18, 0
	s_add_u32 s21, s3, 2
	s_mul_i32 s23, s9, s18
	s_mul_hi_u32 s24, s9, s3
	s_addc_u32 s22, s18, 0
	s_add_i32 s24, s24, s23
	s_mul_i32 s23, s9, s3
	v_mov_b32_e32 v1, s23
	v_sub_co_u32_e32 v1, vcc, s16, v1
	s_cmp_lg_u64 vcc, 0
	s_subb_u32 s16, s17, s24
	v_subrev_co_u32_e32 v2, vcc, s9, v1
	s_cmp_lg_u64 vcc, 0
	s_subb_u32 s17, s16, 0
	v_readfirstlane_b32 s23, v2
	s_cmp_ge_u32 s23, s9
	s_cselect_b32 s23, -1, 0
	s_cmp_eq_u32 s17, 0
	s_cselect_b32 s17, s23, -1
	s_cmp_lg_u32 s17, 0
	s_cselect_b32 s17, s22, s20
	v_readfirstlane_b32 s20, v1
	s_cselect_b32 s19, s21, s19
	s_cmp_ge_u32 s20, s9
	s_cselect_b32 s20, -1, 0
	s_cmp_eq_u32 s16, 0
	s_cselect_b32 s16, s20, -1
	s_cmp_lg_u32 s16, 0
	s_cselect_b32 s17, s17, s18
	s_cselect_b32 s16, s19, s3
	s_xor_b64 s[16:17], s[16:17], s[10:11]
	s_sub_u32 s20, s16, s10
	s_load_dwordx4 s[16:19], s[4:5], 0x44
	s_cbranch_execnz .LBB32_3
.LBB32_2:
	v_cvt_f32_u32_e32 v1, s9
	s_sub_i32 s0, 0, s9
	v_rcp_iflag_f32_e32 v1, v1
	v_mul_f32_e32 v1, 0x4f7ffffe, v1
	v_cvt_u32_f32_e32 v1, v1
	v_readfirstlane_b32 s1, v1
	s_mul_i32 s0, s0, s1
	s_mul_hi_u32 s0, s1, s0
	s_add_i32 s1, s1, s0
	s_mul_hi_u32 s0, s2, s1
	s_mul_i32 s3, s0, s9
	s_sub_i32 s2, s2, s3
	s_add_i32 s1, s0, 1
	s_sub_i32 s3, s2, s9
	s_cmp_ge_u32 s2, s9
	s_cselect_b32 s0, s1, s0
	s_cselect_b32 s2, s3, s2
	s_add_i32 s1, s0, 1
	s_cmp_ge_u32 s2, s9
	s_cselect_b32 s20, s1, s0
.LBB32_3:
	s_add_i32 s0, s6, 1
	s_mul_hi_i32 s3, s15, s0
	s_mov_b32 s2, 0
	s_cmp_lg_u64 s[2:3], 0
	s_mul_i32 s2, s15, s0
	s_cbranch_scc0 .LBB32_22
; %bb.4:
	v_cvt_f32_u32_e32 v1, s9
	v_cvt_f32_ubyte0_e32 v2, 0
	s_sub_u32 s10, 0, s9
	s_subb_u32 s11, 0, 0
	v_madmk_f32 v1, v2, 0x4f800000, v1
	v_rcp_f32_e32 v1, v1
	v_mul_f32_e32 v1, 0x5f7ffffc, v1
	v_mul_f32_e32 v2, 0x2f800000, v1
	v_trunc_f32_e32 v2, v2
	v_madmk_f32 v1, v2, 0xcf800000, v1
	v_cvt_u32_f32_e32 v2, v2
	v_cvt_u32_f32_e32 v1, v1
	s_waitcnt lgkmcnt(0)
	v_readfirstlane_b32 s19, v2
	v_readfirstlane_b32 s21, v1
	s_mul_i32 s22, s10, s19
	s_mul_hi_u32 s24, s10, s21
	s_mul_i32 s23, s11, s21
	s_add_i32 s22, s24, s22
	s_add_i32 s22, s22, s23
	s_mul_i32 s25, s10, s21
	s_mul_hi_u32 s23, s21, s22
	s_mul_i32 s24, s21, s22
	s_mul_hi_u32 s21, s21, s25
	s_add_u32 s21, s21, s24
	s_addc_u32 s23, 0, s23
	s_mul_hi_u32 s26, s19, s25
	s_mul_i32 s25, s19, s25
	s_add_u32 s21, s21, s25
	s_mul_hi_u32 s24, s19, s22
	s_addc_u32 s21, s23, s26
	s_addc_u32 s23, s24, 0
	s_mul_i32 s22, s19, s22
	s_add_u32 s21, s21, s22
	s_addc_u32 s22, 0, s23
	v_add_co_u32_e32 v1, vcc, s21, v1
	s_cmp_lg_u64 vcc, 0
	s_addc_u32 s19, s19, s22
	v_readfirstlane_b32 s22, v1
	s_mul_i32 s21, s10, s19
	s_mul_hi_u32 s23, s10, s22
	s_add_i32 s21, s23, s21
	s_mul_i32 s11, s11, s22
	s_add_i32 s21, s21, s11
	s_mul_i32 s10, s10, s22
	s_mul_hi_u32 s23, s19, s10
	s_mul_i32 s24, s19, s10
	s_mul_i32 s26, s22, s21
	s_mul_hi_u32 s10, s22, s10
	s_mul_hi_u32 s25, s22, s21
	s_add_u32 s10, s10, s26
	s_addc_u32 s22, 0, s25
	s_add_u32 s10, s10, s24
	s_mul_hi_u32 s11, s19, s21
	s_addc_u32 s10, s22, s23
	s_addc_u32 s11, s11, 0
	s_mul_i32 s21, s19, s21
	s_add_u32 s10, s10, s21
	s_addc_u32 s11, 0, s11
	v_add_co_u32_e32 v1, vcc, s10, v1
	s_cmp_lg_u64 vcc, 0
	s_addc_u32 s19, s19, s11
	s_ashr_i32 s10, s3, 31
	s_add_u32 s22, s2, s10
	s_mov_b32 s11, s10
	s_addc_u32 s23, s3, s10
	s_xor_b64 s[22:23], s[22:23], s[10:11]
	v_readfirstlane_b32 s21, v1
	s_mul_i32 s11, s22, s19
	s_mul_hi_u32 s24, s22, s21
	s_mul_hi_u32 s3, s22, s19
	s_add_u32 s11, s24, s11
	s_addc_u32 s3, 0, s3
	s_mul_hi_u32 s25, s23, s21
	s_mul_i32 s21, s23, s21
	s_add_u32 s11, s11, s21
	s_mul_hi_u32 s24, s23, s19
	s_addc_u32 s3, s3, s25
	s_addc_u32 s11, s24, 0
	s_mul_i32 s19, s23, s19
	s_add_u32 s3, s3, s19
	s_addc_u32 s11, 0, s11
	s_mul_i32 s11, s9, s11
	s_mul_hi_u32 s24, s9, s3
	s_add_i32 s24, s24, s11
	s_mul_i32 s11, s9, s3
	v_mov_b32_e32 v1, s11
	s_add_u32 s19, s3, 1
	s_add_u32 s21, s3, 2
	v_sub_co_u32_e32 v1, vcc, s22, v1
	s_cmp_lg_u64 vcc, 0
	s_subb_u32 s11, s23, s24
	v_subrev_co_u32_e32 v2, vcc, s9, v1
	s_cmp_lg_u64 vcc, 0
	s_subb_u32 s22, s11, 0
	v_cmp_le_u32_e32 vcc, s9, v2
	s_cmp_eq_u32 s22, 0
	v_cndmask_b32_e64 v2, 0, -1, vcc
	s_cselect_b64 vcc, -1, 0
	v_cndmask_b32_e32 v2, -1, v2, vcc
	v_mov_b32_e32 v3, s19
	v_mov_b32_e32 v4, s21
	v_cmp_ne_u32_e32 vcc, 0, v2
	v_cndmask_b32_e32 v2, v3, v4, vcc
	v_cmp_le_u32_e32 vcc, s9, v1
	s_cmp_eq_u32 s11, 0
	v_cndmask_b32_e64 v1, 0, -1, vcc
	s_cselect_b64 vcc, -1, 0
	v_cndmask_b32_e32 v1, -1, v1, vcc
	v_mov_b32_e32 v3, s3
	v_cmp_ne_u32_e32 vcc, 0, v1
	v_cndmask_b32_e32 v1, v3, v2, vcc
	v_xor_b32_e32 v1, s10, v1
	v_subrev_co_u32_e32 v2, vcc, s10, v1
	s_cbranch_execnz .LBB32_6
.LBB32_5:
	v_cvt_f32_u32_e32 v1, s9
	s_sub_i32 s0, 0, s9
	s_mov_b32 s1, 0
	v_rcp_iflag_f32_e32 v1, v1
	v_mul_f32_e32 v1, 0x4f7ffffe, v1
	v_cvt_u32_f32_e32 v1, v1
	v_readfirstlane_b32 s3, v1
	s_mul_i32 s0, s0, s3
	s_mul_hi_u32 s0, s3, s0
	s_add_i32 s3, s3, s0
	s_mul_hi_u32 s0, s2, s3
	s_mul_i32 s10, s0, s9
	s_sub_i32 s2, s2, s10
	s_add_i32 s3, s0, 1
	s_sub_i32 s10, s2, s9
	s_cmp_ge_u32 s2, s9
	s_cselect_b32 s0, s3, s0
	s_cselect_b32 s2, s10, s2
	s_add_i32 s3, s0, 1
	s_cmp_ge_u32 s2, s9
	s_cselect_b32 s0, s3, s0
	v_pk_mov_b32 v[2:3], s[0:1], s[0:1] op_sel:[0,1]
.LBB32_6:
	s_waitcnt lgkmcnt(0)
	s_mul_hi_u32 s0, s20, s16
	s_add_i32 s0, s0, s20
	v_mul_hi_u32 v1, v2, s16
	s_lshr_b32 s19, s0, s17
	v_add_u32_e32 v1, v1, v2
	s_mul_i32 s0, s19, s18
	v_lshrrev_b32_e32 v1, s17, v1
	s_cmp_eq_u32 s0, s20
	v_cmp_eq_u32_e64 s[0:1], s19, v1
	v_mul_lo_u32 v1, v1, s18
	v_cmp_eq_u32_e32 vcc, s20, v2
	s_cselect_b64 s[10:11], -1, 0
	v_cmp_ne_u32_e64 s[2:3], v1, v2
	s_and_b64 s[0:1], s[0:1], s[2:3]
	s_or_b64 s[2:3], vcc, s[10:11]
	s_or_b64 s[0:1], s[2:3], s[0:1]
	s_and_b64 vcc, exec, s[0:1]
	s_cbranch_vccnz .LBB32_24
; %bb.7:
	s_load_dwordx8 s[24:31], s[4:5], 0x20
	s_load_dword s0, s[4:5], 0x40
	s_mov_b32 s10, 0
	s_waitcnt lgkmcnt(0)
	s_mul_hi_u32 s1, s20, s24
	s_add_i32 s1, s1, s20
	s_lshr_b32 s11, s1, s25
	s_mul_i32 s1, s11, s26
	s_sub_i32 s1, s20, s1
	s_mul_hi_u32 s2, s1, s27
	s_add_i32 s2, s1, s2
	s_lshr_b32 s25, s2, s28
	s_mul_i32 s2, s25, s29
	s_sub_i32 s1, s1, s2
	;; [unrolled: 5-line block ×3, first 2 shown]
	s_mul_hi_u32 s1, s0, s16
	s_add_i32 s0, s0, s1
	s_lshr_b32 s26, s0, s17
	s_lshl_b32 s0, s26, 5
	s_add_i32 s0, s0, s7
	s_cmp_lt_i32 s0, s12
	s_cselect_b64 s[0:1], -1, 0
	s_add_i32 s2, s24, s8
	s_cmp_lt_i32 s2, s14
	s_cselect_b64 s[2:3], -1, 0
	s_and_b64 s[0:1], s[0:1], s[2:3]
	s_andn2_b64 vcc, exec, s[0:1]
	s_cbranch_vccnz .LBB32_24
; %bb.8:
	s_load_dwordx4 s[0:3], s[4:5], 0x0
	s_lshl_b32 s4, s9, 7
	s_mov_b32 s5, s10
	s_add_i32 s21, s7, s8
	s_lshl_b64 s[4:5], s[4:5], 2
	s_waitcnt lgkmcnt(0)
	s_add_u32 s22, s2, s4
	s_mul_i32 s4, s11, s12
	s_addc_u32 s23, s3, s5
	s_add_i32 s4, s4, s7
	s_mul_i32 s4, s4, s13
	s_mul_i32 s25, s25, s14
	s_add_i32 s4, s4, s8
	s_add_i32 s4, s4, s25
	s_mul_i32 s5, s13, s26
	s_add_i32 s4, s4, s24
	s_lshl_b32 s5, s5, 13
	s_lshl_b32 s4, s4, 8
	s_add_i32 s5, s5, s4
	v_or_b32_e32 v2, s5, v0
	v_ashrrev_i32_e32 v3, 31, v2
	v_lshlrev_b64 v[2:3], 2, v[2:3]
	v_mov_b32_e32 v1, s1
	v_add_co_u32_e32 v2, vcc, s0, v2
	v_addc_co_u32_e32 v3, vcc, v1, v3, vcc
	global_load_dword v5, v[2:3], off
	v_lshl_or_b32 v4, s21, 8, v0
	v_cvt_f32_u32_e32 v0, s9
	v_cvt_f32_ubyte0_e32 v1, 0
	s_lshl_b32 s0, s6, 5
	s_add_i32 s0, s0, s21
	v_mac_f32_e32 v0, 0x4f800000, v1
	v_rcp_f32_e32 v0, v0
	v_cvt_f32_u32_e32 v1, s9
	s_ashr_i32 s1, s0, 31
	s_lshl_b64 s[0:1], s[0:1], 3
	v_mul_f32_e32 v0, 0x5f7ffffc, v0
	v_rcp_iflag_f32_e32 v1, v1
	s_add_u32 s0, s2, s0
	v_mul_f32_e32 v9, 0x2f800000, v0
	s_addc_u32 s1, s3, s1
	v_trunc_f32_e32 v10, v9
	s_load_dwordx2 s[0:1], s[0:1], 0x0
	v_mac_f32_e32 v0, 0xcf800000, v10
	v_cvt_u32_f32_e32 v9, v0
	v_mul_f32_e32 v0, 0x4f7ffffe, v1
	v_cvt_u32_f32_e32 v10, v10
	v_cvt_u32_f32_e32 v11, v0
	s_add_i32 s8, s6, -1
	s_waitcnt lgkmcnt(0)
	v_mov_b32_e32 v6, s1
	v_mov_b32_e32 v7, s0
	;; [unrolled: 1-line block ×3, first 2 shown]
	s_mov_b32 s6, 0x3fb8aa3b
	s_mov_b32 s7, 0xc2ce8ed0
	s_mov_b32 s12, 0x42b17218
	s_mov_b32 s13, 0xc1a00000
	v_mov_b32_e32 v12, 0x7f800000
	s_mul_hi_i32 s11, s8, s15
	s_cmp_lg_u64 s[10:11], 0
	s_mul_i32 s4, s8, s15
	s_cbranch_scc0 .LBB32_15
.LBB32_9:
	s_sub_u32 s0, 0, s9
	v_readfirstlane_b32 s5, v9
	v_readfirstlane_b32 s24, v10
	s_subb_u32 s1, 0, 0
	s_mul_hi_u32 s20, s0, s5
	s_mul_i32 s25, s0, s24
	s_mul_i32 s14, s1, s5
	s_add_i32 s20, s20, s25
	s_add_i32 s20, s20, s14
	s_mul_i32 s26, s0, s5
	s_mul_hi_u32 s14, s5, s20
	s_mul_i32 s25, s5, s20
	s_mul_hi_u32 s5, s5, s26
	s_add_u32 s5, s5, s25
	s_addc_u32 s14, 0, s14
	s_mul_hi_u32 s27, s24, s26
	s_mul_i32 s26, s24, s26
	s_add_u32 s5, s5, s26
	s_mul_hi_u32 s25, s24, s20
	s_addc_u32 s5, s14, s27
	s_addc_u32 s14, s25, 0
	s_mul_i32 s20, s24, s20
	s_add_u32 s5, s5, s20
	s_addc_u32 s14, 0, s14
	v_add_co_u32_e32 v0, vcc, s5, v9
	s_cmp_lg_u64 vcc, 0
	s_addc_u32 s5, s24, s14
	v_readfirstlane_b32 s20, v0
	s_mul_i32 s14, s0, s5
	s_mul_hi_u32 s24, s0, s20
	s_add_i32 s14, s24, s14
	s_mul_i32 s1, s1, s20
	s_add_i32 s14, s14, s1
	s_mul_i32 s0, s0, s20
	s_mul_hi_u32 s24, s5, s0
	s_mul_i32 s25, s5, s0
	s_mul_i32 s27, s20, s14
	s_mul_hi_u32 s0, s20, s0
	s_mul_hi_u32 s26, s20, s14
	s_add_u32 s0, s0, s27
	s_addc_u32 s20, 0, s26
	s_add_u32 s0, s0, s25
	s_mul_hi_u32 s1, s5, s14
	s_addc_u32 s0, s20, s24
	s_addc_u32 s1, s1, 0
	s_mul_i32 s14, s5, s14
	s_add_u32 s0, s0, s14
	s_addc_u32 s1, 0, s1
	v_add_co_u32_e32 v0, vcc, s0, v0
	s_cmp_lg_u64 vcc, 0
	s_addc_u32 s5, s5, s1
	s_ashr_i32 s0, s11, 31
	s_add_u32 s24, s4, s0
	s_mov_b32 s1, s0
	s_addc_u32 s25, s11, s0
	s_xor_b64 s[24:25], s[24:25], s[0:1]
	v_readfirstlane_b32 s14, v0
	s_mul_i32 s11, s24, s5
	s_mul_hi_u32 s20, s24, s14
	s_mul_hi_u32 s1, s24, s5
	s_add_u32 s11, s20, s11
	s_addc_u32 s1, 0, s1
	s_mul_hi_u32 s26, s25, s14
	s_mul_i32 s14, s25, s14
	s_add_u32 s11, s11, s14
	s_mul_hi_u32 s20, s25, s5
	s_addc_u32 s1, s1, s26
	s_addc_u32 s11, s20, 0
	s_mul_i32 s5, s25, s5
	s_add_u32 s1, s1, s5
	s_addc_u32 s5, 0, s11
	s_mul_i32 s5, s9, s5
	s_mul_hi_u32 s20, s9, s1
	s_add_i32 s20, s20, s5
	s_mul_i32 s5, s9, s1
	v_mov_b32_e32 v0, s5
	s_add_u32 s11, s1, 1
	s_add_u32 s14, s1, 2
	v_sub_co_u32_e32 v0, vcc, s24, v0
	s_cmp_lg_u64 vcc, 0
	s_subb_u32 s5, s25, s20
	v_subrev_co_u32_e32 v1, vcc, s9, v0
	s_cmp_lg_u64 vcc, 0
	s_subb_u32 s20, s5, 0
	v_cmp_le_u32_e32 vcc, s9, v1
	s_cmp_eq_u32 s20, 0
	v_cndmask_b32_e64 v1, 0, -1, vcc
	s_cselect_b64 vcc, -1, 0
	v_cndmask_b32_e32 v1, -1, v1, vcc
	v_mov_b32_e32 v13, s11
	v_mov_b32_e32 v14, s14
	v_cmp_ne_u32_e32 vcc, 0, v1
	v_cndmask_b32_e32 v1, v13, v14, vcc
	v_cmp_le_u32_e32 vcc, s9, v0
	s_cmp_eq_u32 s5, 0
	v_cndmask_b32_e64 v0, 0, -1, vcc
	s_cselect_b64 vcc, -1, 0
	v_cndmask_b32_e32 v0, -1, v0, vcc
	v_mov_b32_e32 v13, s1
	v_cmp_ne_u32_e32 vcc, 0, v0
	v_cndmask_b32_e32 v0, v13, v1, vcc
	v_xor_b32_e32 v0, s0, v0
	v_subrev_co_u32_e32 v0, vcc, s0, v0
	s_cbranch_execnz .LBB32_11
.LBB32_10:
	s_sub_i32 s0, 0, s9
	v_mul_lo_u32 v0, s0, v11
	v_mul_hi_u32 v0, v11, v0
	v_add_u32_e32 v0, v11, v0
	v_mul_hi_u32 v0, s4, v0
	v_mul_lo_u32 v13, v0, s9
	v_sub_u32_e32 v13, s4, v13
	v_add_u32_e32 v1, 1, v0
	v_subrev_u32_e32 v14, s9, v13
	v_cmp_le_u32_e32 vcc, s9, v13
	v_cndmask_b32_e32 v13, v13, v14, vcc
	v_cndmask_b32_e32 v0, v0, v1, vcc
	v_add_u32_e32 v1, 1, v0
	v_cmp_le_u32_e32 vcc, s9, v13
	v_cndmask_b32_e32 v0, v0, v1, vcc
.LBB32_11:
	v_cmp_ne_u32_e32 vcc, v8, v0
	s_cbranch_vccz .LBB32_14
; %bb.12:
	s_add_i32 s0, s8, s9
	s_lshl_b32 s0, s0, 5
	v_mul_hi_u32 v1, v0, s16
	s_add_i32 s0, s0, s21
	s_mov_b32 s1, s10
	v_add_u32_e32 v1, v1, v0
	s_lshl_b64 s[0:1], s[0:1], 3
	v_lshrrev_b32_e32 v1, s17, v1
	s_add_u32 s4, s2, s0
	v_mul_lo_u32 v13, v1, s18
	s_addc_u32 s5, s3, s1
	v_cmp_eq_u32_e32 vcc, v13, v0
	v_cmp_gt_u32_e64 s[0:1], s19, v1
	s_or_b64 s[0:1], s[0:1], vcc
	s_and_b64 vcc, exec, s[0:1]
	s_cbranch_vccnz .LBB32_16
; %bb.13:
	s_add_i32 s11, s8, -1
	s_mov_b64 s[0:1], 0
	s_branch .LBB32_17
.LBB32_14:
                                        ; implicit-def: $sgpr0_sgpr1
                                        ; implicit-def: $vgpr14
                                        ; implicit-def: $vgpr1
                                        ; implicit-def: $vgpr13
                                        ; implicit-def: $sgpr11
                                        ; implicit-def: $vgpr0
	s_branch .LBB32_18
.LBB32_15:
                                        ; implicit-def: $vgpr0_vgpr1
	s_branch .LBB32_10
.LBB32_16:
	s_mov_b64 s[0:1], -1
	s_mov_b32 s11, s8
	v_mov_b32_e32 v0, v8
.LBB32_17:
	v_lshl_add_u32 v14, s8, 13, v4
	v_ashrrev_i32_e32 v15, 31, v14
	v_lshlrev_b64 v[14:15], 2, v[14:15]
	v_mov_b32_e32 v1, s23
	v_add_co_u32_e32 v14, vcc, s22, v14
	v_addc_co_u32_e32 v15, vcc, v1, v15, vcc
	global_load_dword v14, v[14:15], off
	s_load_dwordx2 s[4:5], s[4:5], 0x0
	v_max_f32_e32 v1, v7, v7
	s_waitcnt lgkmcnt(0)
	v_max_f32_e64 v13, s4, s4
	v_max_f32_e32 v1, v1, v13
	v_sub_f32_e32 v13, v7, v1
	v_sub_f32_e32 v15, s4, v1
	v_mul_f32_e32 v16, 0x3fb8aa3b, v13
	v_mul_f32_e32 v17, 0x3fb8aa3b, v15
	v_fma_f32 v18, v13, s6, -v16
	v_rndne_f32_e32 v19, v16
	v_fma_f32 v20, v15, s6, -v17
	v_rndne_f32_e32 v21, v17
	v_fmac_f32_e32 v18, 0x32a5705f, v13
	v_sub_f32_e32 v16, v16, v19
	v_fmac_f32_e32 v20, 0x32a5705f, v15
	v_sub_f32_e32 v17, v17, v21
	v_add_f32_e32 v16, v16, v18
	v_cvt_i32_f32_e32 v19, v19
	v_add_f32_e32 v17, v17, v20
	v_exp_f32_e32 v16, v16
	v_cvt_i32_f32_e32 v21, v21
	v_exp_f32_e32 v17, v17
	v_cmp_ngt_f32_e32 vcc, s7, v13
	v_ldexp_f32 v16, v16, v19
	v_cndmask_b32_e32 v16, 0, v16, vcc
	v_ldexp_f32 v17, v17, v21
	v_cmp_ngt_f32_e32 vcc, s7, v15
	v_cndmask_b32_e32 v17, 0, v17, vcc
	v_cmp_nlt_f32_e32 vcc, s12, v13
	v_cndmask_b32_e32 v16, v12, v16, vcc
	v_cmp_nlt_f32_e32 vcc, s12, v15
	v_cndmask_b32_e32 v17, v12, v17, vcc
	v_cmp_le_f32_e32 vcc, s13, v13
	v_cndmask_b32_e32 v16, 0, v16, vcc
	v_cmp_le_f32_e32 vcc, s13, v15
	v_cndmask_b32_e32 v15, 0, v17, vcc
	v_mul_f32_e32 v13, s5, v15
	v_fmac_f32_e32 v13, v6, v16
	s_waitcnt vmcnt(0)
	v_mul_f32_e32 v14, v14, v15
	v_fmac_f32_e32 v14, v5, v16
	s_cbranch_execnz .LBB32_19
.LBB32_18:
	s_add_i32 s11, s8, -1
	s_mov_b64 s[0:1], 0
	v_mov_b32_e32 v0, v8
	v_mov_b32_e32 v13, v6
	;; [unrolled: 1-line block ×3, first 2 shown]
	s_waitcnt vmcnt(0)
	v_mov_b32_e32 v14, v5
.LBB32_19:
	s_andn2_b64 vcc, exec, s[0:1]
	s_cbranch_vccz .LBB32_23
; %bb.20:
	v_mov_b32_e32 v8, v0
	s_mov_b32 s8, s11
	v_mov_b32_e32 v6, v13
	v_mov_b32_e32 v7, v1
	s_waitcnt vmcnt(0)
	v_mov_b32_e32 v5, v14
	s_mul_hi_i32 s11, s8, s15
	s_cmp_lg_u64 s[10:11], 0
	s_mul_i32 s4, s8, s15
	s_cbranch_scc1 .LBB32_9
	s_branch .LBB32_15
.LBB32_21:
                                        ; implicit-def: $sgpr20_sgpr21
	s_load_dwordx4 s[16:19], s[4:5], 0x44
	s_branch .LBB32_2
.LBB32_22:
                                        ; implicit-def: $vgpr2_vgpr3
	s_branch .LBB32_5
.LBB32_23:
	v_div_scale_f32 v0, s[0:1], v13, v13, v14
	v_rcp_f32_e32 v1, v0
	v_div_scale_f32 v4, vcc, v14, v13, v14
	s_waitcnt vmcnt(0)
	v_fma_f32 v5, -v0, v1, 1.0
	v_fmac_f32_e32 v1, v5, v1
	v_mul_f32_e32 v5, v4, v1
	v_fma_f32 v6, -v0, v5, v4
	v_fmac_f32_e32 v5, v6, v1
	v_fma_f32 v0, -v0, v5, v4
	v_div_fmas_f32 v0, v0, v1, v5
	v_div_fixup_f32 v0, v0, v13, v14
	global_store_dword v[2:3], v0, off
.LBB32_24:
	s_endpgm
	.section	.rodata,"a",@progbits
	.p2align	6, 0x0
	.amdhsa_kernel _ZL33flash_attn_stream_k_fixup_generalILi256ELi32ELi1EEvPfPK15HIP_vector_typeIfLj2EEiiiiS1_IjLj3EES5_S5_S5_
		.amdhsa_group_segment_fixed_size 0
		.amdhsa_private_segment_fixed_size 0
		.amdhsa_kernarg_size 336
		.amdhsa_user_sgpr_count 6
		.amdhsa_user_sgpr_private_segment_buffer 1
		.amdhsa_user_sgpr_dispatch_ptr 0
		.amdhsa_user_sgpr_queue_ptr 0
		.amdhsa_user_sgpr_kernarg_segment_ptr 1
		.amdhsa_user_sgpr_dispatch_id 0
		.amdhsa_user_sgpr_flat_scratch_init 0
		.amdhsa_user_sgpr_kernarg_preload_length 0
		.amdhsa_user_sgpr_kernarg_preload_offset 0
		.amdhsa_user_sgpr_private_segment_size 0
		.amdhsa_uses_dynamic_stack 0
		.amdhsa_system_sgpr_private_segment_wavefront_offset 0
		.amdhsa_system_sgpr_workgroup_id_x 1
		.amdhsa_system_sgpr_workgroup_id_y 1
		.amdhsa_system_sgpr_workgroup_id_z 1
		.amdhsa_system_sgpr_workgroup_info 0
		.amdhsa_system_vgpr_workitem_id 0
		.amdhsa_next_free_vgpr 22
		.amdhsa_next_free_sgpr 32
		.amdhsa_accum_offset 24
		.amdhsa_reserve_vcc 1
		.amdhsa_reserve_flat_scratch 0
		.amdhsa_float_round_mode_32 0
		.amdhsa_float_round_mode_16_64 0
		.amdhsa_float_denorm_mode_32 3
		.amdhsa_float_denorm_mode_16_64 3
		.amdhsa_dx10_clamp 1
		.amdhsa_ieee_mode 1
		.amdhsa_fp16_overflow 0
		.amdhsa_tg_split 0
		.amdhsa_exception_fp_ieee_invalid_op 0
		.amdhsa_exception_fp_denorm_src 0
		.amdhsa_exception_fp_ieee_div_zero 0
		.amdhsa_exception_fp_ieee_overflow 0
		.amdhsa_exception_fp_ieee_underflow 0
		.amdhsa_exception_fp_ieee_inexact 0
		.amdhsa_exception_int_div_zero 0
	.end_amdhsa_kernel
	.section	.text._ZL33flash_attn_stream_k_fixup_generalILi256ELi32ELi1EEvPfPK15HIP_vector_typeIfLj2EEiiiiS1_IjLj3EES5_S5_S5_,"axG",@progbits,_ZL33flash_attn_stream_k_fixup_generalILi256ELi32ELi1EEvPfPK15HIP_vector_typeIfLj2EEiiiiS1_IjLj3EES5_S5_S5_,comdat
.Lfunc_end32:
	.size	_ZL33flash_attn_stream_k_fixup_generalILi256ELi32ELi1EEvPfPK15HIP_vector_typeIfLj2EEiiiiS1_IjLj3EES5_S5_S5_, .Lfunc_end32-_ZL33flash_attn_stream_k_fixup_generalILi256ELi32ELi1EEvPfPK15HIP_vector_typeIfLj2EEiiiiS1_IjLj3EES5_S5_S5_
                                        ; -- End function
	.section	.AMDGPU.csdata,"",@progbits
; Kernel info:
; codeLenInByte = 2816
; NumSgprs: 36
; NumVgprs: 22
; NumAgprs: 0
; TotalNumVgprs: 22
; ScratchSize: 0
; MemoryBound: 0
; FloatMode: 240
; IeeeMode: 1
; LDSByteSize: 0 bytes/workgroup (compile time only)
; SGPRBlocks: 4
; VGPRBlocks: 2
; NumSGPRsForWavesPerEU: 36
; NumVGPRsForWavesPerEU: 22
; AccumOffset: 24
; Occupancy: 8
; WaveLimiterHint : 0
; COMPUTE_PGM_RSRC2:SCRATCH_EN: 0
; COMPUTE_PGM_RSRC2:USER_SGPR: 6
; COMPUTE_PGM_RSRC2:TRAP_HANDLER: 0
; COMPUTE_PGM_RSRC2:TGID_X_EN: 1
; COMPUTE_PGM_RSRC2:TGID_Y_EN: 1
; COMPUTE_PGM_RSRC2:TGID_Z_EN: 1
; COMPUTE_PGM_RSRC2:TIDIG_COMP_CNT: 0
; COMPUTE_PGM_RSRC3_GFX90A:ACCUM_OFFSET: 5
; COMPUTE_PGM_RSRC3_GFX90A:TG_SPLIT: 0
	.section	.text._ZL26flash_attn_combine_resultsILi256EEvPKfPK15HIP_vector_typeIfLj2EEPfi,"axG",@progbits,_ZL26flash_attn_combine_resultsILi256EEvPKfPK15HIP_vector_typeIfLj2EEPfi,comdat
	.globl	_ZL26flash_attn_combine_resultsILi256EEvPKfPK15HIP_vector_typeIfLj2EEPfi ; -- Begin function _ZL26flash_attn_combine_resultsILi256EEvPKfPK15HIP_vector_typeIfLj2EEPfi
	.p2align	8
	.type	_ZL26flash_attn_combine_resultsILi256EEvPKfPK15HIP_vector_typeIfLj2EEPfi,@function
_ZL26flash_attn_combine_resultsILi256EEvPKfPK15HIP_vector_typeIfLj2EEPfi: ; @_ZL26flash_attn_combine_resultsILi256EEvPKfPK15HIP_vector_typeIfLj2EEPfi
; %bb.0:
	s_load_dwordx2 s[10:11], s[4:5], 0x20
	s_load_dword s17, s[4:5], 0x18
	s_load_dwordx4 s[0:3], s[4:5], 0x0
	s_load_dwordx2 s[14:15], s[4:5], 0x10
	s_waitcnt lgkmcnt(0)
	s_mul_i32 s4, s10, s8
	s_add_i32 s4, s4, s6
	s_mul_i32 s16, s4, s11
	s_add_i32 s16, s16, s7
	s_lshl_b32 s18, s17, 1
	s_mul_i32 s4, s16, s17
	v_cmp_gt_i32_e32 vcc, s18, v0
	s_and_saveexec_b64 s[6:7], vcc
	s_cbranch_execz .LBB33_13
; %bb.1:
	v_xad_u32 v1, v0, -1, s18
	s_movk_i32 s8, 0xff
	s_ashr_i32 s5, s4, 31
	v_cmp_lt_u32_e32 vcc, s8, v1
	s_mov_b64 s[10:11], -1
	v_mov_b32_e32 v2, v0
	s_and_saveexec_b64 s[8:9], vcc
	s_cbranch_execz .LBB33_10
; %bb.2:
	v_lshrrev_b32_e32 v6, 8, v1
	s_lshl_b64 s[10:11], s[4:5], 3
	v_add_u32_e32 v2, -1, v6
	s_add_u32 s19, s2, s10
	v_or_b32_e32 v1, 0x100, v0
	v_lshrrev_b32_e32 v3, 1, v2
	s_addc_u32 s20, s3, s11
	v_add_u32_e32 v7, 1, v3
	v_cmp_lt_u32_e32 vcc, 13, v2
	v_mov_b32_e32 v4, 0
	v_pk_mov_b32 v[2:3], v[0:1], v[0:1] op_sel:[0,1]
	s_and_saveexec_b64 s[10:11], vcc
	s_cbranch_execz .LBB33_6
; %bb.3:
	v_and_b32_e32 v8, -8, v7
	s_mov_b32 s21, 0
	v_lshl_add_u32 v9, v0, 2, 0
	s_mov_b64 s[12:13], 0
	v_mov_b32_e32 v10, s20
	v_mov_b32_e32 v5, 0
	v_pk_mov_b32 v[2:3], v[0:1], v[0:1] op_sel:[0,1]
.LBB33_4:                               ; =>This Inner Loop Header: Depth=1
	v_mov_b32_e32 v4, v2
	v_lshlrev_b64 v[26:27], 2, v[4:5]
	v_add_u32_e32 v12, 0x200, v3
	v_mov_b32_e32 v13, v5
	v_add_co_u32_e32 v26, vcc, s19, v26
	v_lshlrev_b64 v[12:13], 2, v[12:13]
	v_addc_co_u32_e32 v27, vcc, v10, v27, vcc
	v_add_u32_e32 v14, 0x400, v3
	v_mov_b32_e32 v15, v5
	v_add_co_u32_e32 v12, vcc, s19, v12
	v_lshlrev_b64 v[14:15], 2, v[14:15]
	v_addc_co_u32_e32 v13, vcc, v10, v13, vcc
	;; [unrolled: 5-line block ×7, first 2 shown]
	v_mov_b32_e32 v4, v3
	v_add_co_u32_e32 v24, vcc, s19, v24
	v_lshlrev_b64 v[28:29], 2, v[4:5]
	v_addc_co_u32_e32 v25, vcc, v10, v25, vcc
	v_add_u32_e32 v4, 0x200, v2
	v_add_co_u32_e32 v28, vcc, s19, v28
	v_addc_co_u32_e32 v29, vcc, v10, v29, vcc
	global_load_dword v1, v[26:27], off
	v_lshlrev_b64 v[26:27], 2, v[4:5]
	v_add_u32_e32 v4, 0x400, v2
	v_add_co_u32_e32 v26, vcc, s19, v26
	v_addc_co_u32_e32 v27, vcc, v10, v27, vcc
	v_lshlrev_b64 v[30:31], 2, v[4:5]
	v_add_u32_e32 v4, 0x600, v2
	global_load_dword v11, v[28:29], off
	global_load_dword v32, v[26:27], off
	;; [unrolled: 1-line block ×3, first 2 shown]
	v_add_co_u32_e32 v12, vcc, s19, v30
	v_addc_co_u32_e32 v13, vcc, v10, v31, vcc
	v_lshlrev_b64 v[26:27], 2, v[4:5]
	v_add_u32_e32 v4, 0x800, v2
	v_add_co_u32_e32 v26, vcc, s19, v26
	v_addc_co_u32_e32 v27, vcc, v10, v27, vcc
	v_lshlrev_b64 v[28:29], 2, v[4:5]
	v_add_u32_e32 v4, 0xa00, v2
	global_load_dword v30, v[12:13], off
	global_load_dword v31, v[14:15], off
	;; [unrolled: 1-line block ×4, first 2 shown]
	v_add_co_u32_e32 v12, vcc, s19, v28
	v_addc_co_u32_e32 v13, vcc, v10, v29, vcc
	v_lshlrev_b64 v[14:15], 2, v[4:5]
	v_add_u32_e32 v4, 0xc00, v2
	v_add_co_u32_e32 v14, vcc, s19, v14
	v_addc_co_u32_e32 v15, vcc, v10, v15, vcc
	v_lshlrev_b64 v[16:17], 2, v[4:5]
	v_add_u32_e32 v4, 0xe00, v2
	global_load_dword v26, v[12:13], off
	global_load_dword v27, v[18:19], off
	;; [unrolled: 1-line block ×4, first 2 shown]
	v_add_co_u32_e32 v12, vcc, s19, v16
	v_addc_co_u32_e32 v13, vcc, v10, v17, vcc
	v_lshlrev_b64 v[14:15], 2, v[4:5]
	v_add_co_u32_e32 v14, vcc, s19, v14
	v_addc_co_u32_e32 v15, vcc, v10, v15, vcc
	global_load_dword v16, v[12:13], off
	global_load_dword v17, v[22:23], off
	;; [unrolled: 1-line block ×4, first 2 shown]
	v_add_u32_e32 v8, -8, v8
	s_add_i32 s21, s21, 16
	v_cmp_eq_u32_e32 vcc, 0, v8
	v_add_u32_e32 v3, 0x1000, v3
	v_mov_b32_e32 v4, s21
	s_or_b64 s[12:13], vcc, s[12:13]
	v_add_u32_e32 v2, 0x1000, v2
	s_waitcnt vmcnt(14)
	ds_write2st64_b32 v9, v1, v11 offset1:4
	s_waitcnt vmcnt(12)
	ds_write2st64_b32 v9, v32, v33 offset0:8 offset1:12
	s_waitcnt vmcnt(10)
	ds_write2st64_b32 v9, v30, v31 offset0:16 offset1:20
	;; [unrolled: 2-line block ×7, first 2 shown]
	v_add_u32_e32 v9, 0x4000, v9
	s_andn2_b64 exec, exec, s[12:13]
	s_cbranch_execnz .LBB33_4
; %bb.5:
	s_or_b64 exec, exec, s[12:13]
.LBB33_6:
	s_or_b64 exec, exec, s[10:11]
	v_and_b32_e32 v1, 7, v7
	v_cmp_ne_u32_e32 vcc, 0, v1
	s_and_saveexec_b64 s[10:11], vcc
	s_cbranch_execz .LBB33_9
; %bb.7:
	v_lshlrev_b32_e32 v5, 2, v0
	v_lshl_or_b32 v4, v4, 10, v5
	v_add_u32_e32 v7, 0, v4
	s_mov_b64 s[12:13], 0
	v_mov_b32_e32 v8, s20
	v_mov_b32_e32 v5, 0
.LBB33_8:                               ; =>This Inner Loop Header: Depth=1
	v_mov_b32_e32 v4, v2
	v_lshlrev_b64 v[10:11], 2, v[4:5]
	v_mov_b32_e32 v4, v3
	v_add_co_u32_e32 v10, vcc, s19, v10
	v_addc_co_u32_e32 v11, vcc, v8, v11, vcc
	v_lshlrev_b64 v[12:13], 2, v[4:5]
	v_add_co_u32_e32 v12, vcc, s19, v12
	v_addc_co_u32_e32 v13, vcc, v8, v13, vcc
	global_load_dword v4, v[10:11], off
	global_load_dword v9, v[12:13], off
	v_add_u32_e32 v1, -1, v1
	v_cmp_eq_u32_e32 vcc, 0, v1
	v_add_u32_e32 v2, 0x200, v2
	v_add_u32_e32 v3, 0x200, v3
	s_or_b64 s[12:13], vcc, s[12:13]
	s_waitcnt vmcnt(0)
	ds_write2st64_b32 v7, v4, v9 offset1:4
	v_add_u32_e32 v7, 0x800, v7
	s_andn2_b64 exec, exec, s[12:13]
	s_cbranch_execnz .LBB33_8
.LBB33_9:
	s_or_b64 exec, exec, s[10:11]
	v_add_u32_e32 v1, 1, v6
	v_and_b32_e32 v3, 0x1fffffe, v1
	v_cmp_ne_u32_e32 vcc, v1, v3
	v_lshl_or_b32 v2, v3, 8, v0
	s_orn2_b64 s[10:11], vcc, exec
.LBB33_10:
	s_or_b64 exec, exec, s[8:9]
	s_and_b64 exec, exec, s[10:11]
	s_cbranch_execz .LBB33_13
; %bb.11:
	s_lshl_b64 s[8:9], s[4:5], 3
	v_mov_b32_e32 v3, 0
	s_add_u32 s2, s2, s8
	v_lshlrev_b64 v[4:5], 2, v[2:3]
	s_addc_u32 s3, s3, s9
	v_mov_b32_e32 v1, s3
	v_add_co_u32_e32 v4, vcc, s2, v4
	v_addc_co_u32_e32 v5, vcc, v1, v5, vcc
	v_lshl_add_u32 v1, v2, 2, 0
	s_mov_b64 s[2:3], 0
.LBB33_12:                              ; =>This Inner Loop Header: Depth=1
	global_load_dword v3, v[4:5], off
	v_add_co_u32_e32 v4, vcc, 0x400, v4
	v_add_u32_e32 v2, 0x100, v2
	v_addc_co_u32_e32 v5, vcc, 0, v5, vcc
	v_cmp_le_i32_e32 vcc, s18, v2
	s_or_b64 s[2:3], vcc, s[2:3]
	s_waitcnt vmcnt(0)
	ds_write_b32 v1, v3
	v_add_u32_e32 v1, 0x400, v1
	s_andn2_b64 exec, exec, s[2:3]
	s_cbranch_execnz .LBB33_12
.LBB33_13:
	s_or_b64 exec, exec, s[6:7]
	v_mov_b32_e32 v1, 0
	s_waitcnt lgkmcnt(0)
	s_barrier
	ds_read_b32 v1, v1
	s_cmp_lt_i32 s17, 2
	s_cbranch_scc1 .LBB33_21
; %bb.14:
	s_add_i32 s2, s17, -1
	s_add_i32 s3, s17, -2
	s_cmp_lt_u32 s3, 7
	s_cbranch_scc1 .LBB33_18
; %bb.15:
	s_mov_b32 s6, 0
	s_add_i32 s3, 0, 8
	s_and_b32 s5, s2, -8
.LBB33_16:                              ; =>This Inner Loop Header: Depth=1
	v_mov_b32_e32 v8, s3
	ds_read2_b32 v[2:3], v8 offset1:2
	ds_read2_b32 v[4:5], v8 offset0:4 offset1:6
	ds_read2_b32 v[6:7], v8 offset0:8 offset1:10
	;; [unrolled: 1-line block ×3, first 2 shown]
	s_mov_b32 s7, s6
	s_waitcnt lgkmcnt(3)
	v_max3_f32 v1, v1, v2, v3
	s_waitcnt lgkmcnt(2)
	v_max3_f32 v1, v1, v4, v5
	s_add_i32 s3, s3, 64
	s_add_i32 s6, s6, 8
	s_waitcnt lgkmcnt(1)
	v_max3_f32 v1, v1, v6, v7
	s_cmp_eq_u32 s5, s6
	s_waitcnt lgkmcnt(0)
	v_max3_f32 v1, v1, v8, v9
	s_cbranch_scc0 .LBB33_16
; %bb.17:
	s_add_i32 s3, s7, 9
	s_and_b32 s2, s2, 7
	s_cmp_eq_u32 s2, 0
	s_cbranch_scc0 .LBB33_19
	s_branch .LBB33_21
.LBB33_18:
	s_mov_b32 s3, 1
	s_and_b32 s2, s2, 7
	s_cmp_eq_u32 s2, 0
	s_cbranch_scc1 .LBB33_21
.LBB33_19:
	s_lshl_b32 s3, s3, 3
	s_add_i32 s3, s3, 0
.LBB33_20:                              ; =>This Inner Loop Header: Depth=1
	v_mov_b32_e32 v2, s3
	ds_read_b32 v2, v2
	s_waitcnt lgkmcnt(1)
	v_max_f32_e32 v1, v1, v1
	s_add_i32 s3, s3, 8
	s_add_i32 s2, s2, -1
	s_cmp_lg_u32 s2, 0
	s_waitcnt lgkmcnt(0)
	v_max_f32_e32 v2, v2, v2
	v_max_f32_e32 v1, v1, v2
	s_cbranch_scc1 .LBB33_20
.LBB33_21:
	s_cmp_lt_i32 s17, 1
	s_cbranch_scc1 .LBB33_26
; %bb.22:
	s_lshl_b32 s2, s4, 8
	s_ashr_i32 s3, s2, 31
	s_lshl_b64 s[2:3], s[2:3], 2
	s_add_u32 s18, s0, s2
	s_addc_u32 s19, s1, s3
	s_cmp_lt_u32 s17, 8
	v_mov_b32_e32 v6, 0
	s_cbranch_scc1 .LBB33_27
; %bb.23:
	s_and_b32 s20, s17, 0x7ffffff8
	v_or_b32_e32 v2, 0x700, v0
	s_mov_b32 s21, 0
	v_mov_b32_e32 v5, 0
	s_mov_b32 s22, 0x3fb8aa3b
	s_mov_b32 s23, 0xc2ce8ed0
	;; [unrolled: 1-line block ×3, first 2 shown]
	v_mov_b32_e32 v8, 0x7f800000
	v_mov_b32_e32 v9, s19
	s_mov_b32 s25, 0
	v_mov_b32_e32 v7, 0
	v_mov_b32_e32 v6, 0
.LBB33_24:                              ; =>This Inner Loop Header: Depth=1
	v_add_u32_e32 v4, 0xfffff900, v2
	v_lshlrev_b64 v[26:27], 2, v[4:5]
	v_mov_b32_e32 v3, v5
	v_add_co_u32_e32 v26, vcc, s18, v26
	v_lshlrev_b64 v[28:29], 2, v[2:3]
	v_addc_co_u32_e32 v27, vcc, v9, v27, vcc
	v_add_u32_e32 v4, 0xfffffa00, v2
	v_add_co_u32_e32 v28, vcc, s18, v28
	v_mov_b32_e32 v22, s21
	v_lshlrev_b64 v[30:31], 2, v[4:5]
	v_addc_co_u32_e32 v29, vcc, v9, v29, vcc
	ds_read2_b64 v[10:13], v22 offset1:1
	ds_read2_b64 v[14:17], v22 offset0:2 offset1:3
	ds_read2_b64 v[18:21], v22 offset0:4 offset1:5
	ds_read2_b64 v[22:25], v22 offset0:6 offset1:7
	v_add_u32_e32 v4, 0xfffffb00, v2
	global_load_dword v3, v[26:27], off
	v_add_co_u32_e32 v26, vcc, s18, v30
	v_addc_co_u32_e32 v27, vcc, v9, v31, vcc
	v_lshlrev_b64 v[30:31], 2, v[4:5]
	v_add_u32_e32 v4, 0xfffffc00, v2
	v_add_co_u32_e32 v30, vcc, s18, v30
	v_addc_co_u32_e32 v31, vcc, v9, v31, vcc
	v_lshlrev_b64 v[32:33], 2, v[4:5]
	v_add_u32_e32 v4, 0xfffffd00, v2
	global_load_dword v34, v[26:27], off
	global_load_dword v35, v[30:31], off
	v_add_co_u32_e32 v26, vcc, s18, v32
	v_addc_co_u32_e32 v27, vcc, v9, v33, vcc
	v_lshlrev_b64 v[30:31], 2, v[4:5]
	v_add_u32_e32 v4, 0xfffffe00, v2
	v_add_co_u32_e32 v30, vcc, s18, v30
	v_addc_co_u32_e32 v31, vcc, v9, v31, vcc
	v_lshlrev_b64 v[32:33], 2, v[4:5]
	global_load_dword v36, v[26:27], off
	v_add_u32_e32 v4, 0xffffff00, v2
	global_load_dword v28, v[28:29], off
	v_add_co_u32_e32 v26, vcc, s18, v32
	v_addc_co_u32_e32 v27, vcc, v9, v33, vcc
	global_load_dword v42, v[30:31], off
	s_waitcnt lgkmcnt(3)
	v_sub_f32_e32 v12, v12, v1
	global_load_dword v26, v[26:27], off
	v_lshlrev_b64 v[30:31], 2, v[4:5]
	v_add_co_u32_e32 v30, vcc, s18, v30
	v_addc_co_u32_e32 v31, vcc, v9, v31, vcc
	global_load_dword v30, v[30:31], off
	s_waitcnt lgkmcnt(2)
	v_sub_f32_e32 v14, v14, v1
	v_sub_f32_e32 v10, v10, v1
	v_mul_f32_e32 v38, 0x3fb8aa3b, v12
	v_mul_f32_e32 v39, 0x3fb8aa3b, v14
	s_waitcnt lgkmcnt(1)
	v_sub_f32_e32 v18, v18, v1
	s_waitcnt lgkmcnt(0)
	v_sub_f32_e32 v22, v22, v1
	v_mul_f32_e32 v37, 0x3fb8aa3b, v10
	v_fma_f32 v45, v12, s22, -v38
	v_rndne_f32_e32 v46, v38
	v_fma_f32 v47, v14, s22, -v39
	v_rndne_f32_e32 v48, v39
	v_sub_f32_e32 v16, v16, v1
	v_sub_f32_e32 v20, v20, v1
	v_mul_f32_e32 v41, 0x3fb8aa3b, v18
	v_mul_f32_e32 v32, 0x3fb8aa3b, v22
	v_fma_f32 v33, v10, s22, -v37
	v_rndne_f32_e32 v44, v37
	v_fmac_f32_e32 v45, 0x32a5705f, v12
	v_sub_f32_e32 v38, v38, v46
	v_fmac_f32_e32 v47, 0x32a5705f, v14
	v_sub_f32_e32 v39, v39, v48
	v_mul_f32_e32 v40, 0x3fb8aa3b, v16
	v_mul_f32_e32 v43, 0x3fb8aa3b, v20
	v_fma_f32 v27, v18, s22, -v41
	v_rndne_f32_e32 v31, v41
	v_fmac_f32_e32 v33, 0x32a5705f, v10
	v_sub_f32_e32 v37, v37, v44
	v_add_f32_e32 v38, v38, v45
	v_fma_f32 v45, v22, s22, -v32
	v_add_f32_e32 v39, v39, v47
	v_rndne_f32_e32 v47, v32
	v_fma_f32 v49, v16, s22, -v40
	v_rndne_f32_e32 v50, v40
	v_fma_f32 v29, v20, s22, -v43
	v_add_f32_e32 v33, v37, v33
	v_rndne_f32_e32 v37, v43
	v_fmac_f32_e32 v27, 0x32a5705f, v18
	v_sub_f32_e32 v41, v41, v31
	v_fmac_f32_e32 v45, 0x32a5705f, v22
	v_sub_f32_e32 v32, v32, v47
	;; [unrolled: 2-line block ×3, first 2 shown]
	v_add_f32_e32 v27, v41, v27
	v_cvt_i32_f32_e32 v44, v44
	v_fmac_f32_e32 v29, 0x32a5705f, v20
	v_sub_f32_e32 v43, v43, v37
	v_add_f32_e32 v32, v32, v45
	v_exp_f32_e32 v33, v33
	v_add_f32_e32 v40, v40, v49
	v_cvt_i32_f32_e32 v46, v46
	v_cvt_i32_f32_e32 v31, v31
	;; [unrolled: 1-line block ×3, first 2 shown]
	v_add_f32_e32 v29, v43, v29
	v_exp_f32_e32 v38, v38
	v_exp_f32_e32 v27, v27
	;; [unrolled: 1-line block ×3, first 2 shown]
	v_sub_f32_e32 v24, v24, v1
	v_cvt_i32_f32_e32 v48, v48
	v_cvt_i32_f32_e32 v50, v50
	;; [unrolled: 1-line block ×3, first 2 shown]
	v_exp_f32_e32 v39, v39
	v_exp_f32_e32 v40, v40
	;; [unrolled: 1-line block ×3, first 2 shown]
	v_mul_f32_e32 v4, 0x3fb8aa3b, v24
	v_fma_f32 v49, v24, s22, -v4
	v_rndne_f32_e32 v41, v4
	v_ldexp_f32 v33, v33, v44
	v_cmp_ngt_f32_e64 s[12:13], s23, v10
	v_fmac_f32_e32 v49, 0x32a5705f, v24
	v_sub_f32_e32 v4, v4, v41
	v_ldexp_f32 v38, v38, v46
	v_cmp_ngt_f32_e32 vcc, s23, v12
	v_ldexp_f32 v27, v27, v31
	v_ldexp_f32 v31, v32, v47
	v_cndmask_b32_e64 v32, 0, v33, s[12:13]
	v_cmp_nlt_f32_e64 s[12:13], s24, v10
	v_add_f32_e32 v4, v4, v49
	v_ldexp_f32 v39, v39, v48
	v_cmp_ngt_f32_e64 s[0:1], s23, v14
	v_ldexp_f32 v40, v40, v50
	v_cmp_ngt_f32_e64 s[2:3], s23, v16
	v_cmp_ngt_f32_e64 s[4:5], s23, v18
	v_ldexp_f32 v29, v29, v37
	v_cmp_ngt_f32_e64 s[6:7], s23, v20
	v_cmp_ngt_f32_e64 s[8:9], s23, v22
	v_cndmask_b32_e32 v33, 0, v38, vcc
	v_cmp_nlt_f32_e32 vcc, s24, v12
	v_cndmask_b32_e64 v10, v8, v32, s[12:13]
	v_cvt_i32_f32_e32 v41, v41
	v_exp_f32_e32 v4, v4
	v_cndmask_b32_e64 v12, 0, v39, s[0:1]
	v_cmp_nlt_f32_e64 s[0:1], s24, v14
	v_cndmask_b32_e64 v14, 0, v40, s[2:3]
	v_cmp_nlt_f32_e64 s[2:3], s24, v16
	;; [unrolled: 2-line block ×5, first 2 shown]
	v_cndmask_b32_e32 v22, v8, v33, vcc
	v_fmac_f32_e32 v7, v10, v11
	s_waitcnt vmcnt(7)
	v_fmac_f32_e32 v6, v3, v10
	v_cndmask_b32_e64 v12, v8, v12, s[0:1]
	v_fmac_f32_e32 v7, v22, v13
	s_waitcnt vmcnt(6)
	v_fmac_f32_e32 v6, v34, v22
	v_cndmask_b32_e64 v14, v8, v14, s[2:3]
	;; [unrolled: 4-line block ×3, first 2 shown]
	v_fmac_f32_e32 v7, v14, v17
	s_waitcnt vmcnt(4)
	v_fmac_f32_e32 v6, v36, v14
	v_ldexp_f32 v4, v4, v41
	v_cmp_ngt_f32_e64 s[10:11], s23, v24
	v_cndmask_b32_e64 v18, v8, v18, s[6:7]
	v_fmac_f32_e32 v7, v16, v19
	s_waitcnt vmcnt(2)
	v_fmac_f32_e32 v6, v42, v16
	v_cndmask_b32_e64 v4, 0, v4, s[10:11]
	v_cmp_nlt_f32_e64 s[10:11], s24, v24
	v_cndmask_b32_e64 v20, v8, v20, s[8:9]
	v_fmac_f32_e32 v7, v18, v21
	s_waitcnt vmcnt(1)
	v_fmac_f32_e32 v6, v26, v18
	s_add_i32 s25, s25, 8
	s_add_i32 s21, s21, 64
	v_cndmask_b32_e64 v4, v8, v4, s[10:11]
	v_fmac_f32_e32 v7, v20, v23
	s_waitcnt vmcnt(0)
	v_fmac_f32_e32 v6, v30, v20
	s_cmp_eq_u32 s20, s25
	v_add_u32_e32 v2, 0x800, v2
	v_fmac_f32_e32 v7, v4, v25
	v_fmac_f32_e32 v6, v28, v4
	s_cbranch_scc0 .LBB33_24
; %bb.25:
	s_and_b32 s0, s17, 7
	s_cmp_eq_u32 s0, 0
	s_cbranch_scc0 .LBB33_28
	s_branch .LBB33_30
.LBB33_26:
	s_waitcnt lgkmcnt(0)
	v_mov_b32_e32 v1, 0x7fc00000
	s_branch .LBB33_31
.LBB33_27:
	s_mov_b32 s20, 0
	v_mov_b32_e32 v7, 0
	s_and_b32 s0, s17, 7
	s_cmp_eq_u32 s0, 0
	s_cbranch_scc1 .LBB33_30
.LBB33_28:
	s_lshl_b32 s1, s20, 3
	v_lshl_or_b32 v2, s20, 8, v0
	s_add_i32 s1, s1, 0
	s_mov_b32 s2, 0x3fb8aa3b
	s_mov_b32 s3, 0xc2ce8ed0
	;; [unrolled: 1-line block ×3, first 2 shown]
	v_mov_b32_e32 v4, 0x7f800000
	v_mov_b32_e32 v3, 0
	;; [unrolled: 1-line block ×3, first 2 shown]
.LBB33_29:                              ; =>This Inner Loop Header: Depth=1
	v_lshlrev_b64 v[8:9], 2, v[2:3]
	v_add_co_u32_e32 v8, vcc, s18, v8
	v_addc_co_u32_e32 v9, vcc, v5, v9, vcc
	global_load_dword v10, v[8:9], off
	v_mov_b32_e32 v8, s1
	ds_read_b64 v[8:9], v8
	s_add_i32 s1, s1, 8
	s_add_i32 s0, s0, -1
	v_add_u32_e32 v2, 0x100, v2
	s_cmp_lg_u32 s0, 0
	s_waitcnt lgkmcnt(0)
	v_sub_f32_e32 v8, v8, v1
	v_mul_f32_e32 v11, 0x3fb8aa3b, v8
	v_fma_f32 v12, v8, s2, -v11
	v_rndne_f32_e32 v13, v11
	v_fmac_f32_e32 v12, 0x32a5705f, v8
	v_sub_f32_e32 v11, v11, v13
	v_add_f32_e32 v11, v11, v12
	v_cvt_i32_f32_e32 v13, v13
	v_exp_f32_e32 v11, v11
	v_cmp_ngt_f32_e32 vcc, s3, v8
	v_ldexp_f32 v11, v11, v13
	v_cndmask_b32_e32 v11, 0, v11, vcc
	v_cmp_nlt_f32_e32 vcc, s4, v8
	v_cndmask_b32_e32 v8, v4, v11, vcc
	v_fmac_f32_e32 v7, v8, v9
	s_waitcnt vmcnt(0)
	v_fmac_f32_e32 v6, v10, v8
	s_cbranch_scc1 .LBB33_29
.LBB33_30:
	s_waitcnt lgkmcnt(0)
	v_div_scale_f32 v1, s[0:1], v7, v7, v6
	v_rcp_f32_e32 v2, v1
	v_div_scale_f32 v3, vcc, v6, v7, v6
	v_fma_f32 v4, -v1, v2, 1.0
	v_fmac_f32_e32 v2, v4, v2
	v_mul_f32_e32 v4, v3, v2
	v_fma_f32 v5, -v1, v4, v3
	v_fmac_f32_e32 v4, v5, v2
	v_fma_f32 v1, -v1, v4, v3
	v_div_fmas_f32 v1, v1, v2, v4
	v_div_fixup_f32 v1, v1, v7, v6
.LBB33_31:
	s_lshl_b32 s0, s16, 8
	s_ashr_i32 s1, s0, 31
	s_lshl_b64 s[0:1], s[0:1], 2
	s_add_u32 s0, s14, s0
	s_addc_u32 s1, s15, s1
	v_lshlrev_b32_e32 v0, 2, v0
	global_store_dword v0, v1, s[0:1]
	s_endpgm
	.section	.rodata,"a",@progbits
	.p2align	6, 0x0
	.amdhsa_kernel _ZL26flash_attn_combine_resultsILi256EEvPKfPK15HIP_vector_typeIfLj2EEPfi
		.amdhsa_group_segment_fixed_size 0
		.amdhsa_private_segment_fixed_size 0
		.amdhsa_kernarg_size 288
		.amdhsa_user_sgpr_count 6
		.amdhsa_user_sgpr_private_segment_buffer 1
		.amdhsa_user_sgpr_dispatch_ptr 0
		.amdhsa_user_sgpr_queue_ptr 0
		.amdhsa_user_sgpr_kernarg_segment_ptr 1
		.amdhsa_user_sgpr_dispatch_id 0
		.amdhsa_user_sgpr_flat_scratch_init 0
		.amdhsa_user_sgpr_kernarg_preload_length 0
		.amdhsa_user_sgpr_kernarg_preload_offset 0
		.amdhsa_user_sgpr_private_segment_size 0
		.amdhsa_uses_dynamic_stack 0
		.amdhsa_system_sgpr_private_segment_wavefront_offset 0
		.amdhsa_system_sgpr_workgroup_id_x 1
		.amdhsa_system_sgpr_workgroup_id_y 1
		.amdhsa_system_sgpr_workgroup_id_z 1
		.amdhsa_system_sgpr_workgroup_info 0
		.amdhsa_system_vgpr_workitem_id 0
		.amdhsa_next_free_vgpr 51
		.amdhsa_next_free_sgpr 26
		.amdhsa_accum_offset 52
		.amdhsa_reserve_vcc 1
		.amdhsa_reserve_flat_scratch 0
		.amdhsa_float_round_mode_32 0
		.amdhsa_float_round_mode_16_64 0
		.amdhsa_float_denorm_mode_32 3
		.amdhsa_float_denorm_mode_16_64 3
		.amdhsa_dx10_clamp 1
		.amdhsa_ieee_mode 1
		.amdhsa_fp16_overflow 0
		.amdhsa_tg_split 0
		.amdhsa_exception_fp_ieee_invalid_op 0
		.amdhsa_exception_fp_denorm_src 0
		.amdhsa_exception_fp_ieee_div_zero 0
		.amdhsa_exception_fp_ieee_overflow 0
		.amdhsa_exception_fp_ieee_underflow 0
		.amdhsa_exception_fp_ieee_inexact 0
		.amdhsa_exception_int_div_zero 0
	.end_amdhsa_kernel
	.section	.text._ZL26flash_attn_combine_resultsILi256EEvPKfPK15HIP_vector_typeIfLj2EEPfi,"axG",@progbits,_ZL26flash_attn_combine_resultsILi256EEvPKfPK15HIP_vector_typeIfLj2EEPfi,comdat
.Lfunc_end33:
	.size	_ZL26flash_attn_combine_resultsILi256EEvPKfPK15HIP_vector_typeIfLj2EEPfi, .Lfunc_end33-_ZL26flash_attn_combine_resultsILi256EEvPKfPK15HIP_vector_typeIfLj2EEPfi
                                        ; -- End function
	.section	.AMDGPU.csdata,"",@progbits
; Kernel info:
; codeLenInByte = 3048
; NumSgprs: 30
; NumVgprs: 51
; NumAgprs: 0
; TotalNumVgprs: 51
; ScratchSize: 0
; MemoryBound: 0
; FloatMode: 240
; IeeeMode: 1
; LDSByteSize: 0 bytes/workgroup (compile time only)
; SGPRBlocks: 3
; VGPRBlocks: 6
; NumSGPRsForWavesPerEU: 30
; NumVGPRsForWavesPerEU: 51
; AccumOffset: 52
; Occupancy: 8
; WaveLimiterHint : 0
; COMPUTE_PGM_RSRC2:SCRATCH_EN: 0
; COMPUTE_PGM_RSRC2:USER_SGPR: 6
; COMPUTE_PGM_RSRC2:TRAP_HANDLER: 0
; COMPUTE_PGM_RSRC2:TGID_X_EN: 1
; COMPUTE_PGM_RSRC2:TGID_Y_EN: 1
; COMPUTE_PGM_RSRC2:TGID_Z_EN: 1
; COMPUTE_PGM_RSRC2:TIDIG_COMP_CNT: 0
; COMPUTE_PGM_RSRC3_GFX90A:ACCUM_OFFSET: 12
; COMPUTE_PGM_RSRC3_GFX90A:TG_SPLIT: 0
	.text
	.p2alignl 6, 3212836864
	.fill 256, 4, 3212836864
	.type	.str.1,@object                  ; @.str.1
	.section	.rodata.str1.1,"aMS",@progbits,1
.str.1:
	.asciz	"/root/src/amdgpu-assembly/repos/ggml-org__llama.cpp/ggml/src/ggml-cuda/template-instances/../fattn-mma-f16.cuh"
	.size	.str.1, 111

	.type	__FUNCTION__._ZL18flash_attn_ext_f16ILi64ELi64ELi32ELi1ELb1ELb0EEvPKcS1_S1_S1_S1_PKiPfP15HIP_vector_typeIfLj2EEffffjfiS5_IjLj3EEiiiiiiiiiiiliiliiiiil,@object ; @__FUNCTION__._ZL18flash_attn_ext_f16ILi64ELi64ELi32ELi1ELb1ELb0EEvPKcS1_S1_S1_S1_PKiPfP15HIP_vector_typeIfLj2EEffffjfiS5_IjLj3EEiiiiiiiiiiiliiliiiiil
__FUNCTION__._ZL18flash_attn_ext_f16ILi64ELi64ELi32ELi1ELb1ELb0EEvPKcS1_S1_S1_S1_PKiPfP15HIP_vector_typeIfLj2EEffffjfiS5_IjLj3EEiiiiiiiiiiiliiliiiiil:
	.asciz	"flash_attn_ext_f16"
	.size	__FUNCTION__._ZL18flash_attn_ext_f16ILi64ELi64ELi32ELi1ELb1ELb0EEvPKcS1_S1_S1_S1_PKiPfP15HIP_vector_typeIfLj2EEffffjfiS5_IjLj3EEiiiiiiiiiiiliiliiiiil, 19

	.type	.str.3,@object                  ; @.str.3
.str.3:
	.asciz	"%s:%d: ERROR: HIP kernel %s has no device code compatible with HIP arch %d.\n"
	.size	.str.3, 77

	.type	__hip_cuid_7f141dbc5aea9e68,@object ; @__hip_cuid_7f141dbc5aea9e68
	.section	.bss,"aw",@nobits
	.globl	__hip_cuid_7f141dbc5aea9e68
__hip_cuid_7f141dbc5aea9e68:
	.byte	0                               ; 0x0
	.size	__hip_cuid_7f141dbc5aea9e68, 1

	.ident	"AMD clang version 19.0.0git (https://github.com/RadeonOpenCompute/llvm-project roc-6.4.0 25133 c7fe45cf4b819c5991fe208aaa96edf142730f1d)"
	.section	".note.GNU-stack","",@progbits
	.addrsig
	.addrsig_sym __hip_cuid_7f141dbc5aea9e68
	.amdgpu_metadata
---
amdhsa.kernels:
  - .agpr_count:     0
    .args:
      - .address_space:  global
        .offset:         0
        .size:           8
        .value_kind:     global_buffer
      - .address_space:  global
        .offset:         8
        .size:           8
        .value_kind:     global_buffer
      - .address_space:  global
        .offset:         16
        .size:           8
        .value_kind:     global_buffer
      - .address_space:  global
        .offset:         24
        .size:           8
        .value_kind:     global_buffer
      - .address_space:  global
        .offset:         32
        .size:           8
        .value_kind:     global_buffer
      - .address_space:  global
        .offset:         40
        .size:           8
        .value_kind:     global_buffer
      - .address_space:  global
        .offset:         48
        .size:           8
        .value_kind:     global_buffer
      - .address_space:  global
        .offset:         56
        .size:           8
        .value_kind:     global_buffer
      - .offset:         64
        .size:           4
        .value_kind:     by_value
      - .offset:         68
        .size:           4
        .value_kind:     by_value
      - .offset:         72
        .size:           4
        .value_kind:     by_value
      - .offset:         76
        .size:           4
        .value_kind:     by_value
      - .offset:         80
        .size:           4
        .value_kind:     by_value
      - .offset:         84
        .size:           4
        .value_kind:     by_value
      - .offset:         88
        .size:           4
        .value_kind:     by_value
      - .offset:         92
        .size:           12
        .value_kind:     by_value
      - .offset:         104
        .size:           4
        .value_kind:     by_value
      - .offset:         108
        .size:           4
        .value_kind:     by_value
      - .offset:         112
        .size:           4
        .value_kind:     by_value
      - .offset:         116
        .size:           4
        .value_kind:     by_value
      - .offset:         120
        .size:           4
        .value_kind:     by_value
      - .offset:         124
        .size:           4
        .value_kind:     by_value
      - .offset:         128
        .size:           4
        .value_kind:     by_value
      - .offset:         132
        .size:           4
        .value_kind:     by_value
      - .offset:         136
        .size:           4
        .value_kind:     by_value
      - .offset:         140
        .size:           4
        .value_kind:     by_value
      - .offset:         144
        .size:           4
        .value_kind:     by_value
      - .offset:         152
        .size:           8
        .value_kind:     by_value
      - .offset:         160
        .size:           4
        .value_kind:     by_value
      - .offset:         164
        .size:           4
        .value_kind:     by_value
      - .offset:         168
        .size:           8
        .value_kind:     by_value
      - .offset:         176
        .size:           4
        .value_kind:     by_value
      - .offset:         180
        .size:           4
        .value_kind:     by_value
      - .offset:         184
        .size:           4
        .value_kind:     by_value
      - .offset:         188
        .size:           4
        .value_kind:     by_value
      - .offset:         192
        .size:           4
        .value_kind:     by_value
      - .offset:         200
        .size:           8
        .value_kind:     by_value
      - .offset:         208
        .size:           4
        .value_kind:     hidden_block_count_x
      - .offset:         212
        .size:           4
        .value_kind:     hidden_block_count_y
      - .offset:         216
        .size:           4
        .value_kind:     hidden_block_count_z
      - .offset:         220
        .size:           2
        .value_kind:     hidden_group_size_x
      - .offset:         222
        .size:           2
        .value_kind:     hidden_group_size_y
      - .offset:         224
        .size:           2
        .value_kind:     hidden_group_size_z
      - .offset:         226
        .size:           2
        .value_kind:     hidden_remainder_x
      - .offset:         228
        .size:           2
        .value_kind:     hidden_remainder_y
      - .offset:         230
        .size:           2
        .value_kind:     hidden_remainder_z
      - .offset:         248
        .size:           8
        .value_kind:     hidden_global_offset_x
      - .offset:         256
        .size:           8
        .value_kind:     hidden_global_offset_y
      - .offset:         264
        .size:           8
        .value_kind:     hidden_global_offset_z
      - .offset:         272
        .size:           2
        .value_kind:     hidden_grid_dims
      - .offset:         328
        .size:           4
        .value_kind:     hidden_dynamic_lds_size
    .group_segment_fixed_size: 0
    .kernarg_segment_align: 8
    .kernarg_segment_size: 464
    .language:       OpenCL C
    .language_version:
      - 2
      - 0
    .max_flat_workgroup_size: 256
    .name:           _ZL18flash_attn_ext_f16ILi64ELi64ELi32ELi1ELb0ELb0EEvPKcS1_S1_S1_S1_PKiPfP15HIP_vector_typeIfLj2EEffffjfiS5_IjLj3EEiiiiiiiiiiiliiliiiiil
    .private_segment_fixed_size: 32
    .sgpr_count:     106
    .sgpr_spill_count: 75
    .symbol:         _ZL18flash_attn_ext_f16ILi64ELi64ELi32ELi1ELb0ELb0EEvPKcS1_S1_S1_S1_PKiPfP15HIP_vector_typeIfLj2EEffffjfiS5_IjLj3EEiiiiiiiiiiiliiliiiiil.kd
    .uniform_work_group_size: 1
    .uses_dynamic_stack: false
    .vgpr_count:     188
    .vgpr_spill_count: 0
    .wavefront_size: 64
  - .agpr_count:     0
    .args:
      - .address_space:  global
        .offset:         0
        .size:           8
        .value_kind:     global_buffer
      - .address_space:  global
        .offset:         8
        .size:           8
        .value_kind:     global_buffer
      - .address_space:  global
        .offset:         16
        .size:           8
        .value_kind:     global_buffer
      - .address_space:  global
        .offset:         24
        .size:           8
        .value_kind:     global_buffer
      - .address_space:  global
        .offset:         32
        .size:           8
        .value_kind:     global_buffer
      - .address_space:  global
        .offset:         40
        .size:           8
        .value_kind:     global_buffer
      - .address_space:  global
        .offset:         48
        .size:           8
        .value_kind:     global_buffer
      - .address_space:  global
        .offset:         56
        .size:           8
        .value_kind:     global_buffer
      - .offset:         64
        .size:           4
        .value_kind:     by_value
      - .offset:         68
        .size:           4
        .value_kind:     by_value
      - .offset:         72
        .size:           4
        .value_kind:     by_value
      - .offset:         76
        .size:           4
        .value_kind:     by_value
      - .offset:         80
        .size:           4
        .value_kind:     by_value
      - .offset:         84
        .size:           4
        .value_kind:     by_value
      - .offset:         88
        .size:           4
        .value_kind:     by_value
      - .offset:         92
        .size:           12
        .value_kind:     by_value
      - .offset:         104
        .size:           4
        .value_kind:     by_value
      - .offset:         108
        .size:           4
        .value_kind:     by_value
      - .offset:         112
        .size:           4
        .value_kind:     by_value
      - .offset:         116
        .size:           4
        .value_kind:     by_value
      - .offset:         120
        .size:           4
        .value_kind:     by_value
      - .offset:         124
        .size:           4
        .value_kind:     by_value
      - .offset:         128
        .size:           4
        .value_kind:     by_value
      - .offset:         132
        .size:           4
        .value_kind:     by_value
      - .offset:         136
        .size:           4
        .value_kind:     by_value
      - .offset:         140
        .size:           4
        .value_kind:     by_value
      - .offset:         144
        .size:           4
        .value_kind:     by_value
      - .offset:         152
        .size:           8
        .value_kind:     by_value
      - .offset:         160
        .size:           4
        .value_kind:     by_value
      - .offset:         164
        .size:           4
        .value_kind:     by_value
      - .offset:         168
        .size:           8
        .value_kind:     by_value
      - .offset:         176
        .size:           4
        .value_kind:     by_value
      - .offset:         180
        .size:           4
        .value_kind:     by_value
      - .offset:         184
        .size:           4
        .value_kind:     by_value
      - .offset:         188
        .size:           4
        .value_kind:     by_value
      - .offset:         192
        .size:           4
        .value_kind:     by_value
      - .offset:         200
        .size:           8
        .value_kind:     by_value
      - .offset:         208
        .size:           4
        .value_kind:     hidden_block_count_x
      - .offset:         212
        .size:           4
        .value_kind:     hidden_block_count_y
      - .offset:         216
        .size:           4
        .value_kind:     hidden_block_count_z
      - .offset:         220
        .size:           2
        .value_kind:     hidden_group_size_x
      - .offset:         222
        .size:           2
        .value_kind:     hidden_group_size_y
      - .offset:         224
        .size:           2
        .value_kind:     hidden_group_size_z
      - .offset:         226
        .size:           2
        .value_kind:     hidden_remainder_x
      - .offset:         228
        .size:           2
        .value_kind:     hidden_remainder_y
      - .offset:         230
        .size:           2
        .value_kind:     hidden_remainder_z
      - .offset:         248
        .size:           8
        .value_kind:     hidden_global_offset_x
      - .offset:         256
        .size:           8
        .value_kind:     hidden_global_offset_y
      - .offset:         264
        .size:           8
        .value_kind:     hidden_global_offset_z
      - .offset:         272
        .size:           2
        .value_kind:     hidden_grid_dims
      - .offset:         288
        .size:           8
        .value_kind:     hidden_hostcall_buffer
    .group_segment_fixed_size: 0
    .kernarg_segment_align: 8
    .kernarg_segment_size: 464
    .language:       OpenCL C
    .language_version:
      - 2
      - 0
    .max_flat_workgroup_size: 256
    .name:           _ZL18flash_attn_ext_f16ILi64ELi64ELi32ELi1ELb1ELb0EEvPKcS1_S1_S1_S1_PKiPfP15HIP_vector_typeIfLj2EEffffjfiS5_IjLj3EEiiiiiiiiiiiliiliiiiil
    .private_segment_fixed_size: 16
    .sgpr_count:     40
    .sgpr_spill_count: 0
    .symbol:         _ZL18flash_attn_ext_f16ILi64ELi64ELi32ELi1ELb1ELb0EEvPKcS1_S1_S1_S1_PKiPfP15HIP_vector_typeIfLj2EEffffjfiS5_IjLj3EEiiiiiiiiiiiliiliiiiil.kd
    .uniform_work_group_size: 1
    .uses_dynamic_stack: false
    .vgpr_count:     39
    .vgpr_spill_count: 0
    .wavefront_size: 64
  - .agpr_count:     0
    .args:
      - .actual_access:  read_only
        .address_space:  global
        .offset:         0
        .size:           8
        .value_kind:     global_buffer
      - .actual_access:  write_only
        .address_space:  global
        .offset:         8
        .size:           8
        .value_kind:     global_buffer
      - .offset:         16
        .size:           4
        .value_kind:     by_value
      - .offset:         20
        .size:           4
        .value_kind:     by_value
      - .offset:         24
        .size:           4
        .value_kind:     by_value
      - .offset:         32
        .size:           4
        .value_kind:     hidden_block_count_x
      - .offset:         36
        .size:           4
        .value_kind:     hidden_block_count_y
      - .offset:         40
        .size:           4
        .value_kind:     hidden_block_count_z
      - .offset:         44
        .size:           2
        .value_kind:     hidden_group_size_x
      - .offset:         46
        .size:           2
        .value_kind:     hidden_group_size_y
      - .offset:         48
        .size:           2
        .value_kind:     hidden_group_size_z
      - .offset:         50
        .size:           2
        .value_kind:     hidden_remainder_x
      - .offset:         52
        .size:           2
        .value_kind:     hidden_remainder_y
      - .offset:         54
        .size:           2
        .value_kind:     hidden_remainder_z
      - .offset:         72
        .size:           8
        .value_kind:     hidden_global_offset_x
      - .offset:         80
        .size:           8
        .value_kind:     hidden_global_offset_y
      - .offset:         88
        .size:           8
        .value_kind:     hidden_global_offset_z
      - .offset:         96
        .size:           2
        .value_kind:     hidden_grid_dims
    .group_segment_fixed_size: 128
    .kernarg_segment_align: 8
    .kernarg_segment_size: 288
    .language:       OpenCL C
    .language_version:
      - 2
      - 0
    .max_flat_workgroup_size: 128
    .name:           _ZL25flash_attn_mask_to_KV_maxILi32EEvPK7__half2Piiii
    .private_segment_fixed_size: 0
    .sgpr_count:     100
    .sgpr_spill_count: 48
    .symbol:         _ZL25flash_attn_mask_to_KV_maxILi32EEvPK7__half2Piiii.kd
    .uniform_work_group_size: 1
    .uses_dynamic_stack: false
    .vgpr_count:     13
    .vgpr_spill_count: 0
    .wavefront_size: 64
  - .agpr_count:     0
    .args:
      - .address_space:  global
        .offset:         0
        .size:           8
        .value_kind:     global_buffer
      - .address_space:  global
        .offset:         8
        .size:           8
        .value_kind:     global_buffer
      - .offset:         16
        .size:           4
        .value_kind:     by_value
      - .offset:         20
        .size:           4
        .value_kind:     by_value
      - .offset:         24
        .size:           4
        .value_kind:     by_value
      - .offset:         28
        .size:           4
        .value_kind:     by_value
      - .offset:         32
        .size:           4
        .value_kind:     by_value
      - .offset:         36
        .size:           4
        .value_kind:     by_value
      - .offset:         40
        .size:           12
        .value_kind:     by_value
      - .offset:         52
        .size:           12
        .value_kind:     by_value
      - .offset:         64
        .size:           12
        .value_kind:     by_value
    .group_segment_fixed_size: 0
    .kernarg_segment_align: 8
    .kernarg_segment_size: 76
    .language:       OpenCL C
    .language_version:
      - 2
      - 0
    .max_flat_workgroup_size: 64
    .name:           _ZL33flash_attn_stream_k_fixup_uniformILi64ELi32ELi1EEvPfPK15HIP_vector_typeIfLj2EEiiiiiiS1_IjLj3EES5_S5_
    .private_segment_fixed_size: 0
    .sgpr_count:     24
    .sgpr_spill_count: 0
    .symbol:         _ZL33flash_attn_stream_k_fixup_uniformILi64ELi32ELi1EEvPfPK15HIP_vector_typeIfLj2EEiiiiiiS1_IjLj3EES5_S5_.kd
    .uniform_work_group_size: 1
    .uses_dynamic_stack: false
    .vgpr_count:     17
    .vgpr_spill_count: 0
    .wavefront_size: 64
  - .agpr_count:     0
    .args:
      - .address_space:  global
        .offset:         0
        .size:           8
        .value_kind:     global_buffer
      - .address_space:  global
        .offset:         8
        .size:           8
        .value_kind:     global_buffer
      - .offset:         16
        .size:           4
        .value_kind:     by_value
      - .offset:         20
        .size:           4
        .value_kind:     by_value
      - .offset:         24
        .size:           4
        .value_kind:     by_value
      - .offset:         28
        .size:           4
        .value_kind:     by_value
      - .offset:         32
        .size:           12
        .value_kind:     by_value
      - .offset:         44
        .size:           12
        .value_kind:     by_value
      - .offset:         56
        .size:           12
        .value_kind:     by_value
      - .offset:         68
        .size:           12
        .value_kind:     by_value
      - .offset:         80
        .size:           4
        .value_kind:     hidden_block_count_x
      - .offset:         84
        .size:           4
        .value_kind:     hidden_block_count_y
      - .offset:         88
        .size:           4
        .value_kind:     hidden_block_count_z
      - .offset:         92
        .size:           2
        .value_kind:     hidden_group_size_x
      - .offset:         94
        .size:           2
        .value_kind:     hidden_group_size_y
      - .offset:         96
        .size:           2
        .value_kind:     hidden_group_size_z
      - .offset:         98
        .size:           2
        .value_kind:     hidden_remainder_x
      - .offset:         100
        .size:           2
        .value_kind:     hidden_remainder_y
      - .offset:         102
        .size:           2
        .value_kind:     hidden_remainder_z
      - .offset:         120
        .size:           8
        .value_kind:     hidden_global_offset_x
      - .offset:         128
        .size:           8
        .value_kind:     hidden_global_offset_y
      - .offset:         136
        .size:           8
        .value_kind:     hidden_global_offset_z
      - .offset:         144
        .size:           2
        .value_kind:     hidden_grid_dims
    .group_segment_fixed_size: 0
    .kernarg_segment_align: 8
    .kernarg_segment_size: 336
    .language:       OpenCL C
    .language_version:
      - 2
      - 0
    .max_flat_workgroup_size: 64
    .name:           _ZL33flash_attn_stream_k_fixup_generalILi64ELi32ELi1EEvPfPK15HIP_vector_typeIfLj2EEiiiiS1_IjLj3EES5_S5_S5_
    .private_segment_fixed_size: 0
    .sgpr_count:     36
    .sgpr_spill_count: 0
    .symbol:         _ZL33flash_attn_stream_k_fixup_generalILi64ELi32ELi1EEvPfPK15HIP_vector_typeIfLj2EEiiiiS1_IjLj3EES5_S5_S5_.kd
    .uniform_work_group_size: 1
    .uses_dynamic_stack: false
    .vgpr_count:     22
    .vgpr_spill_count: 0
    .wavefront_size: 64
  - .agpr_count:     0
    .args:
      - .address_space:  global
        .offset:         0
        .size:           8
        .value_kind:     global_buffer
      - .address_space:  global
        .offset:         8
        .size:           8
        .value_kind:     global_buffer
      - .address_space:  global
        .offset:         16
        .size:           8
        .value_kind:     global_buffer
      - .offset:         24
        .size:           4
        .value_kind:     by_value
      - .offset:         32
        .size:           4
        .value_kind:     hidden_block_count_x
      - .offset:         36
        .size:           4
        .value_kind:     hidden_block_count_y
      - .offset:         40
        .size:           4
        .value_kind:     hidden_block_count_z
      - .offset:         44
        .size:           2
        .value_kind:     hidden_group_size_x
      - .offset:         46
        .size:           2
        .value_kind:     hidden_group_size_y
      - .offset:         48
        .size:           2
        .value_kind:     hidden_group_size_z
      - .offset:         50
        .size:           2
        .value_kind:     hidden_remainder_x
      - .offset:         52
        .size:           2
        .value_kind:     hidden_remainder_y
      - .offset:         54
        .size:           2
        .value_kind:     hidden_remainder_z
      - .offset:         72
        .size:           8
        .value_kind:     hidden_global_offset_x
      - .offset:         80
        .size:           8
        .value_kind:     hidden_global_offset_y
      - .offset:         88
        .size:           8
        .value_kind:     hidden_global_offset_z
      - .offset:         96
        .size:           2
        .value_kind:     hidden_grid_dims
      - .offset:         152
        .size:           4
        .value_kind:     hidden_dynamic_lds_size
    .group_segment_fixed_size: 0
    .kernarg_segment_align: 8
    .kernarg_segment_size: 288
    .language:       OpenCL C
    .language_version:
      - 2
      - 0
    .max_flat_workgroup_size: 64
    .name:           _ZL26flash_attn_combine_resultsILi64EEvPKfPK15HIP_vector_typeIfLj2EEPfi
    .private_segment_fixed_size: 0
    .sgpr_count:     30
    .sgpr_spill_count: 0
    .symbol:         _ZL26flash_attn_combine_resultsILi64EEvPKfPK15HIP_vector_typeIfLj2EEPfi.kd
    .uniform_work_group_size: 1
    .uses_dynamic_stack: false
    .vgpr_count:     51
    .vgpr_spill_count: 0
    .wavefront_size: 64
  - .agpr_count:     0
    .args:
      - .address_space:  global
        .offset:         0
        .size:           8
        .value_kind:     global_buffer
      - .address_space:  global
        .offset:         8
        .size:           8
        .value_kind:     global_buffer
      - .address_space:  global
        .offset:         16
        .size:           8
        .value_kind:     global_buffer
      - .address_space:  global
        .offset:         24
        .size:           8
        .value_kind:     global_buffer
      - .address_space:  global
        .offset:         32
        .size:           8
        .value_kind:     global_buffer
      - .address_space:  global
        .offset:         40
        .size:           8
        .value_kind:     global_buffer
      - .address_space:  global
        .offset:         48
        .size:           8
        .value_kind:     global_buffer
      - .address_space:  global
        .offset:         56
        .size:           8
        .value_kind:     global_buffer
      - .offset:         64
        .size:           4
        .value_kind:     by_value
      - .offset:         68
        .size:           4
        .value_kind:     by_value
      - .offset:         72
        .size:           4
        .value_kind:     by_value
      - .offset:         76
        .size:           4
        .value_kind:     by_value
      - .offset:         80
        .size:           4
        .value_kind:     by_value
      - .offset:         84
        .size:           4
        .value_kind:     by_value
      - .offset:         88
        .size:           4
        .value_kind:     by_value
      - .offset:         92
        .size:           12
        .value_kind:     by_value
      - .offset:         104
        .size:           4
        .value_kind:     by_value
      - .offset:         108
        .size:           4
        .value_kind:     by_value
      - .offset:         112
        .size:           4
        .value_kind:     by_value
      - .offset:         116
        .size:           4
        .value_kind:     by_value
      - .offset:         120
        .size:           4
        .value_kind:     by_value
      - .offset:         124
        .size:           4
        .value_kind:     by_value
      - .offset:         128
        .size:           4
        .value_kind:     by_value
      - .offset:         132
        .size:           4
        .value_kind:     by_value
      - .offset:         136
        .size:           4
        .value_kind:     by_value
      - .offset:         140
        .size:           4
        .value_kind:     by_value
      - .offset:         144
        .size:           4
        .value_kind:     by_value
      - .offset:         152
        .size:           8
        .value_kind:     by_value
      - .offset:         160
        .size:           4
        .value_kind:     by_value
      - .offset:         164
        .size:           4
        .value_kind:     by_value
      - .offset:         168
        .size:           8
        .value_kind:     by_value
      - .offset:         176
        .size:           4
        .value_kind:     by_value
      - .offset:         180
        .size:           4
        .value_kind:     by_value
      - .offset:         184
        .size:           4
        .value_kind:     by_value
      - .offset:         188
        .size:           4
        .value_kind:     by_value
      - .offset:         192
        .size:           4
        .value_kind:     by_value
      - .offset:         200
        .size:           8
        .value_kind:     by_value
      - .offset:         208
        .size:           4
        .value_kind:     hidden_block_count_x
      - .offset:         212
        .size:           4
        .value_kind:     hidden_block_count_y
      - .offset:         216
        .size:           4
        .value_kind:     hidden_block_count_z
      - .offset:         220
        .size:           2
        .value_kind:     hidden_group_size_x
      - .offset:         222
        .size:           2
        .value_kind:     hidden_group_size_y
      - .offset:         224
        .size:           2
        .value_kind:     hidden_group_size_z
      - .offset:         226
        .size:           2
        .value_kind:     hidden_remainder_x
      - .offset:         228
        .size:           2
        .value_kind:     hidden_remainder_y
      - .offset:         230
        .size:           2
        .value_kind:     hidden_remainder_z
      - .offset:         248
        .size:           8
        .value_kind:     hidden_global_offset_x
      - .offset:         256
        .size:           8
        .value_kind:     hidden_global_offset_y
      - .offset:         264
        .size:           8
        .value_kind:     hidden_global_offset_z
      - .offset:         272
        .size:           2
        .value_kind:     hidden_grid_dims
      - .offset:         328
        .size:           4
        .value_kind:     hidden_dynamic_lds_size
    .group_segment_fixed_size: 0
    .kernarg_segment_align: 8
    .kernarg_segment_size: 464
    .language:       OpenCL C
    .language_version:
      - 2
      - 0
    .max_flat_workgroup_size: 256
    .name:           _ZL18flash_attn_ext_f16ILi80ELi80ELi32ELi1ELb0ELb0EEvPKcS1_S1_S1_S1_PKiPfP15HIP_vector_typeIfLj2EEffffjfiS5_IjLj3EEiiiiiiiiiiiliiliiiiil
    .private_segment_fixed_size: 32
    .sgpr_count:     106
    .sgpr_spill_count: 82
    .symbol:         _ZL18flash_attn_ext_f16ILi80ELi80ELi32ELi1ELb0ELb0EEvPKcS1_S1_S1_S1_PKiPfP15HIP_vector_typeIfLj2EEffffjfiS5_IjLj3EEiiiiiiiiiiiliiliiiiil.kd
    .uniform_work_group_size: 1
    .uses_dynamic_stack: false
    .vgpr_count:     216
    .vgpr_spill_count: 0
    .wavefront_size: 64
  - .agpr_count:     0
    .args:
      - .address_space:  global
        .offset:         0
        .size:           8
        .value_kind:     global_buffer
      - .address_space:  global
        .offset:         8
        .size:           8
        .value_kind:     global_buffer
      - .address_space:  global
        .offset:         16
        .size:           8
        .value_kind:     global_buffer
      - .address_space:  global
        .offset:         24
        .size:           8
        .value_kind:     global_buffer
      - .address_space:  global
        .offset:         32
        .size:           8
        .value_kind:     global_buffer
      - .address_space:  global
        .offset:         40
        .size:           8
        .value_kind:     global_buffer
      - .address_space:  global
        .offset:         48
        .size:           8
        .value_kind:     global_buffer
      - .address_space:  global
        .offset:         56
        .size:           8
        .value_kind:     global_buffer
      - .offset:         64
        .size:           4
        .value_kind:     by_value
      - .offset:         68
        .size:           4
        .value_kind:     by_value
      - .offset:         72
        .size:           4
        .value_kind:     by_value
      - .offset:         76
        .size:           4
        .value_kind:     by_value
      - .offset:         80
        .size:           4
        .value_kind:     by_value
      - .offset:         84
        .size:           4
        .value_kind:     by_value
      - .offset:         88
        .size:           4
        .value_kind:     by_value
      - .offset:         92
        .size:           12
        .value_kind:     by_value
      - .offset:         104
        .size:           4
        .value_kind:     by_value
      - .offset:         108
        .size:           4
        .value_kind:     by_value
      - .offset:         112
        .size:           4
        .value_kind:     by_value
      - .offset:         116
        .size:           4
        .value_kind:     by_value
      - .offset:         120
        .size:           4
        .value_kind:     by_value
      - .offset:         124
        .size:           4
        .value_kind:     by_value
      - .offset:         128
        .size:           4
        .value_kind:     by_value
      - .offset:         132
        .size:           4
        .value_kind:     by_value
      - .offset:         136
        .size:           4
        .value_kind:     by_value
      - .offset:         140
        .size:           4
        .value_kind:     by_value
      - .offset:         144
        .size:           4
        .value_kind:     by_value
      - .offset:         152
        .size:           8
        .value_kind:     by_value
      - .offset:         160
        .size:           4
        .value_kind:     by_value
      - .offset:         164
        .size:           4
        .value_kind:     by_value
      - .offset:         168
        .size:           8
        .value_kind:     by_value
      - .offset:         176
        .size:           4
        .value_kind:     by_value
      - .offset:         180
        .size:           4
        .value_kind:     by_value
      - .offset:         184
        .size:           4
        .value_kind:     by_value
      - .offset:         188
        .size:           4
        .value_kind:     by_value
      - .offset:         192
        .size:           4
        .value_kind:     by_value
      - .offset:         200
        .size:           8
        .value_kind:     by_value
      - .offset:         208
        .size:           4
        .value_kind:     hidden_block_count_x
      - .offset:         212
        .size:           4
        .value_kind:     hidden_block_count_y
      - .offset:         216
        .size:           4
        .value_kind:     hidden_block_count_z
      - .offset:         220
        .size:           2
        .value_kind:     hidden_group_size_x
      - .offset:         222
        .size:           2
        .value_kind:     hidden_group_size_y
      - .offset:         224
        .size:           2
        .value_kind:     hidden_group_size_z
      - .offset:         226
        .size:           2
        .value_kind:     hidden_remainder_x
      - .offset:         228
        .size:           2
        .value_kind:     hidden_remainder_y
      - .offset:         230
        .size:           2
        .value_kind:     hidden_remainder_z
      - .offset:         248
        .size:           8
        .value_kind:     hidden_global_offset_x
      - .offset:         256
        .size:           8
        .value_kind:     hidden_global_offset_y
      - .offset:         264
        .size:           8
        .value_kind:     hidden_global_offset_z
      - .offset:         272
        .size:           2
        .value_kind:     hidden_grid_dims
      - .offset:         288
        .size:           8
        .value_kind:     hidden_hostcall_buffer
    .group_segment_fixed_size: 0
    .kernarg_segment_align: 8
    .kernarg_segment_size: 464
    .language:       OpenCL C
    .language_version:
      - 2
      - 0
    .max_flat_workgroup_size: 256
    .name:           _ZL18flash_attn_ext_f16ILi80ELi80ELi32ELi1ELb1ELb0EEvPKcS1_S1_S1_S1_PKiPfP15HIP_vector_typeIfLj2EEffffjfiS5_IjLj3EEiiiiiiiiiiiliiliiiiil
    .private_segment_fixed_size: 16
    .sgpr_count:     40
    .sgpr_spill_count: 0
    .symbol:         _ZL18flash_attn_ext_f16ILi80ELi80ELi32ELi1ELb1ELb0EEvPKcS1_S1_S1_S1_PKiPfP15HIP_vector_typeIfLj2EEffffjfiS5_IjLj3EEiiiiiiiiiiiliiliiiiil.kd
    .uniform_work_group_size: 1
    .uses_dynamic_stack: false
    .vgpr_count:     39
    .vgpr_spill_count: 0
    .wavefront_size: 64
  - .agpr_count:     0
    .args:
      - .address_space:  global
        .offset:         0
        .size:           8
        .value_kind:     global_buffer
      - .address_space:  global
        .offset:         8
        .size:           8
        .value_kind:     global_buffer
      - .offset:         16
        .size:           4
        .value_kind:     by_value
      - .offset:         20
        .size:           4
        .value_kind:     by_value
      - .offset:         24
        .size:           4
        .value_kind:     by_value
      - .offset:         28
        .size:           4
        .value_kind:     by_value
      - .offset:         32
        .size:           4
        .value_kind:     by_value
      - .offset:         36
        .size:           4
        .value_kind:     by_value
      - .offset:         40
        .size:           12
        .value_kind:     by_value
      - .offset:         52
        .size:           12
        .value_kind:     by_value
      - .offset:         64
        .size:           12
        .value_kind:     by_value
    .group_segment_fixed_size: 0
    .kernarg_segment_align: 8
    .kernarg_segment_size: 76
    .language:       OpenCL C
    .language_version:
      - 2
      - 0
    .max_flat_workgroup_size: 80
    .name:           _ZL33flash_attn_stream_k_fixup_uniformILi80ELi32ELi1EEvPfPK15HIP_vector_typeIfLj2EEiiiiiiS1_IjLj3EES5_S5_
    .private_segment_fixed_size: 0
    .sgpr_count:     24
    .sgpr_spill_count: 0
    .symbol:         _ZL33flash_attn_stream_k_fixup_uniformILi80ELi32ELi1EEvPfPK15HIP_vector_typeIfLj2EEiiiiiiS1_IjLj3EES5_S5_.kd
    .uniform_work_group_size: 1
    .uses_dynamic_stack: false
    .vgpr_count:     17
    .vgpr_spill_count: 0
    .wavefront_size: 64
  - .agpr_count:     0
    .args:
      - .address_space:  global
        .offset:         0
        .size:           8
        .value_kind:     global_buffer
      - .address_space:  global
        .offset:         8
        .size:           8
        .value_kind:     global_buffer
      - .offset:         16
        .size:           4
        .value_kind:     by_value
      - .offset:         20
        .size:           4
        .value_kind:     by_value
      - .offset:         24
        .size:           4
        .value_kind:     by_value
      - .offset:         28
        .size:           4
        .value_kind:     by_value
      - .offset:         32
        .size:           12
        .value_kind:     by_value
      - .offset:         44
        .size:           12
        .value_kind:     by_value
      - .offset:         56
        .size:           12
        .value_kind:     by_value
      - .offset:         68
        .size:           12
        .value_kind:     by_value
      - .offset:         80
        .size:           4
        .value_kind:     hidden_block_count_x
      - .offset:         84
        .size:           4
        .value_kind:     hidden_block_count_y
      - .offset:         88
        .size:           4
        .value_kind:     hidden_block_count_z
      - .offset:         92
        .size:           2
        .value_kind:     hidden_group_size_x
      - .offset:         94
        .size:           2
        .value_kind:     hidden_group_size_y
      - .offset:         96
        .size:           2
        .value_kind:     hidden_group_size_z
      - .offset:         98
        .size:           2
        .value_kind:     hidden_remainder_x
      - .offset:         100
        .size:           2
        .value_kind:     hidden_remainder_y
      - .offset:         102
        .size:           2
        .value_kind:     hidden_remainder_z
      - .offset:         120
        .size:           8
        .value_kind:     hidden_global_offset_x
      - .offset:         128
        .size:           8
        .value_kind:     hidden_global_offset_y
      - .offset:         136
        .size:           8
        .value_kind:     hidden_global_offset_z
      - .offset:         144
        .size:           2
        .value_kind:     hidden_grid_dims
    .group_segment_fixed_size: 0
    .kernarg_segment_align: 8
    .kernarg_segment_size: 336
    .language:       OpenCL C
    .language_version:
      - 2
      - 0
    .max_flat_workgroup_size: 80
    .name:           _ZL33flash_attn_stream_k_fixup_generalILi80ELi32ELi1EEvPfPK15HIP_vector_typeIfLj2EEiiiiS1_IjLj3EES5_S5_S5_
    .private_segment_fixed_size: 0
    .sgpr_count:     36
    .sgpr_spill_count: 0
    .symbol:         _ZL33flash_attn_stream_k_fixup_generalILi80ELi32ELi1EEvPfPK15HIP_vector_typeIfLj2EEiiiiS1_IjLj3EES5_S5_S5_.kd
    .uniform_work_group_size: 1
    .uses_dynamic_stack: false
    .vgpr_count:     22
    .vgpr_spill_count: 0
    .wavefront_size: 64
  - .agpr_count:     0
    .args:
      - .address_space:  global
        .offset:         0
        .size:           8
        .value_kind:     global_buffer
      - .address_space:  global
        .offset:         8
        .size:           8
        .value_kind:     global_buffer
      - .address_space:  global
        .offset:         16
        .size:           8
        .value_kind:     global_buffer
      - .offset:         24
        .size:           4
        .value_kind:     by_value
      - .offset:         32
        .size:           4
        .value_kind:     hidden_block_count_x
      - .offset:         36
        .size:           4
        .value_kind:     hidden_block_count_y
      - .offset:         40
        .size:           4
        .value_kind:     hidden_block_count_z
      - .offset:         44
        .size:           2
        .value_kind:     hidden_group_size_x
      - .offset:         46
        .size:           2
        .value_kind:     hidden_group_size_y
      - .offset:         48
        .size:           2
        .value_kind:     hidden_group_size_z
      - .offset:         50
        .size:           2
        .value_kind:     hidden_remainder_x
      - .offset:         52
        .size:           2
        .value_kind:     hidden_remainder_y
      - .offset:         54
        .size:           2
        .value_kind:     hidden_remainder_z
      - .offset:         72
        .size:           8
        .value_kind:     hidden_global_offset_x
      - .offset:         80
        .size:           8
        .value_kind:     hidden_global_offset_y
      - .offset:         88
        .size:           8
        .value_kind:     hidden_global_offset_z
      - .offset:         96
        .size:           2
        .value_kind:     hidden_grid_dims
      - .offset:         152
        .size:           4
        .value_kind:     hidden_dynamic_lds_size
    .group_segment_fixed_size: 0
    .kernarg_segment_align: 8
    .kernarg_segment_size: 288
    .language:       OpenCL C
    .language_version:
      - 2
      - 0
    .max_flat_workgroup_size: 80
    .name:           _ZL26flash_attn_combine_resultsILi80EEvPKfPK15HIP_vector_typeIfLj2EEPfi
    .private_segment_fixed_size: 0
    .sgpr_count:     33
    .sgpr_spill_count: 0
    .symbol:         _ZL26flash_attn_combine_resultsILi80EEvPKfPK15HIP_vector_typeIfLj2EEPfi.kd
    .uniform_work_group_size: 1
    .uses_dynamic_stack: false
    .vgpr_count:     51
    .vgpr_spill_count: 0
    .wavefront_size: 64
  - .agpr_count:     0
    .args:
      - .address_space:  global
        .offset:         0
        .size:           8
        .value_kind:     global_buffer
      - .address_space:  global
        .offset:         8
        .size:           8
        .value_kind:     global_buffer
      - .address_space:  global
        .offset:         16
        .size:           8
        .value_kind:     global_buffer
      - .address_space:  global
        .offset:         24
        .size:           8
        .value_kind:     global_buffer
      - .address_space:  global
        .offset:         32
        .size:           8
        .value_kind:     global_buffer
      - .address_space:  global
        .offset:         40
        .size:           8
        .value_kind:     global_buffer
      - .address_space:  global
        .offset:         48
        .size:           8
        .value_kind:     global_buffer
      - .address_space:  global
        .offset:         56
        .size:           8
        .value_kind:     global_buffer
      - .offset:         64
        .size:           4
        .value_kind:     by_value
      - .offset:         68
        .size:           4
        .value_kind:     by_value
      - .offset:         72
        .size:           4
        .value_kind:     by_value
      - .offset:         76
        .size:           4
        .value_kind:     by_value
      - .offset:         80
        .size:           4
        .value_kind:     by_value
      - .offset:         84
        .size:           4
        .value_kind:     by_value
      - .offset:         88
        .size:           4
        .value_kind:     by_value
      - .offset:         92
        .size:           12
        .value_kind:     by_value
      - .offset:         104
        .size:           4
        .value_kind:     by_value
      - .offset:         108
        .size:           4
        .value_kind:     by_value
      - .offset:         112
        .size:           4
        .value_kind:     by_value
      - .offset:         116
        .size:           4
        .value_kind:     by_value
      - .offset:         120
        .size:           4
        .value_kind:     by_value
      - .offset:         124
        .size:           4
        .value_kind:     by_value
      - .offset:         128
        .size:           4
        .value_kind:     by_value
      - .offset:         132
        .size:           4
        .value_kind:     by_value
      - .offset:         136
        .size:           4
        .value_kind:     by_value
      - .offset:         140
        .size:           4
        .value_kind:     by_value
      - .offset:         144
        .size:           4
        .value_kind:     by_value
      - .offset:         152
        .size:           8
        .value_kind:     by_value
      - .offset:         160
        .size:           4
        .value_kind:     by_value
      - .offset:         164
        .size:           4
        .value_kind:     by_value
      - .offset:         168
        .size:           8
        .value_kind:     by_value
      - .offset:         176
        .size:           4
        .value_kind:     by_value
      - .offset:         180
        .size:           4
        .value_kind:     by_value
      - .offset:         184
        .size:           4
        .value_kind:     by_value
      - .offset:         188
        .size:           4
        .value_kind:     by_value
      - .offset:         192
        .size:           4
        .value_kind:     by_value
      - .offset:         200
        .size:           8
        .value_kind:     by_value
      - .offset:         208
        .size:           4
        .value_kind:     hidden_block_count_x
      - .offset:         212
        .size:           4
        .value_kind:     hidden_block_count_y
      - .offset:         216
        .size:           4
        .value_kind:     hidden_block_count_z
      - .offset:         220
        .size:           2
        .value_kind:     hidden_group_size_x
      - .offset:         222
        .size:           2
        .value_kind:     hidden_group_size_y
      - .offset:         224
        .size:           2
        .value_kind:     hidden_group_size_z
      - .offset:         226
        .size:           2
        .value_kind:     hidden_remainder_x
      - .offset:         228
        .size:           2
        .value_kind:     hidden_remainder_y
      - .offset:         230
        .size:           2
        .value_kind:     hidden_remainder_z
      - .offset:         248
        .size:           8
        .value_kind:     hidden_global_offset_x
      - .offset:         256
        .size:           8
        .value_kind:     hidden_global_offset_y
      - .offset:         264
        .size:           8
        .value_kind:     hidden_global_offset_z
      - .offset:         272
        .size:           2
        .value_kind:     hidden_grid_dims
      - .offset:         328
        .size:           4
        .value_kind:     hidden_dynamic_lds_size
    .group_segment_fixed_size: 0
    .kernarg_segment_align: 8
    .kernarg_segment_size: 464
    .language:       OpenCL C
    .language_version:
      - 2
      - 0
    .max_flat_workgroup_size: 256
    .name:           _ZL18flash_attn_ext_f16ILi96ELi96ELi32ELi1ELb0ELb0EEvPKcS1_S1_S1_S1_PKiPfP15HIP_vector_typeIfLj2EEffffjfiS5_IjLj3EEiiiiiiiiiiiliiliiiiil
    .private_segment_fixed_size: 32
    .sgpr_count:     106
    .sgpr_spill_count: 78
    .symbol:         _ZL18flash_attn_ext_f16ILi96ELi96ELi32ELi1ELb0ELb0EEvPKcS1_S1_S1_S1_PKiPfP15HIP_vector_typeIfLj2EEffffjfiS5_IjLj3EEiiiiiiiiiiiliiliiiiil.kd
    .uniform_work_group_size: 1
    .uses_dynamic_stack: false
    .vgpr_count:     232
    .vgpr_spill_count: 0
    .wavefront_size: 64
  - .agpr_count:     0
    .args:
      - .address_space:  global
        .offset:         0
        .size:           8
        .value_kind:     global_buffer
      - .address_space:  global
        .offset:         8
        .size:           8
        .value_kind:     global_buffer
      - .address_space:  global
        .offset:         16
        .size:           8
        .value_kind:     global_buffer
      - .address_space:  global
        .offset:         24
        .size:           8
        .value_kind:     global_buffer
      - .address_space:  global
        .offset:         32
        .size:           8
        .value_kind:     global_buffer
      - .address_space:  global
        .offset:         40
        .size:           8
        .value_kind:     global_buffer
      - .address_space:  global
        .offset:         48
        .size:           8
        .value_kind:     global_buffer
      - .address_space:  global
        .offset:         56
        .size:           8
        .value_kind:     global_buffer
      - .offset:         64
        .size:           4
        .value_kind:     by_value
      - .offset:         68
        .size:           4
        .value_kind:     by_value
      - .offset:         72
        .size:           4
        .value_kind:     by_value
      - .offset:         76
        .size:           4
        .value_kind:     by_value
      - .offset:         80
        .size:           4
        .value_kind:     by_value
      - .offset:         84
        .size:           4
        .value_kind:     by_value
      - .offset:         88
        .size:           4
        .value_kind:     by_value
      - .offset:         92
        .size:           12
        .value_kind:     by_value
      - .offset:         104
        .size:           4
        .value_kind:     by_value
      - .offset:         108
        .size:           4
        .value_kind:     by_value
      - .offset:         112
        .size:           4
        .value_kind:     by_value
      - .offset:         116
        .size:           4
        .value_kind:     by_value
      - .offset:         120
        .size:           4
        .value_kind:     by_value
      - .offset:         124
        .size:           4
        .value_kind:     by_value
      - .offset:         128
        .size:           4
        .value_kind:     by_value
      - .offset:         132
        .size:           4
        .value_kind:     by_value
      - .offset:         136
        .size:           4
        .value_kind:     by_value
      - .offset:         140
        .size:           4
        .value_kind:     by_value
      - .offset:         144
        .size:           4
        .value_kind:     by_value
      - .offset:         152
        .size:           8
        .value_kind:     by_value
      - .offset:         160
        .size:           4
        .value_kind:     by_value
      - .offset:         164
        .size:           4
        .value_kind:     by_value
      - .offset:         168
        .size:           8
        .value_kind:     by_value
      - .offset:         176
        .size:           4
        .value_kind:     by_value
      - .offset:         180
        .size:           4
        .value_kind:     by_value
      - .offset:         184
        .size:           4
        .value_kind:     by_value
      - .offset:         188
        .size:           4
        .value_kind:     by_value
      - .offset:         192
        .size:           4
        .value_kind:     by_value
      - .offset:         200
        .size:           8
        .value_kind:     by_value
      - .offset:         208
        .size:           4
        .value_kind:     hidden_block_count_x
      - .offset:         212
        .size:           4
        .value_kind:     hidden_block_count_y
      - .offset:         216
        .size:           4
        .value_kind:     hidden_block_count_z
      - .offset:         220
        .size:           2
        .value_kind:     hidden_group_size_x
      - .offset:         222
        .size:           2
        .value_kind:     hidden_group_size_y
      - .offset:         224
        .size:           2
        .value_kind:     hidden_group_size_z
      - .offset:         226
        .size:           2
        .value_kind:     hidden_remainder_x
      - .offset:         228
        .size:           2
        .value_kind:     hidden_remainder_y
      - .offset:         230
        .size:           2
        .value_kind:     hidden_remainder_z
      - .offset:         248
        .size:           8
        .value_kind:     hidden_global_offset_x
      - .offset:         256
        .size:           8
        .value_kind:     hidden_global_offset_y
      - .offset:         264
        .size:           8
        .value_kind:     hidden_global_offset_z
      - .offset:         272
        .size:           2
        .value_kind:     hidden_grid_dims
      - .offset:         288
        .size:           8
        .value_kind:     hidden_hostcall_buffer
    .group_segment_fixed_size: 0
    .kernarg_segment_align: 8
    .kernarg_segment_size: 464
    .language:       OpenCL C
    .language_version:
      - 2
      - 0
    .max_flat_workgroup_size: 256
    .name:           _ZL18flash_attn_ext_f16ILi96ELi96ELi32ELi1ELb1ELb0EEvPKcS1_S1_S1_S1_PKiPfP15HIP_vector_typeIfLj2EEffffjfiS5_IjLj3EEiiiiiiiiiiiliiliiiiil
    .private_segment_fixed_size: 16
    .sgpr_count:     40
    .sgpr_spill_count: 0
    .symbol:         _ZL18flash_attn_ext_f16ILi96ELi96ELi32ELi1ELb1ELb0EEvPKcS1_S1_S1_S1_PKiPfP15HIP_vector_typeIfLj2EEffffjfiS5_IjLj3EEiiiiiiiiiiiliiliiiiil.kd
    .uniform_work_group_size: 1
    .uses_dynamic_stack: false
    .vgpr_count:     39
    .vgpr_spill_count: 0
    .wavefront_size: 64
  - .agpr_count:     0
    .args:
      - .address_space:  global
        .offset:         0
        .size:           8
        .value_kind:     global_buffer
      - .address_space:  global
        .offset:         8
        .size:           8
        .value_kind:     global_buffer
      - .offset:         16
        .size:           4
        .value_kind:     by_value
      - .offset:         20
        .size:           4
        .value_kind:     by_value
      - .offset:         24
        .size:           4
        .value_kind:     by_value
      - .offset:         28
        .size:           4
        .value_kind:     by_value
      - .offset:         32
        .size:           4
        .value_kind:     by_value
      - .offset:         36
        .size:           4
        .value_kind:     by_value
      - .offset:         40
        .size:           12
        .value_kind:     by_value
      - .offset:         52
        .size:           12
        .value_kind:     by_value
      - .offset:         64
        .size:           12
        .value_kind:     by_value
    .group_segment_fixed_size: 0
    .kernarg_segment_align: 8
    .kernarg_segment_size: 76
    .language:       OpenCL C
    .language_version:
      - 2
      - 0
    .max_flat_workgroup_size: 96
    .name:           _ZL33flash_attn_stream_k_fixup_uniformILi96ELi32ELi1EEvPfPK15HIP_vector_typeIfLj2EEiiiiiiS1_IjLj3EES5_S5_
    .private_segment_fixed_size: 0
    .sgpr_count:     24
    .sgpr_spill_count: 0
    .symbol:         _ZL33flash_attn_stream_k_fixup_uniformILi96ELi32ELi1EEvPfPK15HIP_vector_typeIfLj2EEiiiiiiS1_IjLj3EES5_S5_.kd
    .uniform_work_group_size: 1
    .uses_dynamic_stack: false
    .vgpr_count:     17
    .vgpr_spill_count: 0
    .wavefront_size: 64
  - .agpr_count:     0
    .args:
      - .address_space:  global
        .offset:         0
        .size:           8
        .value_kind:     global_buffer
      - .address_space:  global
        .offset:         8
        .size:           8
        .value_kind:     global_buffer
      - .offset:         16
        .size:           4
        .value_kind:     by_value
      - .offset:         20
        .size:           4
        .value_kind:     by_value
      - .offset:         24
        .size:           4
        .value_kind:     by_value
      - .offset:         28
        .size:           4
        .value_kind:     by_value
      - .offset:         32
        .size:           12
        .value_kind:     by_value
      - .offset:         44
        .size:           12
        .value_kind:     by_value
      - .offset:         56
        .size:           12
        .value_kind:     by_value
      - .offset:         68
        .size:           12
        .value_kind:     by_value
      - .offset:         80
        .size:           4
        .value_kind:     hidden_block_count_x
      - .offset:         84
        .size:           4
        .value_kind:     hidden_block_count_y
      - .offset:         88
        .size:           4
        .value_kind:     hidden_block_count_z
      - .offset:         92
        .size:           2
        .value_kind:     hidden_group_size_x
      - .offset:         94
        .size:           2
        .value_kind:     hidden_group_size_y
      - .offset:         96
        .size:           2
        .value_kind:     hidden_group_size_z
      - .offset:         98
        .size:           2
        .value_kind:     hidden_remainder_x
      - .offset:         100
        .size:           2
        .value_kind:     hidden_remainder_y
      - .offset:         102
        .size:           2
        .value_kind:     hidden_remainder_z
      - .offset:         120
        .size:           8
        .value_kind:     hidden_global_offset_x
      - .offset:         128
        .size:           8
        .value_kind:     hidden_global_offset_y
      - .offset:         136
        .size:           8
        .value_kind:     hidden_global_offset_z
      - .offset:         144
        .size:           2
        .value_kind:     hidden_grid_dims
    .group_segment_fixed_size: 0
    .kernarg_segment_align: 8
    .kernarg_segment_size: 336
    .language:       OpenCL C
    .language_version:
      - 2
      - 0
    .max_flat_workgroup_size: 96
    .name:           _ZL33flash_attn_stream_k_fixup_generalILi96ELi32ELi1EEvPfPK15HIP_vector_typeIfLj2EEiiiiS1_IjLj3EES5_S5_S5_
    .private_segment_fixed_size: 0
    .sgpr_count:     36
    .sgpr_spill_count: 0
    .symbol:         _ZL33flash_attn_stream_k_fixup_generalILi96ELi32ELi1EEvPfPK15HIP_vector_typeIfLj2EEiiiiS1_IjLj3EES5_S5_S5_.kd
    .uniform_work_group_size: 1
    .uses_dynamic_stack: false
    .vgpr_count:     22
    .vgpr_spill_count: 0
    .wavefront_size: 64
  - .agpr_count:     0
    .args:
      - .address_space:  global
        .offset:         0
        .size:           8
        .value_kind:     global_buffer
      - .address_space:  global
        .offset:         8
        .size:           8
        .value_kind:     global_buffer
      - .address_space:  global
        .offset:         16
        .size:           8
        .value_kind:     global_buffer
      - .offset:         24
        .size:           4
        .value_kind:     by_value
      - .offset:         32
        .size:           4
        .value_kind:     hidden_block_count_x
      - .offset:         36
        .size:           4
        .value_kind:     hidden_block_count_y
      - .offset:         40
        .size:           4
        .value_kind:     hidden_block_count_z
      - .offset:         44
        .size:           2
        .value_kind:     hidden_group_size_x
      - .offset:         46
        .size:           2
        .value_kind:     hidden_group_size_y
      - .offset:         48
        .size:           2
        .value_kind:     hidden_group_size_z
      - .offset:         50
        .size:           2
        .value_kind:     hidden_remainder_x
      - .offset:         52
        .size:           2
        .value_kind:     hidden_remainder_y
      - .offset:         54
        .size:           2
        .value_kind:     hidden_remainder_z
      - .offset:         72
        .size:           8
        .value_kind:     hidden_global_offset_x
      - .offset:         80
        .size:           8
        .value_kind:     hidden_global_offset_y
      - .offset:         88
        .size:           8
        .value_kind:     hidden_global_offset_z
      - .offset:         96
        .size:           2
        .value_kind:     hidden_grid_dims
      - .offset:         152
        .size:           4
        .value_kind:     hidden_dynamic_lds_size
    .group_segment_fixed_size: 0
    .kernarg_segment_align: 8
    .kernarg_segment_size: 288
    .language:       OpenCL C
    .language_version:
      - 2
      - 0
    .max_flat_workgroup_size: 96
    .name:           _ZL26flash_attn_combine_resultsILi96EEvPKfPK15HIP_vector_typeIfLj2EEPfi
    .private_segment_fixed_size: 0
    .sgpr_count:     33
    .sgpr_spill_count: 0
    .symbol:         _ZL26flash_attn_combine_resultsILi96EEvPKfPK15HIP_vector_typeIfLj2EEPfi.kd
    .uniform_work_group_size: 1
    .uses_dynamic_stack: false
    .vgpr_count:     51
    .vgpr_spill_count: 0
    .wavefront_size: 64
  - .agpr_count:     0
    .args:
      - .address_space:  global
        .offset:         0
        .size:           8
        .value_kind:     global_buffer
      - .address_space:  global
        .offset:         8
        .size:           8
        .value_kind:     global_buffer
      - .address_space:  global
        .offset:         16
        .size:           8
        .value_kind:     global_buffer
      - .address_space:  global
        .offset:         24
        .size:           8
        .value_kind:     global_buffer
      - .address_space:  global
        .offset:         32
        .size:           8
        .value_kind:     global_buffer
      - .address_space:  global
        .offset:         40
        .size:           8
        .value_kind:     global_buffer
      - .address_space:  global
        .offset:         48
        .size:           8
        .value_kind:     global_buffer
      - .address_space:  global
        .offset:         56
        .size:           8
        .value_kind:     global_buffer
      - .offset:         64
        .size:           4
        .value_kind:     by_value
      - .offset:         68
        .size:           4
        .value_kind:     by_value
      - .offset:         72
        .size:           4
        .value_kind:     by_value
      - .offset:         76
        .size:           4
        .value_kind:     by_value
      - .offset:         80
        .size:           4
        .value_kind:     by_value
      - .offset:         84
        .size:           4
        .value_kind:     by_value
      - .offset:         88
        .size:           4
        .value_kind:     by_value
      - .offset:         92
        .size:           12
        .value_kind:     by_value
      - .offset:         104
        .size:           4
        .value_kind:     by_value
      - .offset:         108
        .size:           4
        .value_kind:     by_value
      - .offset:         112
        .size:           4
        .value_kind:     by_value
      - .offset:         116
        .size:           4
        .value_kind:     by_value
      - .offset:         120
        .size:           4
        .value_kind:     by_value
      - .offset:         124
        .size:           4
        .value_kind:     by_value
      - .offset:         128
        .size:           4
        .value_kind:     by_value
      - .offset:         132
        .size:           4
        .value_kind:     by_value
      - .offset:         136
        .size:           4
        .value_kind:     by_value
      - .offset:         140
        .size:           4
        .value_kind:     by_value
      - .offset:         144
        .size:           4
        .value_kind:     by_value
      - .offset:         152
        .size:           8
        .value_kind:     by_value
      - .offset:         160
        .size:           4
        .value_kind:     by_value
      - .offset:         164
        .size:           4
        .value_kind:     by_value
      - .offset:         168
        .size:           8
        .value_kind:     by_value
      - .offset:         176
        .size:           4
        .value_kind:     by_value
      - .offset:         180
        .size:           4
        .value_kind:     by_value
      - .offset:         184
        .size:           4
        .value_kind:     by_value
      - .offset:         188
        .size:           4
        .value_kind:     by_value
      - .offset:         192
        .size:           4
        .value_kind:     by_value
      - .offset:         200
        .size:           8
        .value_kind:     by_value
      - .offset:         208
        .size:           4
        .value_kind:     hidden_block_count_x
      - .offset:         212
        .size:           4
        .value_kind:     hidden_block_count_y
      - .offset:         216
        .size:           4
        .value_kind:     hidden_block_count_z
      - .offset:         220
        .size:           2
        .value_kind:     hidden_group_size_x
      - .offset:         222
        .size:           2
        .value_kind:     hidden_group_size_y
      - .offset:         224
        .size:           2
        .value_kind:     hidden_group_size_z
      - .offset:         226
        .size:           2
        .value_kind:     hidden_remainder_x
      - .offset:         228
        .size:           2
        .value_kind:     hidden_remainder_y
      - .offset:         230
        .size:           2
        .value_kind:     hidden_remainder_z
      - .offset:         248
        .size:           8
        .value_kind:     hidden_global_offset_x
      - .offset:         256
        .size:           8
        .value_kind:     hidden_global_offset_y
      - .offset:         264
        .size:           8
        .value_kind:     hidden_global_offset_z
      - .offset:         272
        .size:           2
        .value_kind:     hidden_grid_dims
      - .offset:         328
        .size:           4
        .value_kind:     hidden_dynamic_lds_size
    .group_segment_fixed_size: 0
    .kernarg_segment_align: 8
    .kernarg_segment_size: 464
    .language:       OpenCL C
    .language_version:
      - 2
      - 0
    .max_flat_workgroup_size: 256
    .name:           _ZL18flash_attn_ext_f16ILi112ELi112ELi32ELi1ELb0ELb0EEvPKcS1_S1_S1_S1_PKiPfP15HIP_vector_typeIfLj2EEffffjfiS5_IjLj3EEiiiiiiiiiiiliiliiiiil
    .private_segment_fixed_size: 48
    .sgpr_count:     106
    .sgpr_spill_count: 89
    .symbol:         _ZL18flash_attn_ext_f16ILi112ELi112ELi32ELi1ELb0ELb0EEvPKcS1_S1_S1_S1_PKiPfP15HIP_vector_typeIfLj2EEffffjfiS5_IjLj3EEiiiiiiiiiiiliiliiiiil.kd
    .uniform_work_group_size: 1
    .uses_dynamic_stack: false
    .vgpr_count:     256
    .vgpr_spill_count: 7
    .wavefront_size: 64
  - .agpr_count:     0
    .args:
      - .address_space:  global
        .offset:         0
        .size:           8
        .value_kind:     global_buffer
      - .address_space:  global
        .offset:         8
        .size:           8
        .value_kind:     global_buffer
      - .address_space:  global
        .offset:         16
        .size:           8
        .value_kind:     global_buffer
      - .address_space:  global
        .offset:         24
        .size:           8
        .value_kind:     global_buffer
      - .address_space:  global
        .offset:         32
        .size:           8
        .value_kind:     global_buffer
      - .address_space:  global
        .offset:         40
        .size:           8
        .value_kind:     global_buffer
      - .address_space:  global
        .offset:         48
        .size:           8
        .value_kind:     global_buffer
      - .address_space:  global
        .offset:         56
        .size:           8
        .value_kind:     global_buffer
      - .offset:         64
        .size:           4
        .value_kind:     by_value
      - .offset:         68
        .size:           4
        .value_kind:     by_value
      - .offset:         72
        .size:           4
        .value_kind:     by_value
      - .offset:         76
        .size:           4
        .value_kind:     by_value
      - .offset:         80
        .size:           4
        .value_kind:     by_value
      - .offset:         84
        .size:           4
        .value_kind:     by_value
      - .offset:         88
        .size:           4
        .value_kind:     by_value
      - .offset:         92
        .size:           12
        .value_kind:     by_value
      - .offset:         104
        .size:           4
        .value_kind:     by_value
      - .offset:         108
        .size:           4
        .value_kind:     by_value
      - .offset:         112
        .size:           4
        .value_kind:     by_value
      - .offset:         116
        .size:           4
        .value_kind:     by_value
      - .offset:         120
        .size:           4
        .value_kind:     by_value
      - .offset:         124
        .size:           4
        .value_kind:     by_value
      - .offset:         128
        .size:           4
        .value_kind:     by_value
      - .offset:         132
        .size:           4
        .value_kind:     by_value
      - .offset:         136
        .size:           4
        .value_kind:     by_value
      - .offset:         140
        .size:           4
        .value_kind:     by_value
      - .offset:         144
        .size:           4
        .value_kind:     by_value
      - .offset:         152
        .size:           8
        .value_kind:     by_value
      - .offset:         160
        .size:           4
        .value_kind:     by_value
      - .offset:         164
        .size:           4
        .value_kind:     by_value
      - .offset:         168
        .size:           8
        .value_kind:     by_value
      - .offset:         176
        .size:           4
        .value_kind:     by_value
      - .offset:         180
        .size:           4
        .value_kind:     by_value
      - .offset:         184
        .size:           4
        .value_kind:     by_value
      - .offset:         188
        .size:           4
        .value_kind:     by_value
      - .offset:         192
        .size:           4
        .value_kind:     by_value
      - .offset:         200
        .size:           8
        .value_kind:     by_value
      - .offset:         208
        .size:           4
        .value_kind:     hidden_block_count_x
      - .offset:         212
        .size:           4
        .value_kind:     hidden_block_count_y
      - .offset:         216
        .size:           4
        .value_kind:     hidden_block_count_z
      - .offset:         220
        .size:           2
        .value_kind:     hidden_group_size_x
      - .offset:         222
        .size:           2
        .value_kind:     hidden_group_size_y
      - .offset:         224
        .size:           2
        .value_kind:     hidden_group_size_z
      - .offset:         226
        .size:           2
        .value_kind:     hidden_remainder_x
      - .offset:         228
        .size:           2
        .value_kind:     hidden_remainder_y
      - .offset:         230
        .size:           2
        .value_kind:     hidden_remainder_z
      - .offset:         248
        .size:           8
        .value_kind:     hidden_global_offset_x
      - .offset:         256
        .size:           8
        .value_kind:     hidden_global_offset_y
      - .offset:         264
        .size:           8
        .value_kind:     hidden_global_offset_z
      - .offset:         272
        .size:           2
        .value_kind:     hidden_grid_dims
      - .offset:         288
        .size:           8
        .value_kind:     hidden_hostcall_buffer
    .group_segment_fixed_size: 0
    .kernarg_segment_align: 8
    .kernarg_segment_size: 464
    .language:       OpenCL C
    .language_version:
      - 2
      - 0
    .max_flat_workgroup_size: 256
    .name:           _ZL18flash_attn_ext_f16ILi112ELi112ELi32ELi1ELb1ELb0EEvPKcS1_S1_S1_S1_PKiPfP15HIP_vector_typeIfLj2EEffffjfiS5_IjLj3EEiiiiiiiiiiiliiliiiiil
    .private_segment_fixed_size: 16
    .sgpr_count:     40
    .sgpr_spill_count: 0
    .symbol:         _ZL18flash_attn_ext_f16ILi112ELi112ELi32ELi1ELb1ELb0EEvPKcS1_S1_S1_S1_PKiPfP15HIP_vector_typeIfLj2EEffffjfiS5_IjLj3EEiiiiiiiiiiiliiliiiiil.kd
    .uniform_work_group_size: 1
    .uses_dynamic_stack: false
    .vgpr_count:     39
    .vgpr_spill_count: 0
    .wavefront_size: 64
  - .agpr_count:     0
    .args:
      - .address_space:  global
        .offset:         0
        .size:           8
        .value_kind:     global_buffer
      - .address_space:  global
        .offset:         8
        .size:           8
        .value_kind:     global_buffer
      - .offset:         16
        .size:           4
        .value_kind:     by_value
      - .offset:         20
        .size:           4
        .value_kind:     by_value
      - .offset:         24
        .size:           4
        .value_kind:     by_value
      - .offset:         28
        .size:           4
        .value_kind:     by_value
      - .offset:         32
        .size:           4
        .value_kind:     by_value
      - .offset:         36
        .size:           4
        .value_kind:     by_value
      - .offset:         40
        .size:           12
        .value_kind:     by_value
      - .offset:         52
        .size:           12
        .value_kind:     by_value
      - .offset:         64
        .size:           12
        .value_kind:     by_value
    .group_segment_fixed_size: 0
    .kernarg_segment_align: 8
    .kernarg_segment_size: 76
    .language:       OpenCL C
    .language_version:
      - 2
      - 0
    .max_flat_workgroup_size: 112
    .name:           _ZL33flash_attn_stream_k_fixup_uniformILi112ELi32ELi1EEvPfPK15HIP_vector_typeIfLj2EEiiiiiiS1_IjLj3EES5_S5_
    .private_segment_fixed_size: 0
    .sgpr_count:     24
    .sgpr_spill_count: 0
    .symbol:         _ZL33flash_attn_stream_k_fixup_uniformILi112ELi32ELi1EEvPfPK15HIP_vector_typeIfLj2EEiiiiiiS1_IjLj3EES5_S5_.kd
    .uniform_work_group_size: 1
    .uses_dynamic_stack: false
    .vgpr_count:     17
    .vgpr_spill_count: 0
    .wavefront_size: 64
  - .agpr_count:     0
    .args:
      - .address_space:  global
        .offset:         0
        .size:           8
        .value_kind:     global_buffer
      - .address_space:  global
        .offset:         8
        .size:           8
        .value_kind:     global_buffer
      - .offset:         16
        .size:           4
        .value_kind:     by_value
      - .offset:         20
        .size:           4
        .value_kind:     by_value
      - .offset:         24
        .size:           4
        .value_kind:     by_value
      - .offset:         28
        .size:           4
        .value_kind:     by_value
      - .offset:         32
        .size:           12
        .value_kind:     by_value
      - .offset:         44
        .size:           12
        .value_kind:     by_value
      - .offset:         56
        .size:           12
        .value_kind:     by_value
      - .offset:         68
        .size:           12
        .value_kind:     by_value
      - .offset:         80
        .size:           4
        .value_kind:     hidden_block_count_x
      - .offset:         84
        .size:           4
        .value_kind:     hidden_block_count_y
      - .offset:         88
        .size:           4
        .value_kind:     hidden_block_count_z
      - .offset:         92
        .size:           2
        .value_kind:     hidden_group_size_x
      - .offset:         94
        .size:           2
        .value_kind:     hidden_group_size_y
      - .offset:         96
        .size:           2
        .value_kind:     hidden_group_size_z
      - .offset:         98
        .size:           2
        .value_kind:     hidden_remainder_x
      - .offset:         100
        .size:           2
        .value_kind:     hidden_remainder_y
      - .offset:         102
        .size:           2
        .value_kind:     hidden_remainder_z
      - .offset:         120
        .size:           8
        .value_kind:     hidden_global_offset_x
      - .offset:         128
        .size:           8
        .value_kind:     hidden_global_offset_y
      - .offset:         136
        .size:           8
        .value_kind:     hidden_global_offset_z
      - .offset:         144
        .size:           2
        .value_kind:     hidden_grid_dims
    .group_segment_fixed_size: 0
    .kernarg_segment_align: 8
    .kernarg_segment_size: 336
    .language:       OpenCL C
    .language_version:
      - 2
      - 0
    .max_flat_workgroup_size: 112
    .name:           _ZL33flash_attn_stream_k_fixup_generalILi112ELi32ELi1EEvPfPK15HIP_vector_typeIfLj2EEiiiiS1_IjLj3EES5_S5_S5_
    .private_segment_fixed_size: 0
    .sgpr_count:     36
    .sgpr_spill_count: 0
    .symbol:         _ZL33flash_attn_stream_k_fixup_generalILi112ELi32ELi1EEvPfPK15HIP_vector_typeIfLj2EEiiiiS1_IjLj3EES5_S5_S5_.kd
    .uniform_work_group_size: 1
    .uses_dynamic_stack: false
    .vgpr_count:     22
    .vgpr_spill_count: 0
    .wavefront_size: 64
  - .agpr_count:     0
    .args:
      - .address_space:  global
        .offset:         0
        .size:           8
        .value_kind:     global_buffer
      - .address_space:  global
        .offset:         8
        .size:           8
        .value_kind:     global_buffer
      - .address_space:  global
        .offset:         16
        .size:           8
        .value_kind:     global_buffer
      - .offset:         24
        .size:           4
        .value_kind:     by_value
      - .offset:         32
        .size:           4
        .value_kind:     hidden_block_count_x
      - .offset:         36
        .size:           4
        .value_kind:     hidden_block_count_y
      - .offset:         40
        .size:           4
        .value_kind:     hidden_block_count_z
      - .offset:         44
        .size:           2
        .value_kind:     hidden_group_size_x
      - .offset:         46
        .size:           2
        .value_kind:     hidden_group_size_y
      - .offset:         48
        .size:           2
        .value_kind:     hidden_group_size_z
      - .offset:         50
        .size:           2
        .value_kind:     hidden_remainder_x
      - .offset:         52
        .size:           2
        .value_kind:     hidden_remainder_y
      - .offset:         54
        .size:           2
        .value_kind:     hidden_remainder_z
      - .offset:         72
        .size:           8
        .value_kind:     hidden_global_offset_x
      - .offset:         80
        .size:           8
        .value_kind:     hidden_global_offset_y
      - .offset:         88
        .size:           8
        .value_kind:     hidden_global_offset_z
      - .offset:         96
        .size:           2
        .value_kind:     hidden_grid_dims
      - .offset:         152
        .size:           4
        .value_kind:     hidden_dynamic_lds_size
    .group_segment_fixed_size: 0
    .kernarg_segment_align: 8
    .kernarg_segment_size: 288
    .language:       OpenCL C
    .language_version:
      - 2
      - 0
    .max_flat_workgroup_size: 112
    .name:           _ZL26flash_attn_combine_resultsILi112EEvPKfPK15HIP_vector_typeIfLj2EEPfi
    .private_segment_fixed_size: 0
    .sgpr_count:     33
    .sgpr_spill_count: 0
    .symbol:         _ZL26flash_attn_combine_resultsILi112EEvPKfPK15HIP_vector_typeIfLj2EEPfi.kd
    .uniform_work_group_size: 1
    .uses_dynamic_stack: false
    .vgpr_count:     51
    .vgpr_spill_count: 0
    .wavefront_size: 64
  - .agpr_count:     0
    .args:
      - .address_space:  global
        .offset:         0
        .size:           8
        .value_kind:     global_buffer
      - .address_space:  global
        .offset:         8
        .size:           8
        .value_kind:     global_buffer
      - .address_space:  global
        .offset:         16
        .size:           8
        .value_kind:     global_buffer
      - .address_space:  global
        .offset:         24
        .size:           8
        .value_kind:     global_buffer
      - .address_space:  global
        .offset:         32
        .size:           8
        .value_kind:     global_buffer
      - .address_space:  global
        .offset:         40
        .size:           8
        .value_kind:     global_buffer
      - .address_space:  global
        .offset:         48
        .size:           8
        .value_kind:     global_buffer
      - .address_space:  global
        .offset:         56
        .size:           8
        .value_kind:     global_buffer
      - .offset:         64
        .size:           4
        .value_kind:     by_value
      - .offset:         68
        .size:           4
        .value_kind:     by_value
      - .offset:         72
        .size:           4
        .value_kind:     by_value
      - .offset:         76
        .size:           4
        .value_kind:     by_value
      - .offset:         80
        .size:           4
        .value_kind:     by_value
      - .offset:         84
        .size:           4
        .value_kind:     by_value
      - .offset:         88
        .size:           4
        .value_kind:     by_value
      - .offset:         92
        .size:           12
        .value_kind:     by_value
      - .offset:         104
        .size:           4
        .value_kind:     by_value
      - .offset:         108
        .size:           4
        .value_kind:     by_value
      - .offset:         112
        .size:           4
        .value_kind:     by_value
      - .offset:         116
        .size:           4
        .value_kind:     by_value
      - .offset:         120
        .size:           4
        .value_kind:     by_value
      - .offset:         124
        .size:           4
        .value_kind:     by_value
      - .offset:         128
        .size:           4
        .value_kind:     by_value
      - .offset:         132
        .size:           4
        .value_kind:     by_value
      - .offset:         136
        .size:           4
        .value_kind:     by_value
      - .offset:         140
        .size:           4
        .value_kind:     by_value
      - .offset:         144
        .size:           4
        .value_kind:     by_value
      - .offset:         152
        .size:           8
        .value_kind:     by_value
      - .offset:         160
        .size:           4
        .value_kind:     by_value
      - .offset:         164
        .size:           4
        .value_kind:     by_value
      - .offset:         168
        .size:           8
        .value_kind:     by_value
      - .offset:         176
        .size:           4
        .value_kind:     by_value
      - .offset:         180
        .size:           4
        .value_kind:     by_value
      - .offset:         184
        .size:           4
        .value_kind:     by_value
      - .offset:         188
        .size:           4
        .value_kind:     by_value
      - .offset:         192
        .size:           4
        .value_kind:     by_value
      - .offset:         200
        .size:           8
        .value_kind:     by_value
      - .offset:         208
        .size:           4
        .value_kind:     hidden_block_count_x
      - .offset:         212
        .size:           4
        .value_kind:     hidden_block_count_y
      - .offset:         216
        .size:           4
        .value_kind:     hidden_block_count_z
      - .offset:         220
        .size:           2
        .value_kind:     hidden_group_size_x
      - .offset:         222
        .size:           2
        .value_kind:     hidden_group_size_y
      - .offset:         224
        .size:           2
        .value_kind:     hidden_group_size_z
      - .offset:         226
        .size:           2
        .value_kind:     hidden_remainder_x
      - .offset:         228
        .size:           2
        .value_kind:     hidden_remainder_y
      - .offset:         230
        .size:           2
        .value_kind:     hidden_remainder_z
      - .offset:         248
        .size:           8
        .value_kind:     hidden_global_offset_x
      - .offset:         256
        .size:           8
        .value_kind:     hidden_global_offset_y
      - .offset:         264
        .size:           8
        .value_kind:     hidden_global_offset_z
      - .offset:         272
        .size:           2
        .value_kind:     hidden_grid_dims
      - .offset:         328
        .size:           4
        .value_kind:     hidden_dynamic_lds_size
    .group_segment_fixed_size: 0
    .kernarg_segment_align: 8
    .kernarg_segment_size: 464
    .language:       OpenCL C
    .language_version:
      - 2
      - 0
    .max_flat_workgroup_size: 256
    .name:           _ZL18flash_attn_ext_f16ILi128ELi128ELi32ELi1ELb0ELb0EEvPKcS1_S1_S1_S1_PKiPfP15HIP_vector_typeIfLj2EEffffjfiS5_IjLj3EEiiiiiiiiiiiliiliiiiil
    .private_segment_fixed_size: 112
    .sgpr_count:     106
    .sgpr_spill_count: 78
    .symbol:         _ZL18flash_attn_ext_f16ILi128ELi128ELi32ELi1ELb0ELb0EEvPKcS1_S1_S1_S1_PKiPfP15HIP_vector_typeIfLj2EEffffjfiS5_IjLj3EEiiiiiiiiiiiliiliiiiil.kd
    .uniform_work_group_size: 1
    .uses_dynamic_stack: false
    .vgpr_count:     256
    .vgpr_spill_count: 23
    .wavefront_size: 64
  - .agpr_count:     0
    .args:
      - .address_space:  global
        .offset:         0
        .size:           8
        .value_kind:     global_buffer
      - .address_space:  global
        .offset:         8
        .size:           8
        .value_kind:     global_buffer
      - .address_space:  global
        .offset:         16
        .size:           8
        .value_kind:     global_buffer
      - .address_space:  global
        .offset:         24
        .size:           8
        .value_kind:     global_buffer
      - .address_space:  global
        .offset:         32
        .size:           8
        .value_kind:     global_buffer
      - .address_space:  global
        .offset:         40
        .size:           8
        .value_kind:     global_buffer
      - .address_space:  global
        .offset:         48
        .size:           8
        .value_kind:     global_buffer
      - .address_space:  global
        .offset:         56
        .size:           8
        .value_kind:     global_buffer
      - .offset:         64
        .size:           4
        .value_kind:     by_value
      - .offset:         68
        .size:           4
        .value_kind:     by_value
      - .offset:         72
        .size:           4
        .value_kind:     by_value
      - .offset:         76
        .size:           4
        .value_kind:     by_value
      - .offset:         80
        .size:           4
        .value_kind:     by_value
      - .offset:         84
        .size:           4
        .value_kind:     by_value
      - .offset:         88
        .size:           4
        .value_kind:     by_value
      - .offset:         92
        .size:           12
        .value_kind:     by_value
      - .offset:         104
        .size:           4
        .value_kind:     by_value
      - .offset:         108
        .size:           4
        .value_kind:     by_value
      - .offset:         112
        .size:           4
        .value_kind:     by_value
      - .offset:         116
        .size:           4
        .value_kind:     by_value
      - .offset:         120
        .size:           4
        .value_kind:     by_value
      - .offset:         124
        .size:           4
        .value_kind:     by_value
      - .offset:         128
        .size:           4
        .value_kind:     by_value
      - .offset:         132
        .size:           4
        .value_kind:     by_value
      - .offset:         136
        .size:           4
        .value_kind:     by_value
      - .offset:         140
        .size:           4
        .value_kind:     by_value
      - .offset:         144
        .size:           4
        .value_kind:     by_value
      - .offset:         152
        .size:           8
        .value_kind:     by_value
      - .offset:         160
        .size:           4
        .value_kind:     by_value
      - .offset:         164
        .size:           4
        .value_kind:     by_value
      - .offset:         168
        .size:           8
        .value_kind:     by_value
      - .offset:         176
        .size:           4
        .value_kind:     by_value
      - .offset:         180
        .size:           4
        .value_kind:     by_value
      - .offset:         184
        .size:           4
        .value_kind:     by_value
      - .offset:         188
        .size:           4
        .value_kind:     by_value
      - .offset:         192
        .size:           4
        .value_kind:     by_value
      - .offset:         200
        .size:           8
        .value_kind:     by_value
      - .offset:         208
        .size:           4
        .value_kind:     hidden_block_count_x
      - .offset:         212
        .size:           4
        .value_kind:     hidden_block_count_y
      - .offset:         216
        .size:           4
        .value_kind:     hidden_block_count_z
      - .offset:         220
        .size:           2
        .value_kind:     hidden_group_size_x
      - .offset:         222
        .size:           2
        .value_kind:     hidden_group_size_y
      - .offset:         224
        .size:           2
        .value_kind:     hidden_group_size_z
      - .offset:         226
        .size:           2
        .value_kind:     hidden_remainder_x
      - .offset:         228
        .size:           2
        .value_kind:     hidden_remainder_y
      - .offset:         230
        .size:           2
        .value_kind:     hidden_remainder_z
      - .offset:         248
        .size:           8
        .value_kind:     hidden_global_offset_x
      - .offset:         256
        .size:           8
        .value_kind:     hidden_global_offset_y
      - .offset:         264
        .size:           8
        .value_kind:     hidden_global_offset_z
      - .offset:         272
        .size:           2
        .value_kind:     hidden_grid_dims
      - .offset:         328
        .size:           4
        .value_kind:     hidden_dynamic_lds_size
    .group_segment_fixed_size: 0
    .kernarg_segment_align: 8
    .kernarg_segment_size: 464
    .language:       OpenCL C
    .language_version:
      - 2
      - 0
    .max_flat_workgroup_size: 256
    .name:           _ZL18flash_attn_ext_f16ILi128ELi128ELi32ELi1ELb1ELb0EEvPKcS1_S1_S1_S1_PKiPfP15HIP_vector_typeIfLj2EEffffjfiS5_IjLj3EEiiiiiiiiiiiliiliiiiil
    .private_segment_fixed_size: 128
    .sgpr_count:     106
    .sgpr_spill_count: 88
    .symbol:         _ZL18flash_attn_ext_f16ILi128ELi128ELi32ELi1ELb1ELb0EEvPKcS1_S1_S1_S1_PKiPfP15HIP_vector_typeIfLj2EEffffjfiS5_IjLj3EEiiiiiiiiiiiliiliiiiil.kd
    .uniform_work_group_size: 1
    .uses_dynamic_stack: false
    .vgpr_count:     256
    .vgpr_spill_count: 26
    .wavefront_size: 64
  - .agpr_count:     0
    .args:
      - .address_space:  global
        .offset:         0
        .size:           8
        .value_kind:     global_buffer
      - .address_space:  global
        .offset:         8
        .size:           8
        .value_kind:     global_buffer
      - .offset:         16
        .size:           4
        .value_kind:     by_value
      - .offset:         20
        .size:           4
        .value_kind:     by_value
      - .offset:         24
        .size:           4
        .value_kind:     by_value
      - .offset:         28
        .size:           4
        .value_kind:     by_value
      - .offset:         32
        .size:           4
        .value_kind:     by_value
      - .offset:         36
        .size:           4
        .value_kind:     by_value
      - .offset:         40
        .size:           12
        .value_kind:     by_value
      - .offset:         52
        .size:           12
        .value_kind:     by_value
      - .offset:         64
        .size:           12
        .value_kind:     by_value
    .group_segment_fixed_size: 0
    .kernarg_segment_align: 8
    .kernarg_segment_size: 76
    .language:       OpenCL C
    .language_version:
      - 2
      - 0
    .max_flat_workgroup_size: 128
    .name:           _ZL33flash_attn_stream_k_fixup_uniformILi128ELi32ELi1EEvPfPK15HIP_vector_typeIfLj2EEiiiiiiS1_IjLj3EES5_S5_
    .private_segment_fixed_size: 0
    .sgpr_count:     24
    .sgpr_spill_count: 0
    .symbol:         _ZL33flash_attn_stream_k_fixup_uniformILi128ELi32ELi1EEvPfPK15HIP_vector_typeIfLj2EEiiiiiiS1_IjLj3EES5_S5_.kd
    .uniform_work_group_size: 1
    .uses_dynamic_stack: false
    .vgpr_count:     17
    .vgpr_spill_count: 0
    .wavefront_size: 64
  - .agpr_count:     0
    .args:
      - .address_space:  global
        .offset:         0
        .size:           8
        .value_kind:     global_buffer
      - .address_space:  global
        .offset:         8
        .size:           8
        .value_kind:     global_buffer
      - .offset:         16
        .size:           4
        .value_kind:     by_value
      - .offset:         20
        .size:           4
        .value_kind:     by_value
      - .offset:         24
        .size:           4
        .value_kind:     by_value
      - .offset:         28
        .size:           4
        .value_kind:     by_value
      - .offset:         32
        .size:           12
        .value_kind:     by_value
      - .offset:         44
        .size:           12
        .value_kind:     by_value
      - .offset:         56
        .size:           12
        .value_kind:     by_value
      - .offset:         68
        .size:           12
        .value_kind:     by_value
      - .offset:         80
        .size:           4
        .value_kind:     hidden_block_count_x
      - .offset:         84
        .size:           4
        .value_kind:     hidden_block_count_y
      - .offset:         88
        .size:           4
        .value_kind:     hidden_block_count_z
      - .offset:         92
        .size:           2
        .value_kind:     hidden_group_size_x
      - .offset:         94
        .size:           2
        .value_kind:     hidden_group_size_y
      - .offset:         96
        .size:           2
        .value_kind:     hidden_group_size_z
      - .offset:         98
        .size:           2
        .value_kind:     hidden_remainder_x
      - .offset:         100
        .size:           2
        .value_kind:     hidden_remainder_y
      - .offset:         102
        .size:           2
        .value_kind:     hidden_remainder_z
      - .offset:         120
        .size:           8
        .value_kind:     hidden_global_offset_x
      - .offset:         128
        .size:           8
        .value_kind:     hidden_global_offset_y
      - .offset:         136
        .size:           8
        .value_kind:     hidden_global_offset_z
      - .offset:         144
        .size:           2
        .value_kind:     hidden_grid_dims
    .group_segment_fixed_size: 0
    .kernarg_segment_align: 8
    .kernarg_segment_size: 336
    .language:       OpenCL C
    .language_version:
      - 2
      - 0
    .max_flat_workgroup_size: 128
    .name:           _ZL33flash_attn_stream_k_fixup_generalILi128ELi32ELi1EEvPfPK15HIP_vector_typeIfLj2EEiiiiS1_IjLj3EES5_S5_S5_
    .private_segment_fixed_size: 0
    .sgpr_count:     36
    .sgpr_spill_count: 0
    .symbol:         _ZL33flash_attn_stream_k_fixup_generalILi128ELi32ELi1EEvPfPK15HIP_vector_typeIfLj2EEiiiiS1_IjLj3EES5_S5_S5_.kd
    .uniform_work_group_size: 1
    .uses_dynamic_stack: false
    .vgpr_count:     22
    .vgpr_spill_count: 0
    .wavefront_size: 64
  - .agpr_count:     0
    .args:
      - .address_space:  global
        .offset:         0
        .size:           8
        .value_kind:     global_buffer
      - .address_space:  global
        .offset:         8
        .size:           8
        .value_kind:     global_buffer
      - .address_space:  global
        .offset:         16
        .size:           8
        .value_kind:     global_buffer
      - .offset:         24
        .size:           4
        .value_kind:     by_value
      - .offset:         32
        .size:           4
        .value_kind:     hidden_block_count_x
      - .offset:         36
        .size:           4
        .value_kind:     hidden_block_count_y
      - .offset:         40
        .size:           4
        .value_kind:     hidden_block_count_z
      - .offset:         44
        .size:           2
        .value_kind:     hidden_group_size_x
      - .offset:         46
        .size:           2
        .value_kind:     hidden_group_size_y
      - .offset:         48
        .size:           2
        .value_kind:     hidden_group_size_z
      - .offset:         50
        .size:           2
        .value_kind:     hidden_remainder_x
      - .offset:         52
        .size:           2
        .value_kind:     hidden_remainder_y
      - .offset:         54
        .size:           2
        .value_kind:     hidden_remainder_z
      - .offset:         72
        .size:           8
        .value_kind:     hidden_global_offset_x
      - .offset:         80
        .size:           8
        .value_kind:     hidden_global_offset_y
      - .offset:         88
        .size:           8
        .value_kind:     hidden_global_offset_z
      - .offset:         96
        .size:           2
        .value_kind:     hidden_grid_dims
      - .offset:         152
        .size:           4
        .value_kind:     hidden_dynamic_lds_size
    .group_segment_fixed_size: 0
    .kernarg_segment_align: 8
    .kernarg_segment_size: 288
    .language:       OpenCL C
    .language_version:
      - 2
      - 0
    .max_flat_workgroup_size: 128
    .name:           _ZL26flash_attn_combine_resultsILi128EEvPKfPK15HIP_vector_typeIfLj2EEPfi
    .private_segment_fixed_size: 0
    .sgpr_count:     30
    .sgpr_spill_count: 0
    .symbol:         _ZL26flash_attn_combine_resultsILi128EEvPKfPK15HIP_vector_typeIfLj2EEPfi.kd
    .uniform_work_group_size: 1
    .uses_dynamic_stack: false
    .vgpr_count:     51
    .vgpr_spill_count: 0
    .wavefront_size: 64
  - .agpr_count:     181
    .args:
      - .address_space:  global
        .offset:         0
        .size:           8
        .value_kind:     global_buffer
      - .address_space:  global
        .offset:         8
        .size:           8
        .value_kind:     global_buffer
      - .address_space:  global
        .offset:         16
        .size:           8
        .value_kind:     global_buffer
      - .address_space:  global
        .offset:         24
        .size:           8
        .value_kind:     global_buffer
      - .address_space:  global
        .offset:         32
        .size:           8
        .value_kind:     global_buffer
      - .address_space:  global
        .offset:         40
        .size:           8
        .value_kind:     global_buffer
      - .address_space:  global
        .offset:         48
        .size:           8
        .value_kind:     global_buffer
      - .address_space:  global
        .offset:         56
        .size:           8
        .value_kind:     global_buffer
      - .offset:         64
        .size:           4
        .value_kind:     by_value
      - .offset:         68
        .size:           4
        .value_kind:     by_value
      - .offset:         72
        .size:           4
        .value_kind:     by_value
      - .offset:         76
        .size:           4
        .value_kind:     by_value
      - .offset:         80
        .size:           4
        .value_kind:     by_value
      - .offset:         84
        .size:           4
        .value_kind:     by_value
      - .offset:         88
        .size:           4
        .value_kind:     by_value
      - .offset:         92
        .size:           12
        .value_kind:     by_value
      - .offset:         104
        .size:           4
        .value_kind:     by_value
      - .offset:         108
        .size:           4
        .value_kind:     by_value
      - .offset:         112
        .size:           4
        .value_kind:     by_value
      - .offset:         116
        .size:           4
        .value_kind:     by_value
      - .offset:         120
        .size:           4
        .value_kind:     by_value
      - .offset:         124
        .size:           4
        .value_kind:     by_value
      - .offset:         128
        .size:           4
        .value_kind:     by_value
      - .offset:         132
        .size:           4
        .value_kind:     by_value
      - .offset:         136
        .size:           4
        .value_kind:     by_value
      - .offset:         140
        .size:           4
        .value_kind:     by_value
      - .offset:         144
        .size:           4
        .value_kind:     by_value
      - .offset:         152
        .size:           8
        .value_kind:     by_value
      - .offset:         160
        .size:           4
        .value_kind:     by_value
      - .offset:         164
        .size:           4
        .value_kind:     by_value
      - .offset:         168
        .size:           8
        .value_kind:     by_value
      - .offset:         176
        .size:           4
        .value_kind:     by_value
      - .offset:         180
        .size:           4
        .value_kind:     by_value
      - .offset:         184
        .size:           4
        .value_kind:     by_value
      - .offset:         188
        .size:           4
        .value_kind:     by_value
      - .offset:         192
        .size:           4
        .value_kind:     by_value
      - .offset:         200
        .size:           8
        .value_kind:     by_value
      - .offset:         208
        .size:           4
        .value_kind:     hidden_block_count_x
      - .offset:         212
        .size:           4
        .value_kind:     hidden_block_count_y
      - .offset:         216
        .size:           4
        .value_kind:     hidden_block_count_z
      - .offset:         220
        .size:           2
        .value_kind:     hidden_group_size_x
      - .offset:         222
        .size:           2
        .value_kind:     hidden_group_size_y
      - .offset:         224
        .size:           2
        .value_kind:     hidden_group_size_z
      - .offset:         226
        .size:           2
        .value_kind:     hidden_remainder_x
      - .offset:         228
        .size:           2
        .value_kind:     hidden_remainder_y
      - .offset:         230
        .size:           2
        .value_kind:     hidden_remainder_z
      - .offset:         248
        .size:           8
        .value_kind:     hidden_global_offset_x
      - .offset:         256
        .size:           8
        .value_kind:     hidden_global_offset_y
      - .offset:         264
        .size:           8
        .value_kind:     hidden_global_offset_z
      - .offset:         272
        .size:           2
        .value_kind:     hidden_grid_dims
      - .offset:         328
        .size:           4
        .value_kind:     hidden_dynamic_lds_size
    .group_segment_fixed_size: 0
    .kernarg_segment_align: 8
    .kernarg_segment_size: 464
    .language:       OpenCL C
    .language_version:
      - 2
      - 0
    .max_flat_workgroup_size: 256
    .name:           _ZL18flash_attn_ext_f16ILi256ELi256ELi32ELi1ELb0ELb0EEvPKcS1_S1_S1_S1_PKiPfP15HIP_vector_typeIfLj2EEffffjfiS5_IjLj3EEiiiiiiiiiiiliiliiiiil
    .private_segment_fixed_size: 32
    .sgpr_count:     106
    .sgpr_spill_count: 104
    .symbol:         _ZL18flash_attn_ext_f16ILi256ELi256ELi32ELi1ELb0ELb0EEvPKcS1_S1_S1_S1_PKiPfP15HIP_vector_typeIfLj2EEffffjfiS5_IjLj3EEiiiiiiiiiiiliiliiiiil.kd
    .uniform_work_group_size: 1
    .uses_dynamic_stack: false
    .vgpr_count:     437
    .vgpr_spill_count: 0
    .wavefront_size: 64
  - .agpr_count:     183
    .args:
      - .address_space:  global
        .offset:         0
        .size:           8
        .value_kind:     global_buffer
      - .address_space:  global
        .offset:         8
        .size:           8
        .value_kind:     global_buffer
      - .address_space:  global
        .offset:         16
        .size:           8
        .value_kind:     global_buffer
      - .address_space:  global
        .offset:         24
        .size:           8
        .value_kind:     global_buffer
      - .address_space:  global
        .offset:         32
        .size:           8
        .value_kind:     global_buffer
      - .address_space:  global
        .offset:         40
        .size:           8
        .value_kind:     global_buffer
      - .address_space:  global
        .offset:         48
        .size:           8
        .value_kind:     global_buffer
      - .address_space:  global
        .offset:         56
        .size:           8
        .value_kind:     global_buffer
      - .offset:         64
        .size:           4
        .value_kind:     by_value
      - .offset:         68
        .size:           4
        .value_kind:     by_value
      - .offset:         72
        .size:           4
        .value_kind:     by_value
      - .offset:         76
        .size:           4
        .value_kind:     by_value
      - .offset:         80
        .size:           4
        .value_kind:     by_value
      - .offset:         84
        .size:           4
        .value_kind:     by_value
      - .offset:         88
        .size:           4
        .value_kind:     by_value
      - .offset:         92
        .size:           12
        .value_kind:     by_value
      - .offset:         104
        .size:           4
        .value_kind:     by_value
      - .offset:         108
        .size:           4
        .value_kind:     by_value
      - .offset:         112
        .size:           4
        .value_kind:     by_value
      - .offset:         116
        .size:           4
        .value_kind:     by_value
      - .offset:         120
        .size:           4
        .value_kind:     by_value
      - .offset:         124
        .size:           4
        .value_kind:     by_value
      - .offset:         128
        .size:           4
        .value_kind:     by_value
      - .offset:         132
        .size:           4
        .value_kind:     by_value
      - .offset:         136
        .size:           4
        .value_kind:     by_value
      - .offset:         140
        .size:           4
        .value_kind:     by_value
      - .offset:         144
        .size:           4
        .value_kind:     by_value
      - .offset:         152
        .size:           8
        .value_kind:     by_value
      - .offset:         160
        .size:           4
        .value_kind:     by_value
      - .offset:         164
        .size:           4
        .value_kind:     by_value
      - .offset:         168
        .size:           8
        .value_kind:     by_value
      - .offset:         176
        .size:           4
        .value_kind:     by_value
      - .offset:         180
        .size:           4
        .value_kind:     by_value
      - .offset:         184
        .size:           4
        .value_kind:     by_value
      - .offset:         188
        .size:           4
        .value_kind:     by_value
      - .offset:         192
        .size:           4
        .value_kind:     by_value
      - .offset:         200
        .size:           8
        .value_kind:     by_value
      - .offset:         208
        .size:           4
        .value_kind:     hidden_block_count_x
      - .offset:         212
        .size:           4
        .value_kind:     hidden_block_count_y
      - .offset:         216
        .size:           4
        .value_kind:     hidden_block_count_z
      - .offset:         220
        .size:           2
        .value_kind:     hidden_group_size_x
      - .offset:         222
        .size:           2
        .value_kind:     hidden_group_size_y
      - .offset:         224
        .size:           2
        .value_kind:     hidden_group_size_z
      - .offset:         226
        .size:           2
        .value_kind:     hidden_remainder_x
      - .offset:         228
        .size:           2
        .value_kind:     hidden_remainder_y
      - .offset:         230
        .size:           2
        .value_kind:     hidden_remainder_z
      - .offset:         248
        .size:           8
        .value_kind:     hidden_global_offset_x
      - .offset:         256
        .size:           8
        .value_kind:     hidden_global_offset_y
      - .offset:         264
        .size:           8
        .value_kind:     hidden_global_offset_z
      - .offset:         272
        .size:           2
        .value_kind:     hidden_grid_dims
      - .offset:         328
        .size:           4
        .value_kind:     hidden_dynamic_lds_size
    .group_segment_fixed_size: 0
    .kernarg_segment_align: 8
    .kernarg_segment_size: 464
    .language:       OpenCL C
    .language_version:
      - 2
      - 0
    .max_flat_workgroup_size: 256
    .name:           _ZL18flash_attn_ext_f16ILi256ELi256ELi32ELi1ELb1ELb0EEvPKcS1_S1_S1_S1_PKiPfP15HIP_vector_typeIfLj2EEffffjfiS5_IjLj3EEiiiiiiiiiiiliiliiiiil
    .private_segment_fixed_size: 32
    .sgpr_count:     104
    .sgpr_spill_count: 112
    .symbol:         _ZL18flash_attn_ext_f16ILi256ELi256ELi32ELi1ELb1ELb0EEvPKcS1_S1_S1_S1_PKiPfP15HIP_vector_typeIfLj2EEffffjfiS5_IjLj3EEiiiiiiiiiiiliiliiiiil.kd
    .uniform_work_group_size: 1
    .uses_dynamic_stack: false
    .vgpr_count:     439
    .vgpr_spill_count: 0
    .wavefront_size: 64
  - .agpr_count:     0
    .args:
      - .address_space:  global
        .offset:         0
        .size:           8
        .value_kind:     global_buffer
      - .address_space:  global
        .offset:         8
        .size:           8
        .value_kind:     global_buffer
      - .offset:         16
        .size:           4
        .value_kind:     by_value
      - .offset:         20
        .size:           4
        .value_kind:     by_value
      - .offset:         24
        .size:           4
        .value_kind:     by_value
      - .offset:         28
        .size:           4
        .value_kind:     by_value
      - .offset:         32
        .size:           4
        .value_kind:     by_value
      - .offset:         36
        .size:           4
        .value_kind:     by_value
      - .offset:         40
        .size:           12
        .value_kind:     by_value
      - .offset:         52
        .size:           12
        .value_kind:     by_value
      - .offset:         64
        .size:           12
        .value_kind:     by_value
    .group_segment_fixed_size: 0
    .kernarg_segment_align: 8
    .kernarg_segment_size: 76
    .language:       OpenCL C
    .language_version:
      - 2
      - 0
    .max_flat_workgroup_size: 256
    .name:           _ZL33flash_attn_stream_k_fixup_uniformILi256ELi32ELi1EEvPfPK15HIP_vector_typeIfLj2EEiiiiiiS1_IjLj3EES5_S5_
    .private_segment_fixed_size: 0
    .sgpr_count:     24
    .sgpr_spill_count: 0
    .symbol:         _ZL33flash_attn_stream_k_fixup_uniformILi256ELi32ELi1EEvPfPK15HIP_vector_typeIfLj2EEiiiiiiS1_IjLj3EES5_S5_.kd
    .uniform_work_group_size: 1
    .uses_dynamic_stack: false
    .vgpr_count:     17
    .vgpr_spill_count: 0
    .wavefront_size: 64
  - .agpr_count:     0
    .args:
      - .address_space:  global
        .offset:         0
        .size:           8
        .value_kind:     global_buffer
      - .address_space:  global
        .offset:         8
        .size:           8
        .value_kind:     global_buffer
      - .offset:         16
        .size:           4
        .value_kind:     by_value
      - .offset:         20
        .size:           4
        .value_kind:     by_value
      - .offset:         24
        .size:           4
        .value_kind:     by_value
      - .offset:         28
        .size:           4
        .value_kind:     by_value
      - .offset:         32
        .size:           12
        .value_kind:     by_value
      - .offset:         44
        .size:           12
        .value_kind:     by_value
      - .offset:         56
        .size:           12
        .value_kind:     by_value
      - .offset:         68
        .size:           12
        .value_kind:     by_value
      - .offset:         80
        .size:           4
        .value_kind:     hidden_block_count_x
      - .offset:         84
        .size:           4
        .value_kind:     hidden_block_count_y
      - .offset:         88
        .size:           4
        .value_kind:     hidden_block_count_z
      - .offset:         92
        .size:           2
        .value_kind:     hidden_group_size_x
      - .offset:         94
        .size:           2
        .value_kind:     hidden_group_size_y
      - .offset:         96
        .size:           2
        .value_kind:     hidden_group_size_z
      - .offset:         98
        .size:           2
        .value_kind:     hidden_remainder_x
      - .offset:         100
        .size:           2
        .value_kind:     hidden_remainder_y
      - .offset:         102
        .size:           2
        .value_kind:     hidden_remainder_z
      - .offset:         120
        .size:           8
        .value_kind:     hidden_global_offset_x
      - .offset:         128
        .size:           8
        .value_kind:     hidden_global_offset_y
      - .offset:         136
        .size:           8
        .value_kind:     hidden_global_offset_z
      - .offset:         144
        .size:           2
        .value_kind:     hidden_grid_dims
    .group_segment_fixed_size: 0
    .kernarg_segment_align: 8
    .kernarg_segment_size: 336
    .language:       OpenCL C
    .language_version:
      - 2
      - 0
    .max_flat_workgroup_size: 256
    .name:           _ZL33flash_attn_stream_k_fixup_generalILi256ELi32ELi1EEvPfPK15HIP_vector_typeIfLj2EEiiiiS1_IjLj3EES5_S5_S5_
    .private_segment_fixed_size: 0
    .sgpr_count:     36
    .sgpr_spill_count: 0
    .symbol:         _ZL33flash_attn_stream_k_fixup_generalILi256ELi32ELi1EEvPfPK15HIP_vector_typeIfLj2EEiiiiS1_IjLj3EES5_S5_S5_.kd
    .uniform_work_group_size: 1
    .uses_dynamic_stack: false
    .vgpr_count:     22
    .vgpr_spill_count: 0
    .wavefront_size: 64
  - .agpr_count:     0
    .args:
      - .address_space:  global
        .offset:         0
        .size:           8
        .value_kind:     global_buffer
      - .address_space:  global
        .offset:         8
        .size:           8
        .value_kind:     global_buffer
      - .address_space:  global
        .offset:         16
        .size:           8
        .value_kind:     global_buffer
      - .offset:         24
        .size:           4
        .value_kind:     by_value
      - .offset:         32
        .size:           4
        .value_kind:     hidden_block_count_x
      - .offset:         36
        .size:           4
        .value_kind:     hidden_block_count_y
      - .offset:         40
        .size:           4
        .value_kind:     hidden_block_count_z
      - .offset:         44
        .size:           2
        .value_kind:     hidden_group_size_x
      - .offset:         46
        .size:           2
        .value_kind:     hidden_group_size_y
      - .offset:         48
        .size:           2
        .value_kind:     hidden_group_size_z
      - .offset:         50
        .size:           2
        .value_kind:     hidden_remainder_x
      - .offset:         52
        .size:           2
        .value_kind:     hidden_remainder_y
      - .offset:         54
        .size:           2
        .value_kind:     hidden_remainder_z
      - .offset:         72
        .size:           8
        .value_kind:     hidden_global_offset_x
      - .offset:         80
        .size:           8
        .value_kind:     hidden_global_offset_y
      - .offset:         88
        .size:           8
        .value_kind:     hidden_global_offset_z
      - .offset:         96
        .size:           2
        .value_kind:     hidden_grid_dims
      - .offset:         152
        .size:           4
        .value_kind:     hidden_dynamic_lds_size
    .group_segment_fixed_size: 0
    .kernarg_segment_align: 8
    .kernarg_segment_size: 288
    .language:       OpenCL C
    .language_version:
      - 2
      - 0
    .max_flat_workgroup_size: 256
    .name:           _ZL26flash_attn_combine_resultsILi256EEvPKfPK15HIP_vector_typeIfLj2EEPfi
    .private_segment_fixed_size: 0
    .sgpr_count:     30
    .sgpr_spill_count: 0
    .symbol:         _ZL26flash_attn_combine_resultsILi256EEvPKfPK15HIP_vector_typeIfLj2EEPfi.kd
    .uniform_work_group_size: 1
    .uses_dynamic_stack: false
    .vgpr_count:     51
    .vgpr_spill_count: 0
    .wavefront_size: 64
amdhsa.target:   amdgcn-amd-amdhsa--gfx90a
amdhsa.version:
  - 1
  - 2
...

	.end_amdgpu_metadata
